;; amdgpu-corpus repo=ggml-org/llama.cpp kind=compiled arch=gfx1250 opt=O3
	.amdgcn_target "amdgcn-amd-amdhsa--gfx1250"
	.amdhsa_code_object_version 6
	.section	.text._ZL15flash_attn_tileILi96ELi96ELi8ELi8ELb0EEvPKcS1_S1_S1_S1_PKiPfP15HIP_vector_typeIfLj2EEffffjfiS5_IjLj3EEiiiiiiiiiiiliiliiiiil,"axG",@progbits,_ZL15flash_attn_tileILi96ELi96ELi8ELi8ELb0EEvPKcS1_S1_S1_S1_PKiPfP15HIP_vector_typeIfLj2EEffffjfiS5_IjLj3EEiiiiiiiiiiiliiliiiiil,comdat
	.globl	_ZL15flash_attn_tileILi96ELi96ELi8ELi8ELb0EEvPKcS1_S1_S1_S1_PKiPfP15HIP_vector_typeIfLj2EEffffjfiS5_IjLj3EEiiiiiiiiiiiliiliiiiil ; -- Begin function _ZL15flash_attn_tileILi96ELi96ELi8ELi8ELb0EEvPKcS1_S1_S1_S1_PKiPfP15HIP_vector_typeIfLj2EEffffjfiS5_IjLj3EEiiiiiiiiiiiliiliiiiil
	.p2align	8
	.type	_ZL15flash_attn_tileILi96ELi96ELi8ELi8ELb0EEvPKcS1_S1_S1_S1_PKiPfP15HIP_vector_typeIfLj2EEffffjfiS5_IjLj3EEiiiiiiiiiiiliiliiiiil,@function
_ZL15flash_attn_tileILi96ELi96ELi8ELi8ELb0EEvPKcS1_S1_S1_S1_PKiPfP15HIP_vector_typeIfLj2EEffffjfiS5_IjLj3EEiiiiiiiiiiiliiliiiiil: ; @_ZL15flash_attn_tileILi96ELi96ELi8ELi8ELb0EEvPKcS1_S1_S1_S1_PKiPfP15HIP_vector_typeIfLj2EEffffjfiS5_IjLj3EEiiiiiiiiiiiliiliiiiil
; %bb.0:
	s_clause 0x1
	s_load_b128 s[36:39], s[0:1], 0x5c
	s_load_b64 s[40:41], s[0:1], 0x80
	s_bfe_u32 s5, ttmp6, 0x40014
	s_lshr_b32 s4, ttmp7, 16
	s_add_co_i32 s5, s5, 1
	s_bfe_u32 s6, ttmp6, 0x40008
	s_mul_i32 s5, s4, s5
	s_getreg_b32 s12, hwreg(HW_REG_IB_STS2, 6, 4)
	s_add_co_i32 s6, s6, s5
	s_load_b512 s[16:31], s[0:1], 0x0
	s_mov_b32 s9, 0
	s_mov_b64 s[42:43], 0
	s_wait_kmcnt 0x0
	s_ashr_i32 s2, s39, 31
	s_delay_alu instid0(SALU_CYCLE_1) | instskip(NEXT) | instid1(SALU_CYCLE_1)
	s_lshr_b32 s2, s2, 29
	s_add_co_i32 s2, s39, s2
	s_delay_alu instid0(SALU_CYCLE_1) | instskip(NEXT) | instid1(SALU_CYCLE_1)
	s_ashr_i32 s2, s2, 3
	s_cvt_f32_u32 s3, s2
	s_sub_co_i32 s7, 0, s2
	s_delay_alu instid0(SALU_CYCLE_2) | instskip(SKIP_1) | instid1(TRANS32_DEP_1)
	v_rcp_iflag_f32_e32 v1, s3
	v_nop
	v_readfirstlane_b32 s3, v1
	s_mul_f32 s3, s3, 0x4f7ffffe
	s_delay_alu instid0(SALU_CYCLE_3) | instskip(NEXT) | instid1(SALU_CYCLE_3)
	s_cvt_u32_f32 s3, s3
	s_mul_i32 s7, s7, s3
	s_delay_alu instid0(SALU_CYCLE_1) | instskip(NEXT) | instid1(SALU_CYCLE_1)
	s_mul_hi_u32 s7, s3, s7
	s_add_co_i32 s3, s3, s7
	s_cmp_eq_u32 s12, 0
	s_cselect_b32 s4, s4, s6
	s_delay_alu instid0(SALU_CYCLE_1) | instskip(NEXT) | instid1(SALU_CYCLE_1)
	s_mul_hi_u32 s3, s4, s3
	s_mul_i32 s5, s3, s2
	s_add_co_i32 s6, s3, 1
	s_sub_co_i32 s5, s4, s5
	s_delay_alu instid0(SALU_CYCLE_1)
	s_sub_co_i32 s7, s5, s2
	s_cmp_ge_u32 s5, s2
	s_cselect_b32 s3, s6, s3
	s_cselect_b32 s5, s7, s5
	s_add_co_i32 s6, s3, 1
	s_cmp_ge_u32 s5, s2
	s_cselect_b32 s34, s6, s3
	s_abs_i32 s2, s41
	s_abs_i32 s6, s39
	s_cvt_f32_u32 s3, s2
	s_sub_co_i32 s5, 0, s2
	s_lshl_b32 s4, s4, 3
	s_delay_alu instid0(SALU_CYCLE_1) | instskip(SKIP_1) | instid1(TRANS32_DEP_1)
	v_rcp_iflag_f32_e32 v1, s3
	v_nop
	v_readfirstlane_b32 s3, v1
	s_mul_f32 s3, s3, 0x4f7ffffe
	s_delay_alu instid0(SALU_CYCLE_3) | instskip(NEXT) | instid1(SALU_CYCLE_3)
	s_cvt_u32_f32 s3, s3
	s_mul_i32 s5, s5, s3
	s_delay_alu instid0(SALU_CYCLE_1) | instskip(NEXT) | instid1(SALU_CYCLE_1)
	s_mul_hi_u32 s5, s3, s5
	s_add_co_i32 s3, s3, s5
	s_xor_b32 s5, s39, s41
	s_mul_hi_u32 s3, s6, s3
	s_ashr_i32 s5, s5, 31
	s_mul_i32 s7, s3, s2
	s_delay_alu instid0(SALU_CYCLE_1)
	s_sub_co_i32 s6, s6, s7
	s_add_co_i32 s7, s3, 1
	s_sub_co_i32 s8, s6, s2
	s_cmp_ge_u32 s6, s2
	s_cselect_b32 s3, s7, s3
	s_cselect_b32 s6, s8, s6
	s_add_co_i32 s7, s3, 1
	s_cmp_ge_u32 s6, s2
	s_cselect_b32 s2, s7, s3
	s_delay_alu instid0(SALU_CYCLE_1) | instskip(SKIP_2) | instid1(SALU_CYCLE_1)
	s_xor_b32 s6, s2, s5
	s_load_b64 s[2:3], s[0:1], 0xb8
	s_sub_co_i32 s11, s6, s5
	s_abs_i32 s10, s11
	s_cmp_eq_u64 s[22:23], 0
	s_cvt_f32_u32 s5, s10
	s_delay_alu instid0(SALU_CYCLE_3) | instskip(SKIP_2) | instid1(TRANS32_DEP_1)
	v_rcp_iflag_f32_e32 v1, s5
	s_mul_i32 s5, s34, s39
	v_nop
	v_readfirstlane_b32 s8, v1
	s_cbranch_scc1 .LBB0_2
; %bb.1:
	s_wait_kmcnt 0x0
	s_abs_i32 s2, s2
	s_abs_i32 s13, s34
	s_cvt_f32_u32 s6, s2
	s_sub_co_i32 s7, 0, s2
	s_delay_alu instid0(SALU_CYCLE_2) | instskip(SKIP_1) | instid1(TRANS32_DEP_1)
	v_rcp_iflag_f32_e32 v1, s6
	v_nop
	v_readfirstlane_b32 s6, v1
	s_mul_f32 s6, s6, 0x4f7ffffe
	s_delay_alu instid0(SALU_CYCLE_3) | instskip(NEXT) | instid1(SALU_CYCLE_3)
	s_cvt_u32_f32 s6, s6
	s_mul_i32 s7, s7, s6
	s_delay_alu instid0(SALU_CYCLE_1) | instskip(NEXT) | instid1(SALU_CYCLE_1)
	s_mul_hi_u32 s7, s6, s7
	s_add_co_i32 s6, s6, s7
	s_delay_alu instid0(SALU_CYCLE_1) | instskip(SKIP_2) | instid1(SALU_CYCLE_1)
	s_mul_hi_u32 s14, s13, s6
	s_load_b64 s[6:7], s[0:1], 0xc8
	s_mul_i32 s14, s14, s2
	s_sub_co_i32 s13, s13, s14
	s_ashr_i32 s14, s34, 31
	s_sub_co_i32 s15, s13, s2
	s_cmp_ge_u32 s13, s2
	s_cselect_b32 s13, s15, s13
	s_delay_alu instid0(SALU_CYCLE_1) | instskip(SKIP_2) | instid1(SALU_CYCLE_1)
	s_sub_co_i32 s15, s13, s2
	s_cmp_ge_u32 s13, s2
	s_cselect_b32 s2, s15, s13
	s_xor_b32 s2, s2, s14
	s_delay_alu instid0(SALU_CYCLE_1) | instskip(NEXT) | instid1(SALU_CYCLE_1)
	s_sub_co_i32 s14, s2, s14
	s_ashr_i32 s15, s14, 31
	s_wait_kmcnt 0x0
	s_mul_u64 s[6:7], s[6:7], s[14:15]
	s_delay_alu instid0(SALU_CYCLE_1)
	s_add_nc_u64 s[42:43], s[22:23], s[6:7]
.LBB0_2:
	s_wait_kmcnt 0x0
	s_bfe_u32 s2, ttmp6, 0x4000c
	s_sub_co_i32 s22, s4, s5
	s_add_co_i32 s2, s2, 1
	s_and_b32 s4, ttmp6, 15
	s_mul_i32 s2, ttmp9, s2
	v_bfe_u32 v2, v0, 10, 10
	s_add_co_i32 s4, s4, s2
	s_cmp_eq_u32 s12, 0
	v_and_b32_e32 v136, 0x3ff, v0
	s_cselect_b32 s13, ttmp9, s4
	s_delay_alu instid0(SALU_CYCLE_1) | instskip(NEXT) | instid1(VALU_DEP_2)
	v_lshl_add_u32 v137, s13, 3, v2
	v_cmp_gt_u32_e64 s2, 24, v136
	v_dual_lshlrev_b32 v121, 2, v136 :: v_dual_lshlrev_b32 v138, 3, v136
	s_delay_alu instid0(VALU_DEP_3) | instskip(NEXT) | instid1(VALU_DEP_1)
	v_mul_hi_u32 v1, s36, v137
	v_add_nc_u32_e32 v1, v137, v1
	s_delay_alu instid0(VALU_DEP_1) | instskip(NEXT) | instid1(VALU_DEP_1)
	v_lshrrev_b32_e32 v1, s37, v1
	v_mul_lo_u32 v1, v1, s38
	s_delay_alu instid0(VALU_DEP_1)
	v_sub_nc_u32_e32 v0, v137, v1
	s_and_saveexec_b32 s14, s2
	s_cbranch_execz .LBB0_4
; %bb.3:
	s_load_b96 s[4:6], s[0:1], 0x70
	v_dual_mov_b32 v1, 0 :: v_dual_lshlrev_b32 v6, 2, v121
	s_delay_alu instid0(VALU_DEP_1)
	v_mov_b32_e32 v7, v1
	s_wait_kmcnt 0x0
	s_ashr_i32 s37, s4, 31
	s_mov_b32 s36, s4
	s_mul_i32 s6, s34, s6
	s_lshr_b64 s[36:37], s[36:37], 2
	s_ashr_i32 s7, s6, 31
	v_mul_u64_e32 v[4:5], s[36:37], v[0:1]
	s_mul_i32 s36, s22, s5
	s_add_nc_u64 s[6:7], s[16:17], s[6:7]
	s_ashr_i32 s37, s36, 31
	s_delay_alu instid0(SALU_CYCLE_1)
	s_add_nc_u64 s[6:7], s[6:7], s[36:37]
	s_delay_alu instid0(VALU_DEP_1) | instid1(SALU_CYCLE_1)
	v_lshl_add_u64 v[4:5], v[4:5], 2, s[6:7]
	s_ashr_i32 s7, s5, 31
	s_mov_b32 s6, s5
	s_delay_alu instid0(SALU_CYCLE_1) | instskip(NEXT) | instid1(VALU_DEP_1)
	s_and_b64 s[36:37], s[6:7], -4
	v_add_nc_u64_e32 v[20:21], v[4:5], v[6:7]
	s_lshr_b64 s[4:5], s[6:7], 2
	s_and_b64 s[16:17], s[6:7], 0x3ffffffffffffffc
	s_delay_alu instid0(VALU_DEP_1)
	v_add_nc_u64_e32 v[24:25], s[36:37], v[20:21]
	v_lshl_add_u64 v[8:9], s[4:5], 3, v[20:21]
	v_lshl_add_u64 v[22:23], s[16:17], 2, v[20:21]
	global_load_b128 v[4:7], v[20:21], off
	v_mad_nc_u64_u32 v[36:37], s4, 20, v[20:21]
	v_mad_nc_u64_u32 v[38:39], s4, 24, v[20:21]
	s_clause 0x2
	global_load_b128 v[8:11], v[8:9], off
	global_load_b128 v[12:15], v[22:23], off
	;; [unrolled: 1-line block ×3, first 2 shown]
	s_wait_xcnt 0x1
	v_mad_nc_u64_u32 v[22:23], s4, 12, v[20:21]
	v_mad_nc_u64_u32 v[40:41], s4, 28, v[20:21]
	s_lshr_b32 s5, s7, 2
	s_load_b32 s4, s[0:1], 0x40
	v_mad_u32 v37, s5, 20, v37
	v_mad_u32 v39, s5, 24, v39
	s_delay_alu instid0(VALU_DEP_4) | instskip(NEXT) | instid1(VALU_DEP_4)
	v_mad_u32 v23, s5, 12, v23
	v_mad_u32 v41, s5, 28, v41
	s_clause 0x3
	global_load_b128 v[20:23], v[22:23], off
	global_load_b128 v[24:27], v[36:37], off
	global_load_b128 v[28:31], v[38:39], off
	global_load_b128 v[32:35], v[40:41], off
	s_wait_xcnt 0x2
	v_mad_u32_u24 v36, 0x600, v2, v138
	s_wait_loadcnt 0x7
	s_wait_kmcnt 0x0
	v_fma_mixlo_f16 v1, s4, v5, 0
	v_fma_mixlo_f16 v3, s4, v4, 0
	;; [unrolled: 1-line block ×4, first 2 shown]
	s_wait_loadcnt 0x6
	v_fma_mixlo_f16 v6, s4, v8, 0
	v_lshlrev_b32_e32 v1, 16, v1
	v_and_b32_e32 v3, 0xffff, v3
	v_fma_mixlo_f16 v7, s4, v9, 0
	v_fma_mixlo_f16 v8, s4, v10, 0
	;; [unrolled: 1-line block ×3, first 2 shown]
	s_wait_loadcnt 0x5
	v_fma_mixlo_f16 v10, s4, v12, 0
	v_fma_mixlo_f16 v11, s4, v13, 0
	;; [unrolled: 1-line block ×4, first 2 shown]
	s_wait_loadcnt 0x4
	v_fma_mixlo_f16 v14, s4, v16, 0
	v_fma_mixlo_f16 v15, s4, v17, 0
	;; [unrolled: 1-line block ×4, first 2 shown]
	v_dual_lshlrev_b32 v4, 16, v4 :: v_dual_bitop2_b32 v1, v1, v3 bitop3:0x54
	v_and_b32_e32 v5, 0xffff, v5
	v_dual_lshlrev_b32 v3, 16, v7 :: v_dual_lshlrev_b32 v7, 16, v9
	v_and_b32_e32 v6, 0xffff, v6
	v_dual_lshlrev_b32 v9, 16, v11 :: v_dual_lshlrev_b32 v11, 16, v13
	v_and_b32_e32 v10, 0xffff, v10
	v_and_b32_e32 v12, 0xffff, v12
	v_dual_lshlrev_b32 v13, 16, v15 :: v_dual_lshlrev_b32 v15, 16, v17
	v_and_b32_e32 v14, 0xffff, v14
	v_and_b32_e32 v16, 0xffff, v16
	v_or3_b32 v5, v4, v5, 0
	v_and_b32_e32 v8, 0xffff, v8
	v_or3_b32 v4, 0, 0, v1
	v_or_b32_e32 v1, v3, v6
	v_or_b32_e32 v3, v9, v10
	v_or3_b32 v9, v11, v12, 0
	v_or3_b32 v11, v15, v16, 0
	s_wait_loadcnt 0x2
	v_fma_mixlo_f16 v15, s4, v25, 0
	v_or_b32_e32 v10, v13, v14
	v_fma_mixlo_f16 v13, s4, v23, 0
	v_or3_b32 v7, v7, v8, 0
	v_fma_mixlo_f16 v14, s4, v24, 0
	v_fma_mixlo_f16 v12, s4, v22, 0
	;; [unrolled: 1-line block ×3, first 2 shown]
	v_lshlrev_b32_e32 v13, 16, v13
	v_or3_b32 v8, 0, 0, v3
	v_fma_mixlo_f16 v3, s4, v21, 0
	v_fma_mixlo_f16 v17, s4, v27, 0
	s_wait_loadcnt 0x1
	v_fma_mixlo_f16 v18, s4, v28, 0
	v_fma_mixlo_f16 v19, s4, v29, 0
	;; [unrolled: 1-line block ×3, first 2 shown]
	v_lshlrev_b32_e32 v3, 16, v3
	v_or3_b32 v6, 0, 0, v1
	v_fma_mixlo_f16 v1, s4, v20, 0
	s_wait_loadcnt 0x0
	v_fma_mixlo_f16 v22, s4, v32, 0
	v_fma_mixlo_f16 v23, s4, v33, 0
	;; [unrolled: 1-line block ×3, first 2 shown]
	v_lshlrev_b32_e32 v15, 16, v15
	v_and_b32_e32 v1, 0xffff, v1
	v_and_b32_e32 v14, 0xffff, v14
	v_fma_mixlo_f16 v20, s4, v30, 0
	v_fma_mixlo_f16 v24, s4, v34, 0
	v_dual_lshlrev_b32 v17, 16, v17 :: v_dual_lshlrev_b32 v19, 16, v19
	v_and_b32_e32 v16, 0xffff, v16
	v_and_b32_e32 v18, 0xffff, v18
	v_dual_lshlrev_b32 v21, 16, v21 :: v_dual_lshlrev_b32 v23, 16, v23
	v_and_b32_e32 v22, 0xffff, v22
	v_and_b32_e32 v12, 0xffff, v12
	v_or_b32_e32 v1, v3, v1
	v_dual_lshlrev_b32 v25, 16, v25 :: v_dual_bitop2_b32 v3, v15, v14 bitop3:0x54
	v_and_b32_e32 v20, 0xffff, v20
	v_and_b32_e32 v24, 0xffff, v24
	v_or3_b32 v15, v17, v16, 0
	v_or_b32_e32 v16, v19, v18
	v_or_b32_e32 v18, v23, v22
	v_or3_b32 v10, 0, 0, v10
	v_or3_b32 v13, v13, v12, 0
	;; [unrolled: 1-line block ×8, first 2 shown]
	ds_store_2addr_b64 v36, v[4:5], v[10:11] offset1:24
	ds_store_2addr_b64 v36, v[6:7], v[12:13] offset0:48 offset1:72
	ds_store_2addr_b64 v36, v[8:9], v[14:15] offset0:96 offset1:120
	;; [unrolled: 1-line block ×3, first 2 shown]
.LBB0_4:
	s_or_b32 exec_lo, exec_lo, s14
	s_cmp_eq_u64 s[26:27], 0
	s_wait_dscnt 0x0
	s_barrier_signal -1
	s_barrier_wait -1
	s_cbranch_scc1 .LBB0_6
; %bb.5:
	s_load_b32 s4, s[0:1], 0xd0
	s_wait_kmcnt 0x0
	s_mul_i32 s4, s4, s34
	s_delay_alu instid0(SALU_CYCLE_1)
	s_add_co_i32 s4, s4, s13
	s_load_b32 s40, s[26:27], s4 offset:0x0 scale_offset
.LBB0_6:
	s_wait_xcnt 0x0
	s_bfe_u32 s4, ttmp6, 0x40010
	s_and_b32 s5, ttmp7, 0xffff
	s_add_co_i32 s4, s4, 1
	s_bfe_u32 s6, ttmp6, 0x40004
	s_mul_i32 s4, s5, s4
	v_mbcnt_lo_u32_b32 v140, -1, 0
	s_add_co_i32 s6, s6, s4
	s_cmp_eq_u32 s12, 0
	s_mov_b32 s4, 0
	s_cselect_b32 s33, s5, s6
	s_delay_alu instid0(SALU_CYCLE_1)
	s_lshl_b32 s26, s33, 5
	s_wait_kmcnt 0x0
	s_cmp_lt_i32 s26, s40
	s_cbranch_scc1 .LBB0_9
; %bb.7:
	v_mbcnt_lo_u32_b32 v8, -1, 0
	s_delay_alu instid0(VALU_DEP_1)
	v_dual_mov_b32 v139, 32 :: v_dual_bitop2_b32 v166, 16, v8 bitop3:0x14
	v_xor_b32_e32 v167, 8, v8
	v_xor_b32_e32 v168, 4, v8
	;; [unrolled: 1-line block ×4, first 2 shown]
	s_and_not1_b32 vcc_lo, exec_lo, s4
	s_cbranch_vccz .LBB0_10
; %bb.8:
	v_dual_mov_b32 v164, 0 :: v_dual_mov_b32 v105, 0
	v_dual_mov_b32 v7, 0xfeffffff :: v_dual_mov_b32 v6, 0xfeffffff
	;; [unrolled: 1-line block ×16, first 2 shown]
	s_branch .LBB0_30
.LBB0_9:
                                        ; implicit-def: $vgpr8
                                        ; implicit-def: $vgpr139
                                        ; implicit-def: $vgpr166
                                        ; implicit-def: $vgpr167
                                        ; implicit-def: $vgpr168
                                        ; implicit-def: $vgpr169
                                        ; implicit-def: $vgpr170
.LBB0_10:
	s_clause 0x1
	s_load_b64 s[12:13], s[0:1], 0x8c
	s_load_b128 s[4:7], s[0:1], 0x98
	s_mul_f32 s8, s8, 0x4f7ffffe
	v_dual_lshrrev_b32 v1, 1, v136 :: v_dual_lshrrev_b32 v3, 2, v136
	s_sub_co_i32 s14, 0, s10
	s_delay_alu instid0(SALU_CYCLE_1) | instskip(SKIP_1) | instid1(VALU_DEP_2)
	s_cvt_u32_f32 s23, s8
	v_and_b32_e32 v6, 12, v121
	v_lshl_add_u32 v1, v2, 4, v1
	v_and_b32_e32 v4, 4, v121
	s_mul_i32 s14, s14, s23
	s_abs_i32 s8, s22
	s_mul_hi_u32 s14, s23, s14
	s_mov_b32 s15, s9
	s_add_co_i32 s14, s23, s14
	v_cmp_gt_u32_e32 vcc_lo, 32, v1
	v_dual_lshlrev_b32 v8, 2, v6 :: v_dual_lshlrev_b32 v5, 2, v4
	s_mul_u64 s[14:15], s[8:9], s[14:15]
	s_ashr_i32 s23, s3, 1
	s_wait_kmcnt 0x0
	s_ashr_i32 s44, s12, 2
	s_mul_i32 s3, s15, s10
	v_mul_lo_u32 v112, s44, v1
	v_mul_u32_u24_e32 v1, 0x70, v1
	s_load_b64 s[16:17], s[0:1], 0xa8
	s_ashr_i32 s27, s22, 31
	s_ashr_i32 s11, s11, 31
	s_sub_co_i32 s3, s8, s3
	v_add3_u32 v143, v1, v5, 0x4040
	v_dual_lshrrev_b32 v1, 3, v136 :: v_dual_mov_b32 v117, 0
	s_ashr_i32 s35, s34, 31
	s_xor_b32 s11, s27, s11
	s_ashr_i32 s36, s6, 2
	s_add_co_i32 s6, s15, 1
	s_sub_co_i32 s8, s3, s10
	s_cmp_ge_u32 s3, s10
	v_lshl_add_u32 v3, v2, 3, v3
	v_lshl_add_u32 v1, v2, 2, v1
	s_cselect_b32 s6, s6, s15
	s_cselect_b32 s3, s8, s3
	s_add_co_i32 s8, s6, 1
	s_cmp_ge_u32 s3, s10
	v_mul_lo_u32 v114, s44, v3
	v_mul_lo_u32 v118, s36, v3
	;; [unrolled: 1-line block ×3, first 2 shown]
	s_cselect_b32 s3, s8, s6
	v_mul_u32_u24_e32 v7, 0x70, v3
	v_mad_u32 v145, v0, s23, v136
	v_mul_u32_u24_e32 v0, 0xc0, v3
	v_dual_lshlrev_b32 v5, 4, v136 :: v_dual_bitop2_b32 v120, 28, v121 bitop3:0x40
	s_xor_b32 s3, s3, s11
	v_mul_u32_u24_e32 v142, 0x600, v2
	s_sub_co_i32 s3, s3, s11
	v_add3_u32 v144, v7, v8, 0x4000
	v_lshl_add_u32 v146, v2, 9, 0x3000
	v_dual_ashrrev_i32 v119, 31, v118 :: v_dual_bitop2_b32 v0, v0, v8 bitop3:0x54
	v_mul_u32_u24_e32 v2, 0xc0, v1
	v_dual_lshlrev_b32 v7, 2, v120 :: v_dual_ashrrev_i32 v123, 31, v122
	s_mul_u64 s[4:5], s[4:5], s[34:35]
	s_mul_i32 s10, s3, s13
	s_add_nc_u64 s[4:5], s[18:19], s[4:5]
	s_ashr_i32 s11, s10, 31
	s_wait_kmcnt 0x0
	s_mul_u64 s[8:9], s[16:17], s[34:35]
	s_mul_i32 s6, s3, s7
	s_add_nc_u64 s[46:47], s[4:5], s[10:11]
	v_cmp_gt_u32_e64 s3, 32, v3
	v_mul_u32_u24_e32 v141, 0x70, v136
	v_dual_ashrrev_i32 v113, 31, v112 :: v_dual_ashrrev_i32 v115, 31, v114
	v_cmp_gt_u32_e64 s4, 16, v3
	v_cmp_gt_u32_e64 s5, 16, v1
	v_dual_mov_b32 v148, v117 :: v_dual_add_nc_u32 v147, 0x4080, v0
	v_add3_u32 v149, v2, v7, 0x4000
	v_dual_mov_b32 v8, 0xfeffffff :: v_dual_mov_b32 v139, 32
	v_dual_add_nc_u32 v151, v146, v5 :: v_dual_lshlrev_b32 v116, 2, v4
	v_dual_lshlrev_b32 v124, 2, v6 :: v_dual_mov_b32 v150, v117
	v_dual_mov_b32 v153, v117 :: v_dual_mov_b32 v152, v117
	v_dual_mov_b32 v155, v117 :: v_dual_mov_b32 v154, v117
	;; [unrolled: 1-line block ×14, first 2 shown]
	v_mov_b32_e32 v105, v117
	s_add_nc_u64 s[8:9], s[20:21], s[8:9]
	s_ashr_i32 s7, s6, 31
	s_ashr_i32 s45, s44, 31
	s_add_nc_u64 s[48:49], s[8:9], s[6:7]
	s_ashr_i32 s37, s36, 31
	s_add_nc_u64 s[50:51], s[0:1], 0xd0
.LBB0_11:                               ; =>This Inner Loop Header: Depth=1
	s_ashr_i32 s27, s26, 31
	s_delay_alu instid0(SALU_CYCLE_1) | instskip(NEXT) | instid1(SALU_CYCLE_1)
	s_mul_u64 s[6:7], s[26:27], s[44:45]
	s_lshl_b64 s[6:7], s[6:7], 2
	s_delay_alu instid0(SALU_CYCLE_1) | instskip(NEXT) | instid1(SALU_CYCLE_1)
	s_add_nc_u64 s[6:7], s[46:47], s[6:7]
	v_lshl_add_u64 v[0:1], v[112:113], 2, s[6:7]
	s_and_saveexec_b32 s8, vcc_lo
	s_cbranch_execz .LBB0_13
; %bb.12:                               ;   in Loop: Header=BB0_11 Depth=1
	s_delay_alu instid0(VALU_DEP_1)
	v_add_nc_u64_e32 v[2:3], v[0:1], v[116:117]
	global_load_b128 v[2:5], v[2:3], off offset:64
	s_wait_loadcnt 0x0
	ds_store_b128 v143, v[2:5]
.LBB0_13:                               ;   in Loop: Header=BB0_11 Depth=1
	s_or_b32 exec_lo, exec_lo, s8
	v_lshl_add_u64 v[2:3], v[114:115], 2, s[6:7]
	s_and_saveexec_b32 s6, s3
	s_cbranch_execz .LBB0_15
; %bb.14:                               ;   in Loop: Header=BB0_11 Depth=1
	v_mov_b32_e32 v125, v117
	s_delay_alu instid0(VALU_DEP_1)
	v_add_nc_u64_e32 v[4:5], v[2:3], v[124:125]
	global_load_b128 v[4:7], v[4:5], off
	s_wait_loadcnt 0x0
	ds_store_b128 v144, v[4:7]
.LBB0_15:                               ;   in Loop: Header=BB0_11 Depth=1
	s_or_b32 exec_lo, exec_lo, s6
	s_wait_dscnt 0x0
	s_barrier_signal -1
	s_barrier_wait -1
	ds_load_b128 v[18:21], v141 offset:16384
	ds_load_b128 v[14:17], v142
	ds_load_b128 v[22:25], v142 offset:192
	ds_load_b128 v[26:29], v142 offset:384
	;; [unrolled: 1-line block ×6, first 2 shown]
	v_dual_mov_b32 v4, 0 :: v_dual_mov_b32 v5, 0
	ds_load_b128 v[46:49], v142 offset:1344
	v_dual_mov_b32 v6, 0 :: v_dual_mov_b32 v7, 0
	s_wait_dscnt 0x7
	;;#ASMSTART
	v_dot2_f32_f16 v4, v18, v14, v4
	;;#ASMEND
	;;#ASMSTART
	v_dot2_f32_f16 v4, v19, v15, v4
	;;#ASMEND
	;;#ASMSTART
	v_dot2_f32_f16 v4, v20, v16, v4
	;;#ASMEND
	;;#ASMSTART
	v_dot2_f32_f16 v4, v21, v17, v4
	;;#ASMEND
	s_wait_dscnt 0x6
	;;#ASMSTART
	v_dot2_f32_f16 v5, v18, v22, v5
	;;#ASMEND
	;;#ASMSTART
	v_dot2_f32_f16 v5, v19, v23, v5
	;;#ASMEND
	;;#ASMSTART
	v_dot2_f32_f16 v5, v20, v24, v5
	;;#ASMEND
	;;#ASMSTART
	v_dot2_f32_f16 v5, v21, v25, v5
	;;#ASMEND
	;; [unrolled: 13-line block ×3, first 2 shown]
	s_wait_dscnt 0x4
	;;#ASMSTART
	v_dot2_f32_f16 v7, v18, v30, v7
	;;#ASMEND
	;;#ASMSTART
	v_dot2_f32_f16 v7, v19, v31, v7
	;;#ASMEND
	v_dual_mov_b32 v14, 0 :: v_dual_mov_b32 v15, 0
	;;#ASMSTART
	v_dot2_f32_f16 v7, v20, v32, v7
	;;#ASMEND
	;;#ASMSTART
	v_dot2_f32_f16 v7, v21, v33, v7
	;;#ASMEND
	s_wait_dscnt 0x3
	;;#ASMSTART
	v_dot2_f32_f16 v14, v18, v34, v14
	;;#ASMEND
	;;#ASMSTART
	v_dot2_f32_f16 v14, v19, v35, v14
	;;#ASMEND
	;; [unrolled: 3-line block ×4, first 2 shown]
	s_wait_dscnt 0x2
	;;#ASMSTART
	v_dot2_f32_f16 v15, v18, v38, v15
	;;#ASMEND
	;;#ASMSTART
	v_dot2_f32_f16 v15, v19, v39, v15
	;;#ASMEND
	v_dual_mov_b32 v16, 0 :: v_dual_mov_b32 v17, 0
	;;#ASMSTART
	v_dot2_f32_f16 v15, v20, v40, v15
	;;#ASMEND
	;;#ASMSTART
	v_dot2_f32_f16 v15, v21, v41, v15
	;;#ASMEND
	s_wait_dscnt 0x1
	;;#ASMSTART
	v_dot2_f32_f16 v16, v18, v42, v16
	;;#ASMEND
	;;#ASMSTART
	v_dot2_f32_f16 v16, v19, v43, v16
	;;#ASMEND
	;; [unrolled: 3-line block ×4, first 2 shown]
	s_wait_dscnt 0x0
	;;#ASMSTART
	v_dot2_f32_f16 v17, v18, v46, v17
	;;#ASMEND
	;;#ASMSTART
	v_dot2_f32_f16 v17, v19, v47, v17
	;;#ASMEND
	;;#ASMSTART
	v_dot2_f32_f16 v17, v20, v48, v17
	;;#ASMEND
	;;#ASMSTART
	v_dot2_f32_f16 v17, v21, v49, v17
	;;#ASMEND
	ds_load_b128 v[18:21], v141 offset:16400
	ds_load_b128 v[22:25], v142 offset:16
	;; [unrolled: 1-line block ×9, first 2 shown]
	s_wait_dscnt 0x7
	;;#ASMSTART
	v_dot2_f32_f16 v4, v18, v22, v4
	;;#ASMEND
	;;#ASMSTART
	v_dot2_f32_f16 v4, v19, v23, v4
	;;#ASMEND
	;;#ASMSTART
	v_dot2_f32_f16 v4, v20, v24, v4
	;;#ASMEND
	;;#ASMSTART
	v_dot2_f32_f16 v4, v21, v25, v4
	;;#ASMEND
	s_wait_dscnt 0x6
	;;#ASMSTART
	v_dot2_f32_f16 v5, v18, v26, v5
	;;#ASMEND
	;;#ASMSTART
	v_dot2_f32_f16 v5, v19, v27, v5
	;;#ASMEND
	;;#ASMSTART
	v_dot2_f32_f16 v5, v20, v28, v5
	;;#ASMEND
	;;#ASMSTART
	v_dot2_f32_f16 v5, v21, v29, v5
	;;#ASMEND
	s_wait_dscnt 0x5
	;;#ASMSTART
	v_dot2_f32_f16 v6, v18, v30, v6
	;;#ASMEND
	;;#ASMSTART
	v_dot2_f32_f16 v6, v19, v31, v6
	;;#ASMEND
	;;#ASMSTART
	v_dot2_f32_f16 v6, v20, v32, v6
	;;#ASMEND
	;;#ASMSTART
	v_dot2_f32_f16 v6, v21, v33, v6
	;;#ASMEND
	s_wait_dscnt 0x4
	;;#ASMSTART
	v_dot2_f32_f16 v7, v18, v34, v7
	;;#ASMEND
	;;#ASMSTART
	v_dot2_f32_f16 v7, v19, v35, v7
	;;#ASMEND
	;;#ASMSTART
	v_dot2_f32_f16 v7, v20, v36, v7
	;;#ASMEND
	;;#ASMSTART
	v_dot2_f32_f16 v7, v21, v37, v7
	;;#ASMEND
	s_wait_dscnt 0x3
	;;#ASMSTART
	v_dot2_f32_f16 v14, v18, v38, v14
	;;#ASMEND
	;;#ASMSTART
	v_dot2_f32_f16 v14, v19, v39, v14
	;;#ASMEND
	;;#ASMSTART
	v_dot2_f32_f16 v14, v20, v40, v14
	;;#ASMEND
	;;#ASMSTART
	v_dot2_f32_f16 v14, v21, v41, v14
	;;#ASMEND
	s_wait_dscnt 0x2
	;;#ASMSTART
	v_dot2_f32_f16 v15, v18, v42, v15
	;;#ASMEND
	;;#ASMSTART
	v_dot2_f32_f16 v15, v19, v43, v15
	;;#ASMEND
	;;#ASMSTART
	v_dot2_f32_f16 v15, v20, v44, v15
	;;#ASMEND
	;;#ASMSTART
	v_dot2_f32_f16 v15, v21, v45, v15
	;;#ASMEND
	s_wait_dscnt 0x1
	;;#ASMSTART
	v_dot2_f32_f16 v16, v18, v46, v16
	;;#ASMEND
	;;#ASMSTART
	v_dot2_f32_f16 v16, v19, v47, v16
	;;#ASMEND
	;;#ASMSTART
	v_dot2_f32_f16 v16, v20, v48, v16
	;;#ASMEND
	;;#ASMSTART
	v_dot2_f32_f16 v16, v21, v49, v16
	;;#ASMEND
	s_wait_dscnt 0x0
	;;#ASMSTART
	v_dot2_f32_f16 v17, v18, v50, v17
	;;#ASMEND
	;;#ASMSTART
	v_dot2_f32_f16 v17, v19, v51, v17
	;;#ASMEND
	;;#ASMSTART
	v_dot2_f32_f16 v17, v20, v52, v17
	;;#ASMEND
	;;#ASMSTART
	v_dot2_f32_f16 v17, v21, v53, v17
	;;#ASMEND
	ds_load_b128 v[18:21], v141 offset:16416
	ds_load_b128 v[22:25], v142 offset:32
	;; [unrolled: 1-line block ×9, first 2 shown]
	s_wait_dscnt 0x7
	;;#ASMSTART
	v_dot2_f32_f16 v4, v18, v22, v4
	;;#ASMEND
	;;#ASMSTART
	v_dot2_f32_f16 v4, v19, v23, v4
	;;#ASMEND
	;;#ASMSTART
	v_dot2_f32_f16 v4, v20, v24, v4
	;;#ASMEND
	;;#ASMSTART
	v_dot2_f32_f16 v4, v21, v25, v4
	;;#ASMEND
	s_wait_dscnt 0x6
	;;#ASMSTART
	v_dot2_f32_f16 v5, v18, v26, v5
	;;#ASMEND
	;;#ASMSTART
	v_dot2_f32_f16 v5, v19, v27, v5
	;;#ASMEND
	;;#ASMSTART
	v_dot2_f32_f16 v5, v20, v28, v5
	;;#ASMEND
	;;#ASMSTART
	v_dot2_f32_f16 v5, v21, v29, v5
	;;#ASMEND
	;; [unrolled: 13-line block ×8, first 2 shown]
	ds_load_b128 v[18:21], v141 offset:16432
	ds_load_b128 v[22:25], v142 offset:48
	;; [unrolled: 1-line block ×9, first 2 shown]
	s_wait_dscnt 0x7
	;;#ASMSTART
	v_dot2_f32_f16 v4, v18, v22, v4
	;;#ASMEND
	;;#ASMSTART
	v_dot2_f32_f16 v4, v19, v23, v4
	;;#ASMEND
	;;#ASMSTART
	v_dot2_f32_f16 v4, v20, v24, v4
	;;#ASMEND
	;;#ASMSTART
	v_dot2_f32_f16 v4, v21, v25, v4
	;;#ASMEND
	s_wait_dscnt 0x6
	;;#ASMSTART
	v_dot2_f32_f16 v5, v18, v26, v5
	;;#ASMEND
	;;#ASMSTART
	v_dot2_f32_f16 v5, v19, v27, v5
	;;#ASMEND
	;;#ASMSTART
	v_dot2_f32_f16 v5, v20, v28, v5
	;;#ASMEND
	;;#ASMSTART
	v_dot2_f32_f16 v5, v21, v29, v5
	;;#ASMEND
	;; [unrolled: 13-line block ×8, first 2 shown]
	ds_load_b128 v[18:21], v141 offset:16448
	ds_load_b128 v[22:25], v142 offset:64
	;; [unrolled: 1-line block ×9, first 2 shown]
	s_wait_dscnt 0x7
	;;#ASMSTART
	v_dot2_f32_f16 v4, v18, v22, v4
	;;#ASMEND
	;;#ASMSTART
	v_dot2_f32_f16 v4, v19, v23, v4
	;;#ASMEND
	;;#ASMSTART
	v_dot2_f32_f16 v4, v20, v24, v4
	;;#ASMEND
	;;#ASMSTART
	v_dot2_f32_f16 v4, v21, v25, v4
	;;#ASMEND
	s_wait_dscnt 0x6
	;;#ASMSTART
	v_dot2_f32_f16 v5, v18, v26, v5
	;;#ASMEND
	;;#ASMSTART
	v_dot2_f32_f16 v5, v19, v27, v5
	;;#ASMEND
	;;#ASMSTART
	v_dot2_f32_f16 v5, v20, v28, v5
	;;#ASMEND
	;;#ASMSTART
	v_dot2_f32_f16 v5, v21, v29, v5
	;;#ASMEND
	;; [unrolled: 13-line block ×8, first 2 shown]
	ds_load_b128 v[18:21], v141 offset:16464
	ds_load_b128 v[22:25], v142 offset:80
	;; [unrolled: 1-line block ×9, first 2 shown]
	s_wait_dscnt 0x7
	;;#ASMSTART
	v_dot2_f32_f16 v4, v18, v22, v4
	;;#ASMEND
	;;#ASMSTART
	v_dot2_f32_f16 v4, v19, v23, v4
	;;#ASMEND
	;;#ASMSTART
	v_dot2_f32_f16 v4, v20, v24, v4
	;;#ASMEND
	;;#ASMSTART
	v_dot2_f32_f16 v4, v21, v25, v4
	;;#ASMEND
	s_wait_dscnt 0x6
	;;#ASMSTART
	v_dot2_f32_f16 v5, v18, v26, v5
	;;#ASMEND
	;;#ASMSTART
	v_dot2_f32_f16 v5, v19, v27, v5
	;;#ASMEND
	;;#ASMSTART
	v_dot2_f32_f16 v5, v20, v28, v5
	;;#ASMEND
	;;#ASMSTART
	v_dot2_f32_f16 v5, v21, v29, v5
	;;#ASMEND
	;; [unrolled: 13-line block ×8, first 2 shown]
	s_barrier_signal -1
	s_barrier_wait -1
	s_and_saveexec_b32 s6, vcc_lo
	s_cbranch_execz .LBB0_17
; %bb.16:                               ;   in Loop: Header=BB0_11 Depth=1
	v_add_nc_u64_e32 v[0:1], v[0:1], v[116:117]
	global_load_b128 v[18:21], v[0:1], off offset:160
	s_wait_loadcnt 0x0
	ds_store_b128 v143, v[18:21]
.LBB0_17:                               ;   in Loop: Header=BB0_11 Depth=1
	s_or_b32 exec_lo, exec_lo, s6
	s_and_saveexec_b32 s6, s3
	s_cbranch_execz .LBB0_19
; %bb.18:                               ;   in Loop: Header=BB0_11 Depth=1
	v_mov_b32_e32 v125, v117
	s_delay_alu instid0(VALU_DEP_1)
	v_add_nc_u64_e32 v[0:1], v[2:3], v[124:125]
	global_load_b128 v[0:3], v[0:1], off offset:96
	s_wait_loadcnt 0x0
	ds_store_b128 v144, v[0:3]
.LBB0_19:                               ;   in Loop: Header=BB0_11 Depth=1
	s_or_b32 exec_lo, exec_lo, s6
	s_wait_dscnt 0x0
	s_barrier_signal -1
	s_barrier_wait -1
	ds_load_b128 v[0:3], v141 offset:16384
	ds_load_b128 v[18:21], v142 offset:96
	;; [unrolled: 1-line block ×9, first 2 shown]
	v_dual_add_nc_u32 v50, s26, v145 :: v_dual_bitop2_b32 v166, 16, v140 bitop3:0x14
	v_xor_b32_e32 v167, 8, v140
	v_xor_b32_e32 v169, 2, v140
	s_wait_dscnt 0x7
	;;#ASMSTART
	v_dot2_f32_f16 v4, v0, v18, v4
	;;#ASMEND
	;;#ASMSTART
	v_dot2_f32_f16 v4, v1, v19, v4
	;;#ASMEND
	;;#ASMSTART
	v_dot2_f32_f16 v4, v2, v20, v4
	;;#ASMEND
	;;#ASMSTART
	v_dot2_f32_f16 v4, v3, v21, v4
	;;#ASMEND
	s_wait_dscnt 0x6
	;;#ASMSTART
	v_dot2_f32_f16 v5, v0, v22, v5
	;;#ASMEND
	;;#ASMSTART
	v_dot2_f32_f16 v5, v1, v23, v5
	;;#ASMEND
	;;#ASMSTART
	v_dot2_f32_f16 v5, v2, v24, v5
	;;#ASMEND
	;;#ASMSTART
	v_dot2_f32_f16 v5, v3, v25, v5
	;;#ASMEND
	;; [unrolled: 13-line block ×8, first 2 shown]
	ds_load_b128 v[0:3], v141 offset:16400
	ds_load_b128 v[18:21], v142 offset:112
	;; [unrolled: 1-line block ×9, first 2 shown]
	s_wait_dscnt 0x7
	;;#ASMSTART
	v_dot2_f32_f16 v4, v0, v18, v4
	;;#ASMEND
	;;#ASMSTART
	v_dot2_f32_f16 v4, v1, v19, v4
	;;#ASMEND
	;;#ASMSTART
	v_dot2_f32_f16 v4, v2, v20, v4
	;;#ASMEND
	;;#ASMSTART
	v_dot2_f32_f16 v4, v3, v21, v4
	;;#ASMEND
	s_wait_dscnt 0x6
	;;#ASMSTART
	v_dot2_f32_f16 v5, v0, v22, v5
	;;#ASMEND
	;;#ASMSTART
	v_dot2_f32_f16 v5, v1, v23, v5
	;;#ASMEND
	;;#ASMSTART
	v_dot2_f32_f16 v5, v2, v24, v5
	;;#ASMEND
	;;#ASMSTART
	v_dot2_f32_f16 v5, v3, v25, v5
	;;#ASMEND
	;; [unrolled: 13-line block ×8, first 2 shown]
	ds_load_b128 v[0:3], v141 offset:16416
	ds_load_b128 v[18:21], v142 offset:128
	;; [unrolled: 1-line block ×9, first 2 shown]
	s_wait_dscnt 0x7
	;;#ASMSTART
	v_dot2_f32_f16 v4, v0, v18, v4
	;;#ASMEND
	;;#ASMSTART
	v_dot2_f32_f16 v4, v1, v19, v4
	;;#ASMEND
	;;#ASMSTART
	v_dot2_f32_f16 v4, v2, v20, v4
	;;#ASMEND
	;;#ASMSTART
	v_dot2_f32_f16 v4, v3, v21, v4
	;;#ASMEND
	s_wait_dscnt 0x6
	;;#ASMSTART
	v_dot2_f32_f16 v5, v0, v22, v5
	;;#ASMEND
	;;#ASMSTART
	v_dot2_f32_f16 v5, v1, v23, v5
	;;#ASMEND
	;;#ASMSTART
	v_dot2_f32_f16 v5, v2, v24, v5
	;;#ASMEND
	;;#ASMSTART
	v_dot2_f32_f16 v5, v3, v25, v5
	;;#ASMEND
	;; [unrolled: 13-line block ×8, first 2 shown]
	ds_load_b128 v[0:3], v141 offset:16432
	ds_load_b128 v[18:21], v142 offset:144
	;; [unrolled: 1-line block ×9, first 2 shown]
	s_wait_dscnt 0x7
	;;#ASMSTART
	v_dot2_f32_f16 v4, v0, v18, v4
	;;#ASMEND
	;;#ASMSTART
	v_dot2_f32_f16 v4, v1, v19, v4
	;;#ASMEND
	;;#ASMSTART
	v_dot2_f32_f16 v4, v2, v20, v4
	;;#ASMEND
	;;#ASMSTART
	v_dot2_f32_f16 v4, v3, v21, v4
	;;#ASMEND
	s_wait_dscnt 0x6
	;;#ASMSTART
	v_dot2_f32_f16 v5, v0, v22, v5
	;;#ASMEND
	;;#ASMSTART
	v_dot2_f32_f16 v5, v1, v23, v5
	;;#ASMEND
	;;#ASMSTART
	v_dot2_f32_f16 v5, v2, v24, v5
	;;#ASMEND
	;;#ASMSTART
	v_dot2_f32_f16 v5, v3, v25, v5
	;;#ASMEND
	;; [unrolled: 13-line block ×8, first 2 shown]
	ds_load_b128 v[0:3], v141 offset:16448
	ds_load_b128 v[18:21], v142 offset:160
	;; [unrolled: 1-line block ×9, first 2 shown]
	s_wait_dscnt 0x7
	;;#ASMSTART
	v_dot2_f32_f16 v4, v0, v18, v4
	;;#ASMEND
	;;#ASMSTART
	v_dot2_f32_f16 v4, v1, v19, v4
	;;#ASMEND
	;;#ASMSTART
	v_dot2_f32_f16 v4, v2, v20, v4
	;;#ASMEND
	;;#ASMSTART
	v_dot2_f32_f16 v4, v3, v21, v4
	;;#ASMEND
	s_wait_dscnt 0x6
	;;#ASMSTART
	v_dot2_f32_f16 v5, v0, v22, v5
	;;#ASMEND
	;;#ASMSTART
	v_dot2_f32_f16 v5, v1, v23, v5
	;;#ASMEND
	;;#ASMSTART
	v_dot2_f32_f16 v5, v2, v24, v5
	;;#ASMEND
	;;#ASMSTART
	v_dot2_f32_f16 v5, v3, v25, v5
	;;#ASMEND
	s_wait_dscnt 0x5
	;;#ASMSTART
	v_dot2_f32_f16 v6, v0, v26, v6
	;;#ASMEND
	;;#ASMSTART
	v_dot2_f32_f16 v6, v1, v27, v6
	;;#ASMEND
	;;#ASMSTART
	v_dot2_f32_f16 v6, v2, v28, v6
	;;#ASMEND
	;;#ASMSTART
	v_dot2_f32_f16 v6, v3, v29, v6
	;;#ASMEND
	s_wait_dscnt 0x4
	;;#ASMSTART
	v_dot2_f32_f16 v7, v0, v30, v7
	;;#ASMEND
	;;#ASMSTART
	v_dot2_f32_f16 v7, v1, v31, v7
	;;#ASMEND
	;;#ASMSTART
	v_dot2_f32_f16 v7, v2, v32, v7
	;;#ASMEND
	;;#ASMSTART
	v_dot2_f32_f16 v7, v3, v33, v7
	;;#ASMEND
	s_wait_dscnt 0x3
	;;#ASMSTART
	v_dot2_f32_f16 v14, v0, v34, v14
	;;#ASMEND
	;;#ASMSTART
	v_dot2_f32_f16 v14, v1, v35, v14
	;;#ASMEND
	;;#ASMSTART
	v_dot2_f32_f16 v14, v2, v36, v14
	;;#ASMEND
	;;#ASMSTART
	v_dot2_f32_f16 v14, v3, v37, v14
	;;#ASMEND
	s_wait_dscnt 0x2
	;;#ASMSTART
	v_dot2_f32_f16 v15, v0, v38, v15
	;;#ASMEND
	;;#ASMSTART
	v_dot2_f32_f16 v15, v1, v39, v15
	;;#ASMEND
	;;#ASMSTART
	v_dot2_f32_f16 v15, v2, v40, v15
	;;#ASMEND
	;;#ASMSTART
	v_dot2_f32_f16 v15, v3, v41, v15
	;;#ASMEND
	s_wait_dscnt 0x1
	;;#ASMSTART
	v_dot2_f32_f16 v16, v0, v42, v16
	;;#ASMEND
	;;#ASMSTART
	v_dot2_f32_f16 v16, v1, v43, v16
	;;#ASMEND
	;;#ASMSTART
	v_dot2_f32_f16 v16, v2, v44, v16
	;;#ASMEND
	;;#ASMSTART
	v_dot2_f32_f16 v16, v3, v45, v16
	;;#ASMEND
	s_wait_dscnt 0x0
	;;#ASMSTART
	v_dot2_f32_f16 v17, v0, v46, v17
	;;#ASMEND
	;;#ASMSTART
	v_dot2_f32_f16 v17, v1, v47, v17
	;;#ASMEND
	;;#ASMSTART
	v_dot2_f32_f16 v17, v2, v48, v17
	;;#ASMEND
	;;#ASMSTART
	v_dot2_f32_f16 v17, v3, v49, v17
	;;#ASMEND
	ds_load_b128 v[0:3], v141 offset:16464
	ds_load_b128 v[18:21], v142 offset:176
	ds_load_b128 v[22:25], v142 offset:368
	ds_load_b128 v[26:29], v142 offset:560
	ds_load_b128 v[30:33], v142 offset:752
	ds_load_b128 v[34:37], v142 offset:944
	ds_load_b128 v[38:41], v142 offset:1136
	ds_load_b128 v[42:45], v142 offset:1328
	ds_load_b128 v[46:49], v142 offset:1520
	s_wait_dscnt 0x7
	;;#ASMSTART
	v_dot2_f32_f16 v4, v0, v18, v4
	;;#ASMEND
	;;#ASMSTART
	v_dot2_f32_f16 v4, v1, v19, v4
	;;#ASMEND
	;;#ASMSTART
	v_dot2_f32_f16 v4, v2, v20, v4
	;;#ASMEND
	;;#ASMSTART
	v_dot2_f32_f16 v4, v3, v21, v4
	;;#ASMEND
	s_wait_dscnt 0x6
	;;#ASMSTART
	v_dot2_f32_f16 v5, v0, v22, v5
	;;#ASMEND
	;;#ASMSTART
	v_dot2_f32_f16 v5, v1, v23, v5
	;;#ASMEND
	;;#ASMSTART
	v_dot2_f32_f16 v5, v2, v24, v5
	;;#ASMEND
	;;#ASMSTART
	v_dot2_f32_f16 v5, v3, v25, v5
	;;#ASMEND
	;; [unrolled: 13-line block ×8, first 2 shown]
	global_load_u16 v0, v50, s[42:43] scale_offset
	v_cmp_gt_i32_e64 s6, 32, v166
	v_dual_max_num_f32 v1, v8, v8 :: v_dual_max_num_f32 v2, v13, v13
	v_dual_max_num_f32 v3, v12, v12 :: v_dual_max_num_f32 v18, v11, v11
	s_delay_alu instid0(VALU_DEP_3)
	v_dual_cndmask_b32 v20, v140, v166, s6 :: v_dual_max_num_f32 v22, v171, v171
	v_dual_max_num_f32 v19, v10, v10 :: v_dual_max_num_f32 v21, v9, v9
	v_cmp_gt_i32_e64 s6, 32, v167
	s_wait_loadcnt 0x0
	s_barrier_signal -1
	s_barrier_wait -1
	v_xor_b32_e32 v170, 1, v140
	v_cvt_f32_f16_e32 v0, v0
	s_delay_alu instid0(VALU_DEP_1) | instskip(SKIP_3) | instid1(VALU_DEP_2)
	v_dual_add_f32 v24, v4, v0 :: v_dual_add_f32 v25, v5, v0
	v_dual_add_f32 v26, v6, v0 :: v_dual_add_f32 v27, v7, v0
	v_dual_add_f32 v14, v14, v0 :: v_dual_add_f32 v15, v15, v0
	v_dual_add_f32 v16, v16, v0 :: v_dual_add_f32 v17, v17, v0
	v_dual_add_f32 v0, 0x40051340, v24 :: v_dual_add_f32 v7, 0x40051340, v14
	v_dual_max_num_f32 v23, v172, v172 :: v_dual_add_f32 v4, 0x40051340, v25
	v_dual_add_f32 v5, 0x40051340, v26 :: v_dual_lshlrev_b32 v20, 2, v20
	s_delay_alu instid0(VALU_DEP_4) | instskip(NEXT) | instid1(VALU_DEP_4)
	v_dual_add_f32 v6, 0x40051340, v27 :: v_dual_add_f32 v29, 0x40051340, v16
	v_max_num_f32_e32 v0, v1, v0
	s_delay_alu instid0(VALU_DEP_4) | instskip(SKIP_1) | instid1(VALU_DEP_4)
	v_dual_add_f32 v28, 0x40051340, v15 :: v_dual_max_num_f32 v1, v2, v4
	v_add_f32_e32 v30, 0x40051340, v17
	v_dual_max_num_f32 v2, v3, v5 :: v_dual_max_num_f32 v3, v18, v6
	ds_bpermute_b32 v18, v20, v0
	v_dual_max_num_f32 v4, v19, v7 :: v_dual_max_num_f32 v5, v21, v28
	v_dual_max_num_f32 v6, v22, v29 :: v_dual_max_num_f32 v7, v23, v30
	ds_bpermute_b32 v19, v20, v1
	ds_bpermute_b32 v21, v20, v2
	;; [unrolled: 1-line block ×7, first 2 shown]
	s_wait_dscnt 0x7
	v_dual_cndmask_b32 v30, v140, v167, s6 :: v_dual_max_num_f32 v18, v18, v18
	s_wait_dscnt 0x6
	s_delay_alu instid0(VALU_DEP_1) | instskip(SKIP_1) | instid1(VALU_DEP_2)
	v_dual_max_num_f32 v19, v19, v19 :: v_dual_lshlrev_b32 v30, 2, v30
	s_wait_dscnt 0x5
	v_dual_max_num_f32 v21, v21, v21 :: v_dual_max_num_f32 v0, v0, v18
	s_wait_dscnt 0x3
	v_dual_max_num_f32 v22, v22, v22 :: v_dual_max_num_f32 v23, v23, v23
	s_wait_dscnt 0x1
	v_dual_max_num_f32 v28, v28, v28 :: v_dual_max_num_f32 v29, v29, v29
	s_wait_dscnt 0x0
	v_dual_max_num_f32 v20, v20, v20 :: v_dual_max_num_f32 v1, v1, v19
	v_max_num_f32_e32 v2, v2, v21
	ds_bpermute_b32 v18, v30, v0
	v_dual_max_num_f32 v3, v3, v22 :: v_dual_max_num_f32 v4, v4, v23
	v_dual_max_num_f32 v5, v5, v28 :: v_dual_max_num_f32 v6, v6, v29
	v_max_num_f32_e32 v7, v7, v20
	ds_bpermute_b32 v19, v30, v1
	ds_bpermute_b32 v20, v30, v2
	;; [unrolled: 1-line block ×7, first 2 shown]
	s_wait_dscnt 0x7
	v_dual_max_num_f32 v18, v18, v18 :: v_dual_bitop2_b32 v168, 4, v140 bitop3:0x14
	s_delay_alu instid0(VALU_DEP_1) | instskip(SKIP_1) | instid1(VALU_DEP_1)
	v_cmp_gt_i32_e64 s6, 32, v168
	s_wait_dscnt 0x6
	v_dual_cndmask_b32 v30, v140, v168, s6 :: v_dual_max_num_f32 v19, v19, v19
	s_wait_dscnt 0x4
	v_dual_max_num_f32 v20, v20, v20 :: v_dual_max_num_f32 v21, v21, v21
	s_wait_dscnt 0x2
	v_dual_max_num_f32 v28, v28, v28 :: v_dual_max_num_f32 v29, v29, v29
	v_lshlrev_b32_e32 v30, 2, v30
	v_dual_max_num_f32 v0, v0, v18 :: v_dual_max_num_f32 v1, v1, v19
	s_wait_dscnt 0x0
	v_dual_max_num_f32 v22, v22, v22 :: v_dual_max_num_f32 v23, v23, v23
	v_dual_max_num_f32 v2, v2, v20 :: v_dual_max_num_f32 v3, v3, v21
	;; [unrolled: 1-line block ×3, first 2 shown]
	ds_bpermute_b32 v18, v30, v0
	v_dual_max_num_f32 v4, v4, v22 :: v_dual_max_num_f32 v5, v5, v23
	ds_bpermute_b32 v19, v30, v1
	ds_bpermute_b32 v20, v30, v2
	;; [unrolled: 1-line block ×7, first 2 shown]
	v_cmp_gt_i32_e64 s6, 32, v169
	s_delay_alu instid0(VALU_DEP_1)
	v_cndmask_b32_e64 v30, v140, v169, s6
	v_cmp_gt_i32_e64 s6, 32, v170
	s_wait_dscnt 0x7
	v_max_num_f32_e32 v18, v18, v18
	s_wait_dscnt 0x6
	v_dual_max_num_f32 v19, v19, v19 :: v_dual_lshlrev_b32 v30, 2, v30
	s_wait_dscnt 0x4
	v_dual_max_num_f32 v20, v20, v20 :: v_dual_max_num_f32 v21, v21, v21
	s_wait_dscnt 0x3
	v_dual_max_num_f32 v29, v29, v29 :: v_dual_max_num_f32 v0, v0, v18
	;; [unrolled: 2-line block ×4, first 2 shown]
	v_dual_max_num_f32 v2, v2, v20 :: v_dual_max_num_f32 v3, v3, v21
	s_delay_alu instid0(VALU_DEP_3)
	v_max_num_f32_e32 v4, v4, v22
	ds_bpermute_b32 v18, v30, v0
	v_dual_max_num_f32 v5, v5, v23 :: v_dual_max_num_f32 v6, v6, v28
	v_max_num_f32_e32 v7, v7, v29
	ds_bpermute_b32 v19, v30, v1
	ds_bpermute_b32 v20, v30, v2
	;; [unrolled: 1-line block ×7, first 2 shown]
	v_cndmask_b32_e64 v30, v140, v170, s6
	s_wait_dscnt 0x6
	v_dual_max_num_f32 v18, v18, v18 :: v_dual_max_num_f32 v19, v19, v19
	s_wait_dscnt 0x5
	s_delay_alu instid0(VALU_DEP_2) | instskip(SKIP_1) | instid1(VALU_DEP_2)
	v_dual_lshlrev_b32 v30, 2, v30 :: v_dual_max_num_f32 v20, v20, v20
	s_wait_dscnt 0x4
	v_dual_max_num_f32 v21, v21, v21 :: v_dual_max_num_f32 v0, v0, v18
	s_wait_dscnt 0x3
	v_dual_max_num_f32 v1, v1, v19 :: v_dual_max_num_f32 v22, v22, v22
	;; [unrolled: 2-line block ×4, first 2 shown]
	v_max_num_f32_e32 v3, v3, v21
	ds_bpermute_b32 v18, v30, v0
	v_dual_max_num_f32 v4, v4, v22 :: v_dual_max_num_f32 v5, v5, v23
	v_dual_max_num_f32 v6, v6, v28 :: v_dual_max_num_f32 v7, v7, v29
	ds_bpermute_b32 v19, v30, v1
	ds_bpermute_b32 v20, v30, v2
	;; [unrolled: 1-line block ×7, first 2 shown]
	s_wait_dscnt 0x6
	v_dual_max_num_f32 v18, v18, v18 :: v_dual_max_num_f32 v19, v19, v19
	s_wait_dscnt 0x4
	v_dual_max_num_f32 v20, v20, v20 :: v_dual_max_num_f32 v21, v21, v21
	s_delay_alu instid0(VALU_DEP_2)
	v_max_num_f32_e32 v0, v0, v18
	s_wait_dscnt 0x2
	v_dual_max_num_f32 v22, v22, v22 :: v_dual_max_num_f32 v23, v23, v23
	s_wait_dscnt 0x0
	v_dual_max_num_f32 v28, v28, v28 :: v_dual_max_num_f32 v29, v29, v29
	v_dual_max_num_f32 v1, v1, v19 :: v_dual_max_num_f32 v2, v2, v20
	v_dual_max_num_f32 v3, v3, v21 :: v_dual_sub_f32 v18, v24, v0
	v_dual_max_num_f32 v4, v4, v22 :: v_dual_max_num_f32 v5, v5, v23
	s_delay_alu instid0(VALU_DEP_4) | instskip(NEXT) | instid1(VALU_DEP_4)
	v_dual_max_num_f32 v6, v6, v28 :: v_dual_max_num_f32 v7, v7, v29
	v_dual_sub_f32 v19, v25, v1 :: v_dual_sub_f32 v20, v26, v2
	s_delay_alu instid0(VALU_DEP_4) | instskip(NEXT) | instid1(VALU_DEP_4)
	v_dual_sub_f32 v21, v27, v3 :: v_dual_mul_f32 v22, 0x3fb8aa3b, v18
	v_dual_sub_f32 v14, v14, v4 :: v_dual_sub_f32 v15, v15, v5
	s_delay_alu instid0(VALU_DEP_4) | instskip(NEXT) | instid1(VALU_DEP_4)
	v_dual_sub_f32 v16, v16, v6 :: v_dual_sub_f32 v17, v17, v7
	v_dual_mul_f32 v23, 0x3fb8aa3b, v19 :: v_dual_mul_f32 v24, 0x3fb8aa3b, v20
	s_delay_alu instid0(VALU_DEP_4)
	v_mul_f32_e32 v25, 0x3fb8aa3b, v21
	v_fma_f32 v30, 0x3fb8aa3b, v18, -v22
	v_rndne_f32_e32 v31, v22
	v_dual_mul_f32 v26, 0x3fb8aa3b, v14 :: v_dual_mul_f32 v27, 0x3fb8aa3b, v15
	v_dual_mul_f32 v28, 0x3fb8aa3b, v16 :: v_dual_mul_f32 v29, 0x3fb8aa3b, v17
	v_fma_f32 v32, 0x3fb8aa3b, v19, -v23
	v_rndne_f32_e32 v33, v23
	v_fma_f32 v34, 0x3fb8aa3b, v20, -v24
	v_rndne_f32_e32 v35, v24
	v_rndne_f32_e32 v37, v25
	s_delay_alu instid0(VALU_DEP_4)
	v_dual_fmac_f32 v30, 0x32a5705f, v18 :: v_dual_sub_f32 v23, v23, v33
	v_sub_f32_e32 v22, v22, v31
	v_fma_f32 v36, 0x3fb8aa3b, v21, -v25
	v_rndne_f32_e32 v39, v26
	v_rndne_f32_e32 v41, v27
	v_rndne_f32_e32 v45, v29
	v_fmac_f32_e32 v32, 0x32a5705f, v19
	v_dual_fmac_f32 v34, 0x32a5705f, v20 :: v_dual_sub_f32 v25, v25, v37
	v_dual_sub_f32 v24, v24, v35 :: v_dual_add_f32 v22, v22, v30
	v_fma_f32 v38, 0x3fb8aa3b, v14, -v26
	v_fma_f32 v40, 0x3fb8aa3b, v15, -v27
	;; [unrolled: 1-line block ×3, first 2 shown]
	v_sub_f32_e32 v27, v27, v41
	v_dual_fmac_f32 v36, 0x32a5705f, v21 :: v_dual_add_f32 v23, v23, v32
	v_dual_sub_f32 v29, v29, v45 :: v_dual_sub_f32 v26, v26, v39
	v_add_f32_e32 v24, v24, v34
	v_exp_f32_e32 v22, v22
	v_cvt_i32_f32_e32 v31, v31
	v_exp_f32_e32 v23, v23
	v_fma_f32 v42, 0x3fb8aa3b, v16, -v28
	v_exp_f32_e32 v24, v24
	v_rndne_f32_e32 v43, v28
	v_cvt_i32_f32_e32 v33, v33
	v_cvt_i32_f32_e32 v35, v35
	v_ldexp_f32 v22, v22, v31
	v_cmp_ngt_f32_e64 s6, 0xc2ce8ed0, v18
	v_dual_fmac_f32 v38, 0x32a5705f, v14 :: v_dual_add_f32 v25, v25, v36
	v_fmac_f32_e32 v42, 0x32a5705f, v16
	v_sub_f32_e32 v28, v28, v43
	v_ldexp_f32 v23, v23, v33
	v_ldexp_f32 v24, v24, v35
	v_cndmask_b32_e64 v22, 0, v22, s6
	v_cmp_ngt_f32_e64 s6, 0xc2ce8ed0, v19
	v_fmac_f32_e32 v44, 0x32a5705f, v17
	v_fmac_f32_e32 v40, 0x32a5705f, v15
	v_add_f32_e32 v26, v26, v38
	v_exp_f32_e32 v25, v25
	v_cvt_i32_f32_e32 v37, v37
	v_dual_add_f32 v28, v28, v42 :: v_dual_cndmask_b32 v23, 0, v23, s6
	v_cmp_ngt_f32_e64 s6, 0xc2ce8ed0, v20
	v_add_f32_e32 v29, v29, v44
	v_add_f32_e32 v27, v27, v40
	v_exp_f32_e32 v26, v26
	v_cvt_i32_f32_e32 v39, v39
	v_ldexp_f32 v25, v25, v37
	v_cndmask_b32_e64 v24, 0, v24, s6
	v_cmp_ngt_f32_e64 s6, 0xc2ce8ed0, v21
	v_exp_f32_e32 v27, v27
	v_cvt_i32_f32_e32 v41, v41
	v_ldexp_f32 v26, v26, v39
	v_exp_f32_e32 v28, v28
	v_cndmask_b32_e64 v25, 0, v25, s6
	v_cmp_ngt_f32_e64 s6, 0xc2ce8ed0, v14
	v_cvt_i32_f32_e32 v43, v43
	v_ldexp_f32 v27, v27, v41
	v_exp_f32_e32 v29, v29
	v_cvt_i32_f32_e32 v45, v45
	v_cndmask_b32_e64 v26, 0, v26, s6
	v_cmp_ngt_f32_e64 s6, 0xc2ce8ed0, v15
	v_ldexp_f32 v28, v28, v43
	s_delay_alu instid0(TRANS32_DEP_1) | instid1(VALU_DEP_4)
	v_ldexp_f32 v29, v29, v45
	s_delay_alu instid0(VALU_DEP_3) | instskip(SKIP_1) | instid1(VALU_DEP_1)
	v_cndmask_b32_e64 v27, 0, v27, s6
	v_cmp_ngt_f32_e64 s6, 0xc2ce8ed0, v16
	v_cndmask_b32_e64 v28, 0, v28, s6
	v_cmp_ngt_f32_e64 s6, 0xc2ce8ed0, v17
	s_delay_alu instid0(VALU_DEP_1) | instskip(SKIP_1) | instid1(VALU_DEP_1)
	v_cndmask_b32_e64 v29, 0, v29, s6
	v_cmp_nlt_f32_e64 s6, 0x42b17218, v18
	v_cndmask_b32_e64 v126, 0x7f800000, v22, s6
	v_cmp_nlt_f32_e64 s6, 0x42b17218, v20
	s_delay_alu instid0(VALU_DEP_1) | instskip(SKIP_1) | instid1(VALU_DEP_1)
	v_cndmask_b32_e64 v128, 0x7f800000, v24, s6
	v_cmp_nlt_f32_e64 s6, 0x42b17218, v21
	v_cndmask_b32_e64 v129, 0x7f800000, v25, s6
	v_cmp_nlt_f32_e64 s6, 0x42b17218, v14
	;; [unrolled: 5-line block ×3, first 2 shown]
	s_delay_alu instid0(VALU_DEP_1) | instskip(SKIP_2) | instid1(VALU_DEP_3)
	v_cndmask_b32_e64 v133, 0x7f800000, v29, s6
	v_cmp_nlt_f32_e64 s6, 0x42b17218, v15
	v_cvt_pk_f16_f32 v15, v128, v129
	v_cvt_pk_f16_f32 v17, v132, v133
	s_delay_alu instid0(VALU_DEP_3) | instskip(SKIP_1) | instid1(VALU_DEP_2)
	v_cndmask_b32_e64 v131, 0x7f800000, v27, s6
	v_cmp_nlt_f32_e64 s6, 0x42b17218, v19
	v_cvt_pk_f16_f32 v16, v130, v131
	s_delay_alu instid0(VALU_DEP_2) | instskip(SKIP_1) | instid1(SALU_CYCLE_1)
	v_cndmask_b32_e64 v127, 0x7f800000, v23, s6
	s_mul_u64 s[6:7], s[26:27], s[36:37]
	s_lshl_b64 s[6:7], s[6:7], 2
	s_delay_alu instid0(VALU_DEP_1)
	v_cvt_pk_f16_f32 v14, v126, v127
	s_add_nc_u64 s[6:7], s[48:49], s[6:7]
	ds_store_b128 v151, v[14:17]
	s_wait_xcnt 0x0
	s_and_saveexec_b32 s8, s4
	s_cbranch_execz .LBB0_21
; %bb.20:                               ;   in Loop: Header=BB0_11 Depth=1
	v_lshl_add_u64 v[14:15], v[118:119], 2, s[6:7]
	v_mov_b32_e32 v125, v117
	s_delay_alu instid0(VALU_DEP_1)
	v_add_nc_u64_e32 v[14:15], v[14:15], v[124:125]
	global_load_b128 v[14:17], v[14:15], off offset:128
	s_wait_loadcnt 0x0
	ds_store_b128 v147, v[14:17]
.LBB0_21:                               ;   in Loop: Header=BB0_11 Depth=1
	s_or_b32 exec_lo, exec_lo, s8
	v_lshlrev_b32_e32 v134, 2, v120
	s_and_saveexec_b32 s8, s5
	s_cbranch_execz .LBB0_23
; %bb.22:                               ;   in Loop: Header=BB0_11 Depth=1
	v_lshl_add_u64 v[14:15], v[122:123], 2, s[6:7]
	v_mov_b32_e32 v135, v117
	s_delay_alu instid0(VALU_DEP_1)
	v_add_nc_u64_e32 v[14:15], v[14:15], v[134:135]
	global_load_b128 v[14:17], v[14:15], off
	s_wait_loadcnt 0x0
	ds_store_b128 v149, v[14:17]
.LBB0_23:                               ;   in Loop: Header=BB0_11 Depth=1
	s_or_b32 exec_lo, exec_lo, s8
	v_dual_sub_f32 v172, v172, v7 :: v_dual_add_nc_u32 v175, 0x4000, v138
	v_add_nc_u32_e32 v174, 0x4400, v138
	s_wait_dscnt 0x0
	s_barrier_signal -1
	s_barrier_wait -1
	ds_load_2addr_b64 v[36:39], v175 offset1:24
	ds_load_b128 v[100:103], v146
	ds_load_b128 v[96:99], v146 offset:16
	ds_load_b128 v[92:95], v146 offset:32
	;; [unrolled: 1-line block ×3, first 2 shown]
	ds_load_2addr_b64 v[32:35], v175 offset0:48 offset1:72
	ds_load_2addr_b64 v[28:31], v175 offset0:96 offset1:120
	ds_load_b128 v[84:87], v146 offset:64
	ds_load_b128 v[80:83], v146 offset:80
	ds_load_2addr_b64 v[24:27], v175 offset0:144 offset1:168
	ds_load_b128 v[76:79], v146 offset:96
	ds_load_b128 v[72:75], v146 offset:112
	v_dual_sub_f32 v180, v8, v0 :: v_dual_sub_f32 v181, v13, v1
	v_dual_sub_f32 v179, v12, v2 :: v_dual_sub_f32 v178, v11, v3
	;; [unrolled: 1-line block ×3, first 2 shown]
	ds_load_2addr_b64 v[20:23], v175 offset0:192 offset1:216
	v_add_nc_u32_e32 v173, 0x4800, v138
	ds_load_b128 v[68:71], v146 offset:128
	ds_load_b128 v[64:67], v146 offset:144
	ds_load_2addr_b64 v[16:19], v174 offset0:112 offset1:136
	ds_load_b128 v[60:63], v146 offset:160
	ds_load_b128 v[52:55], v146 offset:176
	ds_load_2addr_b64 v[12:15], v173 offset0:32 offset1:56
	;; [unrolled: 3-line block ×3, first 2 shown]
	ds_load_b128 v[44:47], v146 offset:224
	ds_load_b128 v[40:43], v146 offset:240
	v_sub_f32_e32 v171, v171, v6
	s_or_b32 s52, s26, 16
	v_cmp_ngt_f32_e64 s15, 0xc2ce8ed0, v180
	s_ashr_i32 s53, s52, 31
	v_cmp_nlt_f32_e64 s10, 0x42b17218, v180
	s_mul_u64 s[52:53], s[52:53], s[36:37]
	v_cmp_ngt_f32_e64 s16, 0xc2ce8ed0, v181
	v_cmp_nlt_f32_e64 s11, 0x42b17218, v181
	v_cmp_ngt_f32_e64 s9, 0xc2ce8ed0, v179
	v_cmp_nlt_f32_e64 s7, 0x42b17218, v179
	;; [unrolled: 2-line block ×7, first 2 shown]
	s_lshl_b64 s[52:53], s[52:53], 2
	s_wait_dscnt 0x0
	s_add_nc_u64 s[52:53], s[48:49], s[52:53]
	s_barrier_signal -1
	s_barrier_wait -1
	s_and_saveexec_b32 s23, s4
	s_cbranch_execz .LBB0_25
; %bb.24:                               ;   in Loop: Header=BB0_11 Depth=1
	v_lshl_add_u64 v[182:183], v[118:119], 2, s[52:53]
	v_mov_b32_e32 v125, v117
	s_delay_alu instid0(VALU_DEP_1)
	v_add_nc_u64_e32 v[182:183], v[182:183], v[124:125]
	global_load_b128 v[182:185], v[182:183], off offset:128
	s_wait_loadcnt 0x0
	ds_store_b128 v147, v[182:185]
.LBB0_25:                               ;   in Loop: Header=BB0_11 Depth=1
	s_or_b32 exec_lo, exec_lo, s23
	s_and_saveexec_b32 s23, s5
	s_cbranch_execz .LBB0_27
; %bb.26:                               ;   in Loop: Header=BB0_11 Depth=1
	v_lshl_add_u64 v[182:183], v[122:123], 2, s[52:53]
	v_mov_b32_e32 v135, v117
	s_delay_alu instid0(VALU_DEP_1)
	v_add_nc_u64_e32 v[134:135], v[182:183], v[134:135]
	global_load_b128 v[182:185], v[134:135], off
	s_wait_loadcnt 0x0
	ds_store_b128 v149, v[182:185]
.LBB0_27:                               ;   in Loop: Header=BB0_11 Depth=1
	s_or_b32 exec_lo, exec_lo, s23
	v_dual_lshrrev_b32 v223, 16, v52 :: v_dual_lshrrev_b32 v224, 16, v53
	v_and_b32_e32 v227, 0xffff, v52
	v_dual_mul_f32 v52, 0x3fb8aa3b, v180 :: v_dual_lshrrev_b32 v237, 16, v50
	v_and_b32_e32 v228, 0xffff, v53
	v_dual_lshrrev_b32 v235, 16, v48 :: v_dual_lshrrev_b32 v236, 16, v49
	v_dual_mul_f32 v53, 0x3fb8aa3b, v181 :: v_dual_lshrrev_b32 v238, 16, v51
	v_and_b32_e32 v239, 0xffff, v48
	v_and_b32_e32 v240, 0xffff, v49
	v_fma_f32 v48, 0x3fb8aa3b, v180, -v52
	v_rndne_f32_e32 v49, v52
	v_dual_lshrrev_b32 v225, 16, v54 :: v_dual_lshrrev_b32 v226, 16, v55
	v_and_b32_e32 v230, 0xffff, v55
	v_rndne_f32_e32 v55, v53
	s_delay_alu instid0(VALU_DEP_4)
	v_dual_mul_f32 v241, 0x3fb8aa3b, v179 :: v_dual_sub_f32 v52, v52, v49
	v_fmac_f32_e32 v48, 0x32a5705f, v180
	v_and_b32_e32 v229, 0xffff, v54
	v_fma_f32 v54, 0x3fb8aa3b, v181, -v53
	v_sub_f32_e32 v53, v53, v55
	v_fma_f32 v180, 0x3fb8aa3b, v179, -v241
	v_add_f32_e32 v48, v52, v48
	v_rndne_f32_e32 v52, v241
	v_fmac_f32_e32 v54, 0x32a5705f, v181
	v_cvt_i32_f32_e32 v49, v49
	v_dual_fmac_f32 v180, 0x32a5705f, v179 :: v_dual_lshrrev_b32 v135, 16, v102
	s_delay_alu instid0(VALU_DEP_4)
	v_dual_sub_f32 v241, v241, v52 :: v_dual_lshrrev_b32 v182, 16, v103
	v_mul_f32_e32 v181, 0x3fb8aa3b, v178
	v_add_f32_e32 v53, v53, v54
	v_exp_f32_e32 v48, v48
	v_and_b32_e32 v102, 0xffff, v102
	v_add_f32_e32 v180, v241, v180
	v_fma_f32 v54, 0x3fb8aa3b, v178, -v181
	v_rndne_f32_e32 v179, v181
	v_exp_f32_e32 v53, v53
	v_dual_lshrrev_b32 v125, 16, v100 :: v_dual_lshrrev_b32 v134, 16, v101
	s_delay_alu instid0(VALU_DEP_3)
	v_fmac_f32_e32 v54, 0x32a5705f, v178
	v_ldexp_f32 v48, v48, v49
	v_sub_f32_e32 v178, v181, v179
	v_and_b32_e32 v181, 0xffff, v50
	v_cvt_i32_f32_e32 v50, v55
	v_exp_f32_e32 v55, v180
	v_cvt_i32_f32_e32 v49, v52
	v_cndmask_b32_e64 v48, 0, v48, s15
	v_and_b32_e32 v100, 0xffff, v100
	v_ldexp_f32 v50, v53, v50
	v_and_b32_e32 v101, 0xffff, v101
	v_and_b32_e32 v103, 0xffff, v103
	v_ldexp_f32 v53, v55, v49
	v_add_f32_e32 v54, v178, v54
	v_and_b32_e32 v178, 0xffff, v51
	v_cvt_i32_f32_e32 v51, v179
	s_delay_alu instid0(VALU_DEP_4) | instskip(NEXT) | instid1(VALU_DEP_4)
	v_dual_cndmask_b32 v49, 0, v50, s16 :: v_dual_cndmask_b32 v53, 0, v53, s9
	v_exp_f32_e32 v52, v54
	v_cndmask_b32_e64 v48, 0x7f800000, v48, s10
	v_mul_u32_u24_e32 v102, 0x10001, v102
	v_dual_lshrrev_b32 v183, 16, v96 :: v_dual_lshrrev_b32 v184, 16, v97
	v_dual_lshrrev_b32 v185, 16, v98 :: v_dual_lshrrev_b32 v186, 16, v99
	s_delay_alu instid0(TRANS32_DEP_1)
	v_ldexp_f32 v51, v52, v51
	v_mul_f32_e32 v52, 0x3fb8aa3b, v177
	v_and_b32_e32 v96, 0xffff, v96
	v_and_b32_e32 v97, 0xffff, v97
	;; [unrolled: 1-line block ×3, first 2 shown]
	v_cndmask_b32_e64 v51, 0, v51, s8
	v_fma_f32 v179, 0x3fb8aa3b, v177, -v52
	v_mul_u32_u24_e32 v100, 0x10001, v100
	v_mul_u32_u24_e32 v125, 0x10001, v125
	;; [unrolled: 1-line block ×3, first 2 shown]
	v_cndmask_b32_e64 v51, 0x7f800000, v51, s6
	v_fmac_f32_e32 v179, 0x32a5705f, v177
	v_mul_f32_e32 v177, 0x3fb8aa3b, v172
	v_rndne_f32_e32 v180, v52
	v_mul_u32_u24_e32 v134, 0x10001, v134
	v_mul_u32_u24_e32 v135, 0x10001, v135
	;; [unrolled: 1-line block ×3, first 2 shown]
	v_rndne_f32_e32 v242, v177
	v_mul_f32_e32 v50, 0x3fb8aa3b, v176
	v_fma_f32 v241, 0x3fb8aa3b, v172, -v177
	v_sub_f32_e32 v52, v52, v180
	v_and_b32_e32 v99, 0xffff, v99
	v_dual_lshrrev_b32 v187, 16, v92 :: v_dual_lshrrev_b32 v188, 16, v93
	v_fma_f32 v54, 0x3fb8aa3b, v176, -v50
	v_rndne_f32_e32 v55, v50
	v_dual_fmac_f32 v241, 0x32a5705f, v172 :: v_dual_add_f32 v52, v52, v179
	v_cvt_i32_f32_e32 v172, v180
	s_delay_alu instid0(VALU_DEP_4) | instskip(NEXT) | instid1(VALU_DEP_4)
	v_fmac_f32_e32 v54, 0x32a5705f, v176
	v_sub_f32_e32 v50, v50, v55
	v_mul_f32_e32 v176, 0x3fb8aa3b, v171
	v_exp_f32_e32 v52, v52
	v_cvt_i32_f32_e32 v55, v55
	v_cndmask_b32_e64 v49, 0x7f800000, v49, s11
	v_add_f32_e32 v50, v50, v54
	v_fma_f32 v54, 0x3fb8aa3b, v171, -v176
	v_rndne_f32_e32 v179, v176
	v_and_b32_e32 v92, 0xffff, v92
	v_ldexp_f32 v52, v52, v172
	v_exp_f32_e32 v243, v50
	v_fmac_f32_e32 v54, 0x32a5705f, v171
	v_dual_sub_f32 v50, v176, v179 :: v_dual_sub_f32 v171, v177, v242
	s_delay_alu instid0(VALU_DEP_3) | instskip(SKIP_2) | instid1(VALU_DEP_4)
	v_cndmask_b32_e64 v176, 0, v52, s21
	v_cvt_i32_f32_e32 v172, v242
	v_cvt_f16_f32_e64 v177, v51
	v_dual_add_f32 v54, v50, v54 :: v_dual_add_f32 v171, v171, v241
	v_cndmask_b32_e64 v50, 0x7f800000, v53, s7
	v_ldexp_f32 v53, v243, v55
	v_and_b32_e32 v93, 0xffff, v93
	s_delay_alu instid0(VALU_DEP_4)
	v_exp_f32_e32 v54, v54
	v_exp_f32_e32 v55, v171
	v_nop
	v_cvt_i32_f32_e32 v171, v179
	v_cndmask_b32_e64 v53, 0, v53, s20
	v_mul_u32_u24_e32 v96, 0x10001, v96
	v_mul_u32_u24_e32 v97, 0x10001, v97
	;; [unrolled: 1-line block ×3, first 2 shown]
	v_ldexp_f32 v54, v54, v171
	v_ldexp_f32 v55, v55, v172
	v_cvt_f16_f32_e64 v171, v48
	v_cvt_f16_f32_e64 v172, v49
	v_cndmask_b32_e64 v52, 0x7f800000, v53, s17
	v_cndmask_b32_e64 v53, 0x7f800000, v176, s18
	v_cvt_f16_f32_e64 v176, v50
	v_and_b32_e32 v171, 0xffff, v171
	v_and_b32_e32 v172, 0xffff, v172
	v_dual_cndmask_b32 v54, 0, v54, s19 :: v_dual_cndmask_b32 v55, 0, v55, s14
	s_delay_alu instid0(VALU_DEP_4) | instskip(NEXT) | instid1(VALU_DEP_4)
	v_and_b32_e32 v176, 0xffff, v176
	v_mul_u32_u24_e32 v171, 0x10001, v171
	s_delay_alu instid0(VALU_DEP_4) | instskip(NEXT) | instid1(VALU_DEP_4)
	v_mul_u32_u24_e32 v172, 0x10001, v172
	v_cndmask_b32_e64 v54, 0x7f800000, v54, s12
	v_cndmask_b32_e64 v55, 0x7f800000, v55, s13
	v_dual_lshrrev_b32 v189, 16, v94 :: v_dual_lshrrev_b32 v190, 16, v95
	v_pk_mul_f16 v164, v164, v171
	v_pk_mul_f16 v165, v165, v171
	v_mul_u32_u24_e32 v171, 0x10001, v176
	v_and_b32_e32 v176, 0xffff, v177
	v_pk_mul_f16 v162, v162, v172
	v_pk_mul_f16 v163, v163, v172
	v_cvt_f16_f32_e64 v172, v52
	v_cvt_f16_f32_e64 v177, v53
	v_pk_mul_f16 v161, v161, v171
	v_mul_u32_u24_e32 v176, 0x10001, v176
	v_pk_mul_f16 v160, v160, v171
	v_and_b32_e32 v171, 0xffff, v172
	v_cvt_f16_f32_e64 v172, v54
	v_and_b32_e32 v177, 0xffff, v177
	v_cvt_f16_f32_e64 v179, v55
	v_pk_mul_f16 v159, v159, v176
	v_mul_u32_u24_e32 v171, 0x10001, v171
	v_and_b32_e32 v172, 0xffff, v172
	v_pk_mul_f16 v158, v158, v176
	v_mul_u32_u24_e32 v176, 0x10001, v177
	v_and_b32_e32 v177, 0xffff, v179
	v_pk_mul_f16 v156, v156, v171
	v_mul_u32_u24_e32 v172, 0x10001, v172
	v_pk_mul_f16 v157, v157, v171
	v_pk_mul_f16 v154, v154, v176
	v_mul_u32_u24_e32 v171, 0x10001, v177
	v_pk_fma_f16 v156, v36, v102, v156
	v_pk_mul_f16 v152, v152, v172
	v_pk_mul_f16 v153, v153, v172
	v_pk_fma_f16 v102, v37, v102, v157
	v_pk_mul_f16 v150, v150, v171
	v_mul_u32_u24_e32 v157, 0x10001, v182
	v_pk_mul_f16 v155, v155, v176
	v_pk_mul_f16 v148, v148, v171
	v_pk_fma_f16 v164, v36, v100, v164
	v_pk_fma_f16 v100, v37, v100, v165
	;; [unrolled: 1-line block ×12, first 2 shown]
	v_mul_u32_u24_e32 v150, 0x10001, v183
	v_mul_u32_u24_e32 v153, 0x10001, v184
	v_and_b32_e32 v94, 0xffff, v94
	v_and_b32_e32 v95, 0xffff, v95
	v_dual_lshrrev_b32 v191, 16, v88 :: v_dual_lshrrev_b32 v192, 16, v89
	v_and_b32_e32 v88, 0xffff, v88
	v_pk_fma_f16 v135, v37, v135, v155
	v_pk_fma_f16 v37, v37, v157, v148
	;; [unrolled: 1-line block ×10, first 2 shown]
	v_mul_u32_u24_e32 v153, 0x10001, v185
	v_pk_fma_f16 v155, v38, v98, v156
	v_mul_u32_u24_e32 v99, 0x10001, v99
	v_pk_fma_f16 v98, v39, v98, v102
	v_mul_u32_u24_e32 v102, 0x10001, v186
	v_mul_u32_u24_e32 v92, 0x10001, v92
	;; [unrolled: 1-line block ×4, first 2 shown]
	v_dual_lshrrev_b32 v193, 16, v90 :: v_dual_lshrrev_b32 v194, 16, v91
	v_and_b32_e32 v89, 0xffff, v89
	v_and_b32_e32 v90, 0xffff, v90
	;; [unrolled: 1-line block ×3, first 2 shown]
	v_dual_lshrrev_b32 v195, 16, v84 :: v_dual_lshrrev_b32 v196, 16, v85
	v_and_b32_e32 v84, 0xffff, v84
	v_pk_fma_f16 v154, v38, v153, v154
	v_pk_fma_f16 v135, v39, v153, v135
	;; [unrolled: 1-line block ×12, first 2 shown]
	v_mul_u32_u24_e32 v97, 0x10001, v188
	v_mul_u32_u24_e32 v94, 0x10001, v94
	;; [unrolled: 1-line block ×6, first 2 shown]
	v_dual_lshrrev_b32 v197, 16, v86 :: v_dual_lshrrev_b32 v198, 16, v87
	v_and_b32_e32 v85, 0xffff, v85
	v_and_b32_e32 v86, 0xffff, v86
	;; [unrolled: 1-line block ×3, first 2 shown]
	v_dual_lshrrev_b32 v199, 16, v80 :: v_dual_lshrrev_b32 v200, 16, v81
	v_and_b32_e32 v80, 0xffff, v80
	v_mul_u32_u24_e32 v160, 0x10001, v191
	v_mul_u32_u24_e32 v89, 0x10001, v89
	;; [unrolled: 1-line block ×8, first 2 shown]
	v_pk_fma_f16 v101, v32, v97, v101
	v_pk_fma_f16 v155, v32, v94, v155
	v_pk_fma_f16 v154, v32, v150, v154
	v_pk_fma_f16 v152, v32, v95, v152
	v_pk_fma_f16 v32, v32, v159, v36
	v_pk_fma_f16 v36, v33, v97, v134
	v_pk_fma_f16 v94, v33, v94, v98
	v_pk_fma_f16 v97, v33, v150, v135
	v_pk_fma_f16 v95, v33, v95, v99
	v_pk_fma_f16 v33, v33, v159, v37
	v_pk_fma_f16 v37, v34, v88, v148
	v_dual_lshrrev_b32 v201, 16, v82 :: v_dual_lshrrev_b32 v202, 16, v83
	v_and_b32_e32 v81, 0xffff, v81
	v_and_b32_e32 v82, 0xffff, v82
	v_and_b32_e32 v83, 0xffff, v83
	v_dual_lshrrev_b32 v203, 16, v76 :: v_dual_lshrrev_b32 v204, 16, v77
	v_and_b32_e32 v76, 0xffff, v76
	v_mul_u32_u24_e32 v164, 0x10001, v195
	v_mul_u32_u24_e32 v85, 0x10001, v85
	v_mul_u32_u24_e32 v165, 0x10001, v196
	v_mul_u32_u24_e32 v86, 0x10001, v86
	v_mul_u32_u24_e32 v171, 0x10001, v197
	v_mul_u32_u24_e32 v87, 0x10001, v87
	v_mul_u32_u24_e32 v172, 0x10001, v198
	v_mul_u32_u24_e32 v80, 0x10001, v80
	v_pk_fma_f16 v96, v34, v160, v96
	v_pk_fma_f16 v98, v34, v89, v125
	v_pk_fma_f16 v99, v34, v161, v101
	v_pk_fma_f16 v101, v34, v90, v155
	v_pk_fma_f16 v125, v34, v162, v154
	v_pk_fma_f16 v134, v34, v91, v152
	v_pk_fma_f16 v32, v34, v163, v32
	v_pk_fma_f16 v34, v35, v88, v92
	v_pk_fma_f16 v88, v35, v160, v100
	v_pk_fma_f16 v89, v35, v89, v93
	v_pk_fma_f16 v36, v35, v161, v36
	v_pk_fma_f16 v90, v35, v90, v94
	v_pk_fma_f16 v92, v35, v162, v97
	v_pk_fma_f16 v91, v35, v91, v95
	v_pk_fma_f16 v33, v35, v163, v33
	v_pk_fma_f16 v35, v28, v84, v37
	v_dual_lshrrev_b32 v205, 16, v78 :: v_dual_lshrrev_b32 v206, 16, v79
	v_and_b32_e32 v77, 0xffff, v77
	v_and_b32_e32 v78, 0xffff, v78
	v_and_b32_e32 v79, 0xffff, v79
	v_dual_lshrrev_b32 v207, 16, v72 :: v_dual_lshrrev_b32 v208, 16, v73
	v_and_b32_e32 v72, 0xffff, v72
	v_mul_u32_u24_e32 v176, 0x10001, v199
	v_mul_u32_u24_e32 v81, 0x10001, v81
	v_mul_u32_u24_e32 v177, 0x10001, v200
	v_mul_u32_u24_e32 v82, 0x10001, v82
	v_mul_u32_u24_e32 v179, 0x10001, v201
	v_mul_u32_u24_e32 v83, 0x10001, v83
	v_mul_u32_u24_e32 v180, 0x10001, v202
	v_mul_u32_u24_e32 v76, 0x10001, v76
	v_pk_fma_f16 v37, v28, v164, v96
	v_pk_fma_f16 v93, v28, v85, v98
	v_pk_fma_f16 v94, v28, v165, v99
	v_pk_fma_f16 v95, v28, v86, v101
	v_pk_fma_f16 v96, v28, v171, v125
	;; [unrolled: 30-line block ×5, first 2 shown]
	v_pk_fma_f16 v79, v26, v75, v85
	v_pk_fma_f16 v24, v26, v189, v24
	;; [unrolled: 1-line block ×11, first 2 shown]
	v_dual_lshrrev_b32 v221, 16, v62 :: v_dual_lshrrev_b32 v222, 16, v63
	v_and_b32_e32 v61, 0xffff, v61
	v_and_b32_e32 v62, 0xffff, v62
	;; [unrolled: 1-line block ×3, first 2 shown]
	v_mul_u32_u24_e32 v194, 0x10001, v215
	v_mul_u32_u24_e32 v65, 0x10001, v65
	;; [unrolled: 1-line block ×8, first 2 shown]
	v_pk_fma_f16 v29, v20, v190, v31
	v_pk_fma_f16 v31, v20, v69, v33
	;; [unrolled: 1-line block ×16, first 2 shown]
	v_dual_lshrrev_b32 v231, 16, v56 :: v_dual_lshrrev_b32 v232, 16, v57
	v_and_b32_e32 v56, 0xffff, v56
	v_mul_u32_u24_e32 v198, 0x10001, v219
	v_mul_u32_u24_e32 v61, 0x10001, v61
	;; [unrolled: 1-line block ×8, first 2 shown]
	v_pk_fma_f16 v27, v22, v194, v29
	v_pk_fma_f16 v29, v22, v65, v31
	;; [unrolled: 1-line block ×16, first 2 shown]
	v_dual_lshrrev_b32 v233, 16, v58 :: v_dual_lshrrev_b32 v234, 16, v59
	v_and_b32_e32 v57, 0xffff, v57
	v_and_b32_e32 v58, 0xffff, v58
	;; [unrolled: 1-line block ×3, first 2 shown]
	v_mul_u32_u24_e32 v203, 0x10001, v223
	v_mul_u32_u24_e32 v204, 0x10001, v228
	;; [unrolled: 1-line block ×8, first 2 shown]
	v_pk_fma_f16 v25, v16, v198, v27
	v_pk_fma_f16 v27, v16, v61, v29
	;; [unrolled: 1-line block ×16, first 2 shown]
	v_dual_lshrrev_b32 v38, 16, v44 :: v_dual_lshrrev_b32 v102, 16, v46
	v_and_b32_e32 v44, 0xffff, v44
	v_mul_u32_u24_e32 v210, 0x10001, v231
	v_mul_u32_u24_e32 v57, 0x10001, v57
	;; [unrolled: 1-line block ×8, first 2 shown]
	v_pk_fma_f16 v23, v18, v203, v25
	v_pk_fma_f16 v25, v18, v204, v27
	;; [unrolled: 1-line block ×16, first 2 shown]
	v_dual_lshrrev_b32 v39, 16, v45 :: v_dual_lshrrev_b32 v103, 16, v47
	v_lshrrev_b32_e32 v156, 16, v41
	v_and_b32_e32 v45, 0xffff, v45
	v_and_b32_e32 v46, 0xffff, v46
	;; [unrolled: 1-line block ×3, first 2 shown]
	v_lshrrev_b32_e32 v153, 16, v40
	v_and_b32_e32 v40, 0xffff, v40
	v_mul_u32_u24_e32 v215, 0x10001, v235
	v_mul_u32_u24_e32 v216, 0x10001, v240
	;; [unrolled: 1-line block ×8, first 2 shown]
	v_pk_fma_f16 v21, v12, v210, v23
	v_pk_fma_f16 v23, v12, v57, v25
	v_pk_fma_f16 v25, v12, v211, v27
	v_pk_fma_f16 v27, v12, v58, v29
	v_pk_fma_f16 v29, v12, v212, v31
	v_pk_fma_f16 v31, v12, v59, v33
	v_pk_fma_f16 v12, v12, v213, v16
	v_pk_fma_f16 v16, v13, v56, v18
	v_pk_fma_f16 v18, v13, v210, v20
	v_pk_fma_f16 v20, v13, v57, v22
	v_pk_fma_f16 v22, v13, v211, v24
	v_pk_fma_f16 v24, v13, v58, v26
	v_pk_fma_f16 v26, v13, v212, v28
	v_pk_fma_f16 v28, v13, v59, v30
	v_pk_fma_f16 v13, v13, v213, v17
	v_pk_fma_f16 v17, v14, v214, v19
	v_mul_u32_u24_e32 v38, 0x10001, v38
	v_mul_u32_u24_e32 v45, 0x10001, v45
	;; [unrolled: 1-line block ×8, first 2 shown]
	v_pk_fma_f16 v19, v14, v215, v21
	v_pk_fma_f16 v21, v14, v216, v23
	;; [unrolled: 1-line block ×32, first 2 shown]
	s_wait_dscnt 0x0
	s_barrier_signal -1
	s_barrier_wait -1
	ds_load_b128 v[12:15], v146 offset:256
	v_dual_lshrrev_b32 v157, 16, v42 :: v_dual_lshrrev_b32 v158, 16, v43
	v_and_b32_e32 v41, 0xffff, v41
	v_and_b32_e32 v42, 0xffff, v42
	;; [unrolled: 1-line block ×3, first 2 shown]
	v_mul_u32_u24_e32 v153, 0x10001, v153
	v_mul_u32_u24_e32 v156, 0x10001, v156
	;; [unrolled: 1-line block ×7, first 2 shown]
	v_pk_fma_f16 v30, v10, v153, v17
	v_pk_fma_f16 v31, v10, v41, v19
	;; [unrolled: 1-line block ×15, first 2 shown]
	ds_load_2addr_b64 v[8:11], v175 offset1:24
	ds_load_b128 v[16:19], v146 offset:272
	ds_load_b128 v[20:23], v146 offset:288
	ds_load_b128 v[24:27], v146 offset:304
	s_wait_dscnt 0x4
	v_dual_lshrrev_b32 v44, 16, v12 :: v_dual_lshrrev_b32 v45, 16, v13
	v_and_b32_e32 v12, 0xffff, v12
	v_dual_lshrrev_b32 v46, 16, v14 :: v_dual_lshrrev_b32 v47, 16, v15
	v_and_b32_e32 v13, 0xffff, v13
	v_and_b32_e32 v14, 0xffff, v14
	;; [unrolled: 1-line block ×3, first 2 shown]
	v_mul_u32_u24_e32 v12, 0x10001, v12
	v_mul_u32_u24_e32 v44, 0x10001, v44
	;; [unrolled: 1-line block ×8, first 2 shown]
	s_wait_dscnt 0x3
	v_pk_fma_f16 v29, v8, v12, v29
	v_pk_fma_f16 v30, v8, v44, v30
	;; [unrolled: 1-line block ×15, first 2 shown]
	s_wait_dscnt 0x2
	v_dual_lshrrev_b32 v15, 16, v16 :: v_dual_lshrrev_b32 v39, 16, v17
	v_and_b32_e32 v16, 0xffff, v16
	v_dual_lshrrev_b32 v40, 16, v18 :: v_dual_lshrrev_b32 v41, 16, v19
	v_and_b32_e32 v17, 0xffff, v17
	v_and_b32_e32 v18, 0xffff, v18
	;; [unrolled: 1-line block ×3, first 2 shown]
	v_mul_u32_u24_e32 v16, 0x10001, v16
	v_mul_u32_u24_e32 v15, 0x10001, v15
	;; [unrolled: 1-line block ×8, first 2 shown]
	v_pk_fma_f16 v29, v10, v16, v29
	v_pk_fma_f16 v30, v10, v15, v30
	;; [unrolled: 1-line block ×12, first 2 shown]
	ds_load_2addr_b64 v[12:15], v175 offset0:48 offset1:72
	v_pk_fma_f16 v9, v9, v47, v43
	v_pk_fma_f16 v28, v11, v39, v36
	;; [unrolled: 1-line block ×4, first 2 shown]
	s_wait_dscnt 0x2
	v_lshrrev_b32_e32 v37, 16, v21
	v_pk_fma_f16 v9, v11, v41, v9
	v_lshrrev_b32_e32 v11, 16, v20
	v_and_b32_e32 v20, 0xffff, v20
	v_dual_lshrrev_b32 v38, 16, v22 :: v_dual_lshrrev_b32 v39, 16, v23
	v_and_b32_e32 v21, 0xffff, v21
	v_and_b32_e32 v22, 0xffff, v22
	;; [unrolled: 1-line block ×3, first 2 shown]
	v_mul_u32_u24_e32 v20, 0x10001, v20
	v_mul_u32_u24_e32 v11, 0x10001, v11
	;; [unrolled: 1-line block ×8, first 2 shown]
	s_wait_dscnt 0x0
	v_pk_fma_f16 v29, v12, v20, v29
	v_pk_fma_f16 v30, v12, v11, v30
	;; [unrolled: 1-line block ×16, first 2 shown]
	v_dual_lshrrev_b32 v8, 16, v24 :: v_dual_lshrrev_b32 v10, 16, v25
	v_and_b32_e32 v9, 0xffff, v24
	v_dual_lshrrev_b32 v11, 16, v26 :: v_dual_lshrrev_b32 v19, 16, v27
	v_and_b32_e32 v24, 0xffff, v25
	v_pk_fma_f32 v[104:105], v[104:105], v[54:55], v[132:133]
	s_delay_alu instid0(VALU_DEP_4)
	v_mul_u32_u24_e32 v25, 0x10001, v9
	v_and_b32_e32 v9, 0xffff, v26
	v_mul_u32_u24_e32 v26, 0x10001, v8
	v_and_b32_e32 v8, 0xffff, v27
	v_mul_u32_u24_e32 v27, 0x10001, v10
	v_mul_u32_u24_e32 v36, 0x10001, v11
	;; [unrolled: 1-line block ×5, first 2 shown]
	ds_load_b128 v[8:11], v146 offset:320
	v_mul_u32_u24_e32 v38, 0x10001, v19
	v_pk_fma_f16 v29, v14, v25, v29
	v_pk_fma_f16 v30, v14, v26, v30
	;; [unrolled: 1-line block ×14, first 2 shown]
	ds_load_2addr_b64 v[16:19], v175 offset0:96 offset1:120
	v_pk_fma_f16 v23, v15, v37, v23
	v_pk_fma_f16 v27, v15, v38, v13
	ds_load_b128 v[12:15], v146 offset:336
	s_wait_dscnt 0x2
	v_dual_lshrrev_b32 v28, 16, v8 :: v_dual_lshrrev_b32 v36, 16, v9
	v_and_b32_e32 v8, 0xffff, v8
	v_and_b32_e32 v9, 0xffff, v9
	v_dual_lshrrev_b32 v37, 16, v10 :: v_dual_lshrrev_b32 v38, 16, v11
	v_and_b32_e32 v10, 0xffff, v10
	s_delay_alu instid0(VALU_DEP_4)
	v_mul_u32_u24_e32 v8, 0x10001, v8
	v_and_b32_e32 v11, 0xffff, v11
	v_mul_u32_u24_e32 v9, 0x10001, v9
	v_mul_u32_u24_e32 v28, 0x10001, v28
	;; [unrolled: 1-line block ×7, first 2 shown]
	s_wait_dscnt 0x1
	v_pk_fma_f16 v29, v16, v8, v29
	v_pk_fma_f16 v31, v16, v9, v31
	;; [unrolled: 1-line block ×4, first 2 shown]
	s_wait_dscnt 0x0
	v_lshrrev_b32_e32 v8, 16, v12
	v_and_b32_e32 v9, 0xffff, v12
	v_pk_fma_f16 v33, v16, v10, v33
	v_pk_fma_f16 v35, v16, v11, v35
	;; [unrolled: 1-line block ×8, first 2 shown]
	v_dual_lshrrev_b32 v10, 16, v13 :: v_dual_lshrrev_b32 v11, 16, v14
	v_lshrrev_b32_e32 v12, 16, v15
	v_mul_u32_u24_e32 v27, 0x10001, v9
	v_and_b32_e32 v9, 0xffff, v14
	v_mul_u32_u24_e32 v14, 0x10001, v8
	v_and_b32_e32 v8, 0xffff, v15
	v_pk_fma_f16 v30, v16, v28, v30
	v_pk_fma_f16 v32, v16, v36, v32
	;; [unrolled: 1-line block ×3, first 2 shown]
	v_and_b32_e32 v13, 0xffff, v13
	v_mul_u32_u24_e32 v15, 0x10001, v10
	v_mul_u32_u24_e32 v28, 0x10001, v9
	v_mul_u32_u24_e32 v36, 0x10001, v11
	v_mul_u32_u24_e32 v37, 0x10001, v8
	ds_load_b128 v[8:11], v146 offset:352
	v_pk_fma_f16 v16, v16, v38, v39
	v_mul_u32_u24_e32 v13, 0x10001, v13
	v_mul_u32_u24_e32 v38, 0x10001, v12
	v_pk_fma_f16 v29, v18, v27, v29
	v_pk_fma_f16 v30, v18, v14, v30
	;; [unrolled: 1-line block ×14, first 2 shown]
	ds_load_2addr_b64 v[12:15], v175 offset0:144 offset1:168
	v_pk_fma_f16 v23, v19, v37, v23
	v_pk_fma_f16 v27, v19, v38, v17
	ds_load_b128 v[16:19], v146 offset:368
	s_wait_dscnt 0x2
	v_dual_lshrrev_b32 v28, 16, v8 :: v_dual_lshrrev_b32 v36, 16, v9
	v_and_b32_e32 v8, 0xffff, v8
	v_and_b32_e32 v9, 0xffff, v9
	v_dual_lshrrev_b32 v37, 16, v10 :: v_dual_lshrrev_b32 v38, 16, v11
	v_and_b32_e32 v10, 0xffff, v10
	s_delay_alu instid0(VALU_DEP_4)
	v_mul_u32_u24_e32 v8, 0x10001, v8
	v_and_b32_e32 v11, 0xffff, v11
	v_mul_u32_u24_e32 v9, 0x10001, v9
	v_mul_u32_u24_e32 v28, 0x10001, v28
	;; [unrolled: 1-line block ×7, first 2 shown]
	s_wait_dscnt 0x1
	v_pk_fma_f16 v29, v12, v8, v29
	v_pk_fma_f16 v31, v12, v9, v31
	;; [unrolled: 1-line block ×4, first 2 shown]
	s_wait_dscnt 0x0
	v_lshrrev_b32_e32 v8, 16, v16
	v_and_b32_e32 v9, 0xffff, v16
	v_pk_fma_f16 v33, v12, v10, v33
	v_pk_fma_f16 v35, v12, v11, v35
	;; [unrolled: 1-line block ×8, first 2 shown]
	v_dual_lshrrev_b32 v10, 16, v17 :: v_dual_lshrrev_b32 v11, 16, v18
	v_lshrrev_b32_e32 v16, 16, v19
	v_mul_u32_u24_e32 v27, 0x10001, v9
	v_and_b32_e32 v9, 0xffff, v18
	v_mul_u32_u24_e32 v18, 0x10001, v8
	v_and_b32_e32 v8, 0xffff, v19
	v_pk_fma_f16 v30, v12, v28, v30
	v_pk_fma_f16 v32, v12, v36, v32
	;; [unrolled: 1-line block ×3, first 2 shown]
	v_and_b32_e32 v17, 0xffff, v17
	v_mul_u32_u24_e32 v19, 0x10001, v10
	v_mul_u32_u24_e32 v28, 0x10001, v9
	;; [unrolled: 1-line block ×4, first 2 shown]
	ds_load_b128 v[8:11], v146 offset:384
	v_pk_fma_f16 v12, v12, v38, v39
	v_mul_u32_u24_e32 v17, 0x10001, v17
	v_mul_u32_u24_e32 v38, 0x10001, v16
	v_pk_fma_f16 v29, v14, v27, v29
	v_pk_fma_f16 v30, v14, v18, v30
	;; [unrolled: 1-line block ×14, first 2 shown]
	ds_load_2addr_b64 v[16:19], v175 offset0:192 offset1:216
	v_pk_fma_f16 v23, v15, v37, v23
	v_pk_fma_f16 v27, v15, v38, v13
	ds_load_b128 v[12:15], v146 offset:400
	s_wait_dscnt 0x2
	v_dual_lshrrev_b32 v28, 16, v8 :: v_dual_lshrrev_b32 v36, 16, v9
	v_and_b32_e32 v8, 0xffff, v8
	v_and_b32_e32 v9, 0xffff, v9
	v_dual_lshrrev_b32 v37, 16, v10 :: v_dual_lshrrev_b32 v38, 16, v11
	v_and_b32_e32 v10, 0xffff, v10
	s_delay_alu instid0(VALU_DEP_4)
	v_mul_u32_u24_e32 v8, 0x10001, v8
	v_and_b32_e32 v11, 0xffff, v11
	v_mul_u32_u24_e32 v9, 0x10001, v9
	v_mul_u32_u24_e32 v28, 0x10001, v28
	;; [unrolled: 1-line block ×7, first 2 shown]
	s_wait_dscnt 0x1
	v_pk_fma_f16 v29, v16, v8, v29
	v_pk_fma_f16 v31, v16, v9, v31
	;; [unrolled: 1-line block ×4, first 2 shown]
	s_wait_dscnt 0x0
	v_lshrrev_b32_e32 v8, 16, v12
	v_and_b32_e32 v9, 0xffff, v12
	v_pk_fma_f16 v33, v16, v10, v33
	v_pk_fma_f16 v35, v16, v11, v35
	;; [unrolled: 1-line block ×8, first 2 shown]
	v_dual_lshrrev_b32 v10, 16, v13 :: v_dual_lshrrev_b32 v11, 16, v14
	v_lshrrev_b32_e32 v12, 16, v15
	v_mul_u32_u24_e32 v27, 0x10001, v9
	v_and_b32_e32 v9, 0xffff, v14
	v_mul_u32_u24_e32 v14, 0x10001, v8
	v_and_b32_e32 v8, 0xffff, v15
	v_pk_fma_f16 v30, v16, v28, v30
	v_pk_fma_f16 v32, v16, v36, v32
	;; [unrolled: 1-line block ×3, first 2 shown]
	v_and_b32_e32 v13, 0xffff, v13
	v_mul_u32_u24_e32 v15, 0x10001, v10
	v_mul_u32_u24_e32 v28, 0x10001, v9
	;; [unrolled: 1-line block ×4, first 2 shown]
	ds_load_b128 v[8:11], v146 offset:416
	v_pk_fma_f16 v16, v16, v38, v39
	v_mul_u32_u24_e32 v13, 0x10001, v13
	v_mul_u32_u24_e32 v38, 0x10001, v12
	v_pk_fma_f16 v29, v18, v27, v29
	v_pk_fma_f16 v30, v18, v14, v30
	;; [unrolled: 1-line block ×14, first 2 shown]
	ds_load_2addr_b64 v[12:15], v174 offset0:112 offset1:136
	v_pk_fma_f16 v23, v19, v37, v23
	v_pk_fma_f16 v27, v19, v38, v17
	ds_load_b128 v[16:19], v146 offset:432
	s_wait_dscnt 0x2
	v_dual_lshrrev_b32 v28, 16, v8 :: v_dual_lshrrev_b32 v36, 16, v9
	v_and_b32_e32 v8, 0xffff, v8
	v_and_b32_e32 v9, 0xffff, v9
	v_dual_lshrrev_b32 v37, 16, v10 :: v_dual_lshrrev_b32 v38, 16, v11
	v_and_b32_e32 v10, 0xffff, v10
	s_delay_alu instid0(VALU_DEP_4)
	v_mul_u32_u24_e32 v8, 0x10001, v8
	v_and_b32_e32 v11, 0xffff, v11
	v_mul_u32_u24_e32 v9, 0x10001, v9
	v_mul_u32_u24_e32 v28, 0x10001, v28
	;; [unrolled: 1-line block ×7, first 2 shown]
	s_wait_dscnt 0x1
	v_pk_fma_f16 v29, v12, v8, v29
	v_pk_fma_f16 v31, v12, v9, v31
	;; [unrolled: 1-line block ×4, first 2 shown]
	s_wait_dscnt 0x0
	v_lshrrev_b32_e32 v8, 16, v16
	v_and_b32_e32 v9, 0xffff, v16
	v_pk_fma_f16 v33, v12, v10, v33
	v_pk_fma_f16 v35, v12, v11, v35
	;; [unrolled: 1-line block ×8, first 2 shown]
	v_dual_lshrrev_b32 v10, 16, v17 :: v_dual_lshrrev_b32 v11, 16, v18
	v_lshrrev_b32_e32 v16, 16, v19
	v_mul_u32_u24_e32 v27, 0x10001, v9
	v_and_b32_e32 v9, 0xffff, v18
	v_mul_u32_u24_e32 v18, 0x10001, v8
	v_and_b32_e32 v8, 0xffff, v19
	v_pk_fma_f16 v30, v12, v28, v30
	v_pk_fma_f16 v32, v12, v36, v32
	;; [unrolled: 1-line block ×3, first 2 shown]
	v_and_b32_e32 v17, 0xffff, v17
	v_mul_u32_u24_e32 v19, 0x10001, v10
	v_mul_u32_u24_e32 v28, 0x10001, v9
	;; [unrolled: 1-line block ×4, first 2 shown]
	ds_load_b128 v[8:11], v146 offset:448
	v_pk_fma_f16 v12, v12, v38, v39
	v_mul_u32_u24_e32 v17, 0x10001, v17
	v_mul_u32_u24_e32 v38, 0x10001, v16
	v_pk_fma_f16 v29, v14, v27, v29
	v_pk_fma_f16 v30, v14, v18, v30
	v_pk_fma_f16 v32, v14, v19, v32
	v_pk_fma_f16 v31, v14, v17, v31
	v_pk_fma_f16 v33, v14, v28, v33
	v_pk_fma_f16 v34, v14, v36, v34
	v_pk_fma_f16 v35, v14, v37, v35
	v_pk_fma_f16 v39, v14, v38, v12
	v_pk_fma_f16 v20, v15, v27, v20
	v_pk_fma_f16 v25, v15, v18, v25
	v_pk_fma_f16 v24, v15, v17, v24
	v_pk_fma_f16 v21, v15, v19, v21
	v_pk_fma_f16 v26, v15, v28, v26
	v_pk_fma_f16 v22, v15, v36, v22
	ds_load_2addr_b64 v[16:19], v173 offset0:32 offset1:56
	v_pk_fma_f16 v23, v15, v37, v23
	v_pk_fma_f16 v27, v15, v38, v13
	ds_load_b128 v[12:15], v146 offset:464
	s_wait_dscnt 0x2
	v_dual_lshrrev_b32 v28, 16, v8 :: v_dual_lshrrev_b32 v36, 16, v9
	v_and_b32_e32 v8, 0xffff, v8
	v_and_b32_e32 v9, 0xffff, v9
	v_dual_lshrrev_b32 v37, 16, v10 :: v_dual_lshrrev_b32 v38, 16, v11
	v_and_b32_e32 v10, 0xffff, v10
	s_delay_alu instid0(VALU_DEP_4)
	v_mul_u32_u24_e32 v8, 0x10001, v8
	v_and_b32_e32 v11, 0xffff, v11
	v_mul_u32_u24_e32 v9, 0x10001, v9
	v_mul_u32_u24_e32 v28, 0x10001, v28
	;; [unrolled: 1-line block ×7, first 2 shown]
	s_wait_dscnt 0x1
	v_pk_fma_f16 v29, v16, v8, v29
	v_pk_fma_f16 v31, v16, v9, v31
	;; [unrolled: 1-line block ×4, first 2 shown]
	s_wait_dscnt 0x0
	v_lshrrev_b32_e32 v8, 16, v12
	v_and_b32_e32 v9, 0xffff, v12
	v_pk_fma_f16 v33, v16, v10, v33
	v_pk_fma_f16 v35, v16, v11, v35
	v_pk_fma_f16 v25, v17, v28, v25
	v_pk_fma_f16 v21, v17, v36, v21
	v_pk_fma_f16 v26, v17, v10, v26
	v_pk_fma_f16 v22, v17, v37, v22
	v_pk_fma_f16 v23, v17, v11, v23
	v_pk_fma_f16 v17, v17, v38, v27
	v_dual_lshrrev_b32 v10, 16, v13 :: v_dual_lshrrev_b32 v11, 16, v14
	v_lshrrev_b32_e32 v12, 16, v15
	v_mul_u32_u24_e32 v27, 0x10001, v9
	v_and_b32_e32 v9, 0xffff, v14
	v_mul_u32_u24_e32 v14, 0x10001, v8
	v_and_b32_e32 v8, 0xffff, v15
	v_pk_fma_f16 v30, v16, v28, v30
	v_pk_fma_f16 v32, v16, v36, v32
	;; [unrolled: 1-line block ×3, first 2 shown]
	v_and_b32_e32 v13, 0xffff, v13
	v_mul_u32_u24_e32 v15, 0x10001, v10
	v_mul_u32_u24_e32 v28, 0x10001, v9
	;; [unrolled: 1-line block ×4, first 2 shown]
	ds_load_b128 v[8:11], v146 offset:480
	v_pk_fma_f16 v16, v16, v38, v39
	v_mul_u32_u24_e32 v13, 0x10001, v13
	v_mul_u32_u24_e32 v38, 0x10001, v12
	v_pk_fma_f16 v29, v18, v27, v29
	v_pk_fma_f16 v30, v18, v14, v30
	;; [unrolled: 1-line block ×14, first 2 shown]
	ds_load_2addr_b64 v[12:15], v173 offset0:80 offset1:104
	v_pk_fma_f16 v23, v19, v37, v23
	v_pk_fma_f16 v27, v19, v38, v17
	ds_load_b128 v[16:19], v146 offset:496
	s_wait_dscnt 0x0
	s_barrier_signal -1
	s_barrier_wait -1
	s_load_b32 s6, s[50:51], 0x4
	v_dual_lshrrev_b32 v28, 16, v8 :: v_dual_lshrrev_b32 v36, 16, v9
	v_and_b32_e32 v8, 0xffff, v8
	v_dual_lshrrev_b32 v37, 16, v10 :: v_dual_lshrrev_b32 v38, 16, v11
	v_and_b32_e32 v9, 0xffff, v9
	v_and_b32_e32 v10, 0xffff, v10
	;; [unrolled: 1-line block ×3, first 2 shown]
	v_mul_u32_u24_e32 v8, 0x10001, v8
	v_mul_u32_u24_e32 v28, 0x10001, v28
	;; [unrolled: 1-line block ×8, first 2 shown]
	v_pk_fma_f16 v29, v12, v8, v29
	v_pk_fma_f16 v31, v12, v9, v31
	;; [unrolled: 1-line block ×9, first 2 shown]
	v_dual_lshrrev_b32 v23, 16, v16 :: v_dual_lshrrev_b32 v24, 16, v17
	v_and_b32_e32 v16, 0xffff, v16
	v_and_b32_e32 v17, 0xffff, v17
	v_dual_lshrrev_b32 v25, 16, v18 :: v_dual_lshrrev_b32 v26, 16, v19
	v_and_b32_e32 v18, 0xffff, v18
	v_and_b32_e32 v19, 0xffff, v19
	v_pk_fma_f16 v30, v12, v28, v30
	v_pk_fma_f16 v32, v12, v36, v32
	;; [unrolled: 1-line block ×7, first 2 shown]
	v_mul_u32_u24_e32 v16, 0x10001, v16
	v_mul_u32_u24_e32 v23, 0x10001, v23
	v_mul_u32_u24_e32 v17, 0x10001, v17
	v_mul_u32_u24_e32 v24, 0x10001, v24
	v_mul_u32_u24_e32 v18, 0x10001, v18
	v_mul_u32_u24_e32 v25, 0x10001, v25
	v_mul_u32_u24_e32 v19, 0x10001, v19
	v_mul_u32_u24_e32 v26, 0x10001, v26
	s_wait_kmcnt 0x0
	s_lshl_b32 s6, s6, 5
	v_pk_fma_f32 v[106:107], v[106:107], v[52:53], v[130:131]
	v_pk_fma_f32 v[108:109], v[108:109], v[50:51], v[128:129]
	;; [unrolled: 1-line block ×3, first 2 shown]
	v_pk_fma_f16 v164, v14, v16, v29
	v_pk_fma_f16 v162, v14, v23, v30
	;; [unrolled: 1-line block ×16, first 2 shown]
	s_add_co_i32 s26, s6, s26
	s_delay_alu instid0(SALU_CYCLE_1)
	s_cmp_ge_i32 s26, s40
	s_cbranch_scc1 .LBB0_29
; %bb.28:                               ;   in Loop: Header=BB0_11 Depth=1
	v_dual_mov_b32 v8, v0 :: v_dual_mov_b32 v13, v1
	v_dual_mov_b32 v12, v2 :: v_dual_mov_b32 v11, v3
	;; [unrolled: 1-line block ×4, first 2 shown]
	s_branch .LBB0_11
.LBB0_29:
	v_mov_b32_e32 v8, v140
.LBB0_30:
	v_cmp_lt_i32_e32 vcc_lo, v166, v139
	s_cmp_lg_u64 s[24:25], 0
	s_cselect_b32 s3, -1, 0
	s_cmp_eq_u32 s33, 0
	v_cndmask_b32_e32 v9, v8, v166, vcc_lo
	v_cmp_lt_i32_e32 vcc_lo, v167, v139
	s_cselect_b32 s4, -1, 0
	s_delay_alu instid0(SALU_CYCLE_1) | instskip(NEXT) | instid1(VALU_DEP_2)
	s_and_b32 s3, s4, s3
	v_lshlrev_b32_e32 v9, 2, v9
	ds_bpermute_b32 v10, v9, v110
	ds_bpermute_b32 v11, v9, v111
	;; [unrolled: 1-line block ×8, first 2 shown]
	v_cndmask_b32_e32 v9, v8, v167, vcc_lo
	v_cmp_lt_i32_e32 vcc_lo, v168, v139
	s_delay_alu instid0(VALU_DEP_2)
	v_lshlrev_b32_e32 v9, 2, v9
	s_wait_dscnt 0x6
	v_pk_add_f32 v[10:11], v[110:111], v[10:11]
	s_wait_dscnt 0x4
	v_pk_add_f32 v[12:13], v[108:109], v[12:13]
	;; [unrolled: 2-line block ×3, first 2 shown]
	ds_bpermute_b32 v18, v9, v10
	s_wait_dscnt 0x1
	v_pk_add_f32 v[16:17], v[104:105], v[16:17]
	ds_bpermute_b32 v19, v9, v11
	ds_bpermute_b32 v20, v9, v12
	;; [unrolled: 1-line block ×7, first 2 shown]
	v_cndmask_b32_e32 v9, v8, v168, vcc_lo
	v_cmp_lt_i32_e32 vcc_lo, v169, v139
	s_delay_alu instid0(VALU_DEP_2)
	v_lshlrev_b32_e32 v9, 2, v9
	s_wait_dscnt 0x6
	v_pk_add_f32 v[10:11], v[10:11], v[18:19]
	s_wait_dscnt 0x4
	v_pk_add_f32 v[12:13], v[12:13], v[20:21]
	;; [unrolled: 2-line block ×3, first 2 shown]
	ds_bpermute_b32 v18, v9, v10
	s_wait_dscnt 0x1
	v_pk_add_f32 v[16:17], v[16:17], v[24:25]
	ds_bpermute_b32 v19, v9, v11
	ds_bpermute_b32 v20, v9, v12
	;; [unrolled: 1-line block ×7, first 2 shown]
	v_cndmask_b32_e32 v9, v8, v169, vcc_lo
	v_cmp_lt_i32_e32 vcc_lo, v170, v139
	s_delay_alu instid0(VALU_DEP_2) | instskip(SKIP_1) | instid1(VALU_DEP_1)
	v_dual_cndmask_b32 v8, v8, v170 :: v_dual_lshlrev_b32 v9, 2, v9
	s_and_b32 vcc_lo, exec_lo, s3
	v_lshlrev_b32_e32 v26, 2, v8
	s_wait_dscnt 0x6
	v_pk_add_f32 v[10:11], v[10:11], v[18:19]
	s_wait_dscnt 0x4
	v_pk_add_f32 v[12:13], v[12:13], v[20:21]
	;; [unrolled: 2-line block ×3, first 2 shown]
	ds_bpermute_b32 v18, v9, v10
	s_wait_dscnt 0x1
	v_pk_add_f32 v[16:17], v[16:17], v[24:25]
	ds_bpermute_b32 v19, v9, v11
	ds_bpermute_b32 v20, v9, v12
	;; [unrolled: 1-line block ×7, first 2 shown]
	s_wait_dscnt 0x6
	v_pk_add_f32 v[8:9], v[10:11], v[18:19]
	s_wait_dscnt 0x4
	v_pk_add_f32 v[10:11], v[12:13], v[20:21]
	;; [unrolled: 2-line block ×3, first 2 shown]
	ds_bpermute_b32 v12, v26, v8
	s_wait_dscnt 0x1
	v_pk_add_f32 v[16:17], v[16:17], v[24:25]
	ds_bpermute_b32 v13, v26, v9
	ds_bpermute_b32 v20, v26, v10
	;; [unrolled: 1-line block ×7, first 2 shown]
	s_wait_dscnt 0x6
	v_pk_add_f32 v[14:15], v[8:9], v[12:13]
	s_wait_dscnt 0x4
	v_pk_add_f32 v[12:13], v[10:11], v[20:21]
	;; [unrolled: 2-line block ×4, first 2 shown]
	s_cbranch_vccz .LBB0_32
; %bb.31:
	s_ashr_i32 s23, s22, 31
	v_dual_mov_b32 v16, 0 :: v_dual_max_num_f32 v17, v1, v1
	s_lshl_b64 s[4:5], s[22:23], 2
	v_dual_max_num_f32 v19, v3, v3 :: v_dual_max_num_f32 v20, v4, v4
	s_add_nc_u64 s[4:5], s[24:25], s[4:5]
	s_clause 0x1
	global_load_b128 v[24:27], v16, s[4:5]
	global_load_b128 v[28:31], v16, s[4:5] offset:16
	s_wait_xcnt 0x0
	v_dual_max_num_f32 v16, v0, v0 :: v_dual_max_num_f32 v18, v2, v2
	v_dual_max_num_f32 v23, v7, v7 :: v_dual_max_num_f32 v21, v5, v5
	s_wait_loadcnt 0x1
	v_dual_max_num_f32 v22, v6, v6 :: v_dual_max_num_f32 v32, v24, v24
	v_dual_max_num_f32 v33, v25, v25 :: v_dual_max_num_f32 v34, v26, v26
	s_wait_loadcnt 0x0
	v_dual_max_num_f32 v35, v27, v27 :: v_dual_max_num_f32 v36, v28, v28
	s_delay_alu instid0(VALU_DEP_3) | instskip(NEXT) | instid1(VALU_DEP_3)
	v_dual_max_num_f32 v39, v31, v31 :: v_dual_max_num_f32 v16, v16, v32
	v_dual_max_num_f32 v17, v17, v33 :: v_dual_max_num_f32 v18, v18, v34
	s_delay_alu instid0(VALU_DEP_3) | instskip(NEXT) | instid1(VALU_DEP_3)
	v_dual_max_num_f32 v19, v19, v35 :: v_dual_max_num_f32 v20, v20, v36
	v_dual_max_num_f32 v23, v23, v39 :: v_dual_sub_f32 v0, v0, v16
	v_dual_max_num_f32 v37, v29, v29 :: v_dual_max_num_f32 v38, v30, v30
	s_delay_alu instid0(VALU_DEP_4)
	v_dual_sub_f32 v24, v24, v16 :: v_dual_sub_f32 v1, v1, v17
	v_dual_sub_f32 v25, v25, v17 :: v_dual_sub_f32 v32, v2, v18
	;; [unrolled: 1-line block ×3, first 2 shown]
	v_dual_sub_f32 v31, v31, v23 :: v_dual_mul_f32 v2, 0x3fb8aa3b, v0
	v_dual_max_num_f32 v21, v21, v37 :: v_dual_max_num_f32 v22, v22, v38
	v_dual_sub_f32 v26, v26, v18 :: v_dual_sub_f32 v33, v3, v19
	v_dual_mul_f32 v3, 0x3fb8aa3b, v24 :: v_dual_mul_f32 v4, 0x3fb8aa3b, v1
	v_dual_mul_f32 v39, 0x3fb8aa3b, v27 :: v_dual_mul_f32 v40, 0x3fb8aa3b, v34
	v_fma_f32 v48, 0x3fb8aa3b, v0, -v2
	v_rndne_f32_e32 v49, v2
	v_dual_sub_f32 v28, v28, v20 :: v_dual_sub_f32 v35, v5, v21
	v_dual_sub_f32 v30, v30, v22 :: v_dual_sub_f32 v37, v7, v23
	v_mul_f32_e32 v5, 0x3fb8aa3b, v25
	v_dual_mul_f32 v7, 0x3fb8aa3b, v26 :: v_dual_mul_f32 v38, 0x3fb8aa3b, v33
	v_dual_mul_f32 v47, 0x3fb8aa3b, v31 :: v_dual_sub_f32 v2, v2, v49
	v_fma_f32 v50, 0x3fb8aa3b, v24, -v3
	v_rndne_f32_e32 v51, v3
	v_fma_f32 v52, 0x3fb8aa3b, v1, -v4
	v_rndne_f32_e32 v53, v4
	v_rndne_f32_e32 v65, v40
	s_delay_alu instid0(VALU_DEP_4)
	v_dual_fmac_f32 v48, 0x32a5705f, v0 :: v_dual_sub_f32 v3, v3, v51
	v_dual_sub_f32 v29, v29, v21 :: v_dual_sub_f32 v36, v6, v22
	v_mul_f32_e32 v6, 0x3fb8aa3b, v32
	v_rndne_f32_e32 v55, v5
	v_rndne_f32_e32 v59, v7
	v_fma_f32 v60, 0x3fb8aa3b, v33, -v38
	v_rndne_f32_e32 v61, v38
	v_rndne_f32_e32 v63, v39
	v_fma_f32 v64, 0x3fb8aa3b, v34, -v40
	v_fmac_f32_e32 v50, 0x32a5705f, v24
	v_fmac_f32_e32 v52, 0x32a5705f, v1
	v_sub_f32_e32 v4, v4, v53
	v_dual_sub_f32 v40, v40, v65 :: v_dual_add_f32 v2, v2, v48
	v_dual_mul_f32 v41, 0x3fb8aa3b, v28 :: v_dual_mul_f32 v42, 0x3fb8aa3b, v35
	v_fma_f32 v54, 0x3fb8aa3b, v25, -v5
	v_fma_f32 v58, 0x3fb8aa3b, v26, -v7
	;; [unrolled: 1-line block ×3, first 2 shown]
	v_sub_f32_e32 v5, v5, v55
	v_dual_sub_f32 v7, v7, v59 :: v_dual_fmac_f32 v60, 0x32a5705f, v33
	v_add_f32_e32 v3, v3, v50
	v_dual_sub_f32 v39, v39, v63 :: v_dual_sub_f32 v38, v38, v61
	v_add_f32_e32 v4, v4, v52
	v_exp_f32_e32 v2, v2
	v_cvt_i32_f32_e32 v49, v49
	v_dual_mul_f32 v43, 0x3fb8aa3b, v29 :: v_dual_mul_f32 v44, 0x3fb8aa3b, v36
	v_dual_mul_f32 v45, 0x3fb8aa3b, v30 :: v_dual_mul_f32 v46, 0x3fb8aa3b, v37
	v_fma_f32 v56, 0x3fb8aa3b, v32, -v6
	v_rndne_f32_e32 v57, v6
	v_rndne_f32_e32 v67, v41
	v_fmac_f32_e32 v54, 0x32a5705f, v25
	v_exp_f32_e32 v3, v3
	v_exp_f32_e32 v4, v4
	v_cvt_i32_f32_e32 v51, v51
	v_cvt_i32_f32_e32 v53, v53
	v_ldexp_f32 v2, v2, v49
	v_cmp_ngt_f32_e32 vcc_lo, 0xc2ce8ed0, v0
	v_fma_f32 v66, 0x3fb8aa3b, v28, -v41
	v_rndne_f32_e32 v71, v43
	v_rndne_f32_e32 v73, v44
	;; [unrolled: 1-line block ×3, first 2 shown]
	v_fmac_f32_e32 v56, 0x32a5705f, v32
	v_dual_sub_f32 v6, v6, v57 :: v_dual_sub_f32 v41, v41, v67
	v_dual_fmac_f32 v62, 0x32a5705f, v27 :: v_dual_add_f32 v5, v5, v54
	v_ldexp_f32 v3, v3, v51
	v_ldexp_f32 v4, v4, v53
	v_cndmask_b32_e32 v2, 0, v2, vcc_lo
	v_cmp_ngt_f32_e32 vcc_lo, 0xc2ce8ed0, v24
	v_fma_f32 v70, 0x3fb8aa3b, v29, -v43
	v_fma_f32 v72, 0x3fb8aa3b, v36, -v44
	;; [unrolled: 1-line block ×3, first 2 shown]
	v_rndne_f32_e32 v79, v47
	v_dual_fmac_f32 v58, 0x32a5705f, v26 :: v_dual_sub_f32 v43, v43, v71
	v_dual_sub_f32 v45, v45, v75 :: v_dual_sub_f32 v44, v44, v73
	v_add_f32_e32 v6, v6, v56
	v_exp_f32_e32 v5, v5
	v_cvt_i32_f32_e32 v55, v55
	v_dual_fmac_f32 v64, 0x32a5705f, v34 :: v_dual_cndmask_b32 v3, 0, v3
	v_cmp_ngt_f32_e32 vcc_lo, 0xc2ce8ed0, v1
	v_fma_f32 v78, 0x3fb8aa3b, v31, -v47
	v_dual_sub_f32 v47, v47, v79 :: v_dual_fmac_f32 v66, 0x32a5705f, v28
	v_add_f32_e32 v7, v7, v58
	v_exp_f32_e32 v6, v6
	v_fma_f32 v68, 0x3fb8aa3b, v35, -v42
	v_rndne_f32_e32 v69, v42
	v_cvt_i32_f32_e32 v57, v57
	v_ldexp_f32 v5, v5, v55
	v_cndmask_b32_e32 v4, 0, v4, vcc_lo
	v_cmp_ngt_f32_e32 vcc_lo, 0xc2ce8ed0, v25
	v_add_f32_e32 v38, v38, v60
	v_exp_f32_e32 v7, v7
	v_fma_f32 v76, 0x3fb8aa3b, v37, -v46
	v_rndne_f32_e32 v77, v46
	v_cvt_i32_f32_e32 v59, v59
	v_dual_fmac_f32 v68, 0x32a5705f, v35 :: v_dual_add_f32 v39, v39, v62
	v_dual_sub_f32 v42, v42, v69 :: v_dual_add_f32 v40, v40, v64
	v_dual_fmac_f32 v70, 0x32a5705f, v29 :: v_dual_add_f32 v41, v41, v66
	v_dual_fmac_f32 v74, 0x32a5705f, v30 :: v_dual_cndmask_b32 v5, 0, v5
	v_ldexp_f32 v6, v6, v57
	v_cmp_ngt_f32_e32 vcc_lo, 0xc2ce8ed0, v32
	v_exp_f32_e32 v38, v38
	v_cvt_i32_f32_e32 v61, v61
	v_dual_fmac_f32 v72, 0x32a5705f, v36 :: v_dual_add_f32 v43, v43, v70
	v_dual_fmac_f32 v76, 0x32a5705f, v37 :: v_dual_add_f32 v45, v45, v74
	s_delay_alu instid0(VALU_DEP_2)
	v_dual_sub_f32 v46, v46, v77 :: v_dual_add_f32 v44, v44, v72
	v_dual_add_f32 v42, v42, v68 :: v_dual_cndmask_b32 v6, 0, v6, vcc_lo
	v_ldexp_f32 v7, v7, v59
	v_cmp_ngt_f32_e32 vcc_lo, 0xc2ce8ed0, v26
	v_exp_f32_e32 v39, v39
	v_cvt_i32_f32_e32 v63, v63
	v_add_f32_e32 v46, v46, v76
	v_ldexp_f32 v38, v38, v61
	v_cndmask_b32_e32 v7, 0, v7, vcc_lo
	v_cmp_ngt_f32_e32 vcc_lo, 0xc2ce8ed0, v33
	v_exp_f32_e32 v40, v40
	v_cvt_i32_f32_e32 v65, v65
	v_ldexp_f32 v39, v39, v63
	v_exp_f32_e32 v41, v41
	v_cndmask_b32_e32 v38, 0, v38, vcc_lo
	v_cmp_ngt_f32_e32 vcc_lo, 0xc2ce8ed0, v27
	v_exp_f32_e32 v42, v42
	v_cvt_i32_f32_e32 v67, v67
	v_cvt_i32_f32_e32 v69, v69
	v_ldexp_f32 v40, v40, v65
	v_cndmask_b32_e32 v39, 0, v39, vcc_lo
	v_cmp_ngt_f32_e32 vcc_lo, 0xc2ce8ed0, v34
	v_ldexp_f32 v41, v41, v67
	v_ldexp_f32 v42, v42, v69
	v_exp_f32_e32 v43, v43
	v_cvt_i32_f32_e32 v71, v71
	v_cndmask_b32_e32 v40, 0, v40, vcc_lo
	v_cmp_ngt_f32_e32 vcc_lo, 0xc2ce8ed0, v28
	v_fmac_f32_e32 v78, 0x32a5705f, v31
	v_exp_f32_e32 v44, v44
	v_cvt_i32_f32_e32 v73, v73
	v_ldexp_f32 v43, v43, v71
	v_cndmask_b32_e32 v41, 0, v41, vcc_lo
	v_cmp_ngt_f32_e32 vcc_lo, 0xc2ce8ed0, v35
	v_exp_f32_e32 v45, v45
	v_cvt_i32_f32_e32 v75, v75
	v_ldexp_f32 v44, v44, v73
	v_add_f32_e32 v47, v47, v78
	v_cndmask_b32_e32 v42, 0, v42, vcc_lo
	v_cmp_ngt_f32_e32 vcc_lo, 0xc2ce8ed0, v29
	v_exp_f32_e32 v46, v46
	v_cvt_i32_f32_e32 v77, v77
	v_ldexp_f32 v45, v45, v75
	v_exp_f32_e32 v47, v47
	v_cndmask_b32_e32 v43, 0, v43, vcc_lo
	v_cmp_ngt_f32_e32 vcc_lo, 0xc2ce8ed0, v36
	v_cvt_i32_f32_e32 v79, v79
	v_ldexp_f32 v46, v46, v77
	v_cndmask_b32_e32 v44, 0, v44, vcc_lo
	v_cmp_ngt_f32_e32 vcc_lo, 0xc2ce8ed0, v30
	s_delay_alu instid0(VALU_DEP_4)
	v_ldexp_f32 v47, v47, v79
	v_cndmask_b32_e32 v45, 0, v45, vcc_lo
	v_cmp_ngt_f32_e32 vcc_lo, 0xc2ce8ed0, v37
	v_cndmask_b32_e32 v46, 0, v46, vcc_lo
	v_cmp_ngt_f32_e32 vcc_lo, 0xc2ce8ed0, v31
	v_cndmask_b32_e32 v47, 0, v47, vcc_lo
	v_cmp_nlt_f32_e32 vcc_lo, 0x42b17218, v0
	v_cndmask_b32_e32 v0, 0x7f800000, v2, vcc_lo
	v_cmp_nlt_f32_e32 vcc_lo, 0x42b17218, v24
	;; [unrolled: 2-line block ×5, first 2 shown]
	v_cvt_f16_f32_e32 v32, v0
	s_delay_alu instid0(VALU_DEP_3) | instskip(SKIP_2) | instid1(VALU_DEP_4)
	v_pk_fma_f32 v[14:15], v[14:15], v[0:1], v[2:3]
	v_cndmask_b32_e32 v4, 0x7f800000, v6, vcc_lo
	v_cmp_nlt_f32_e32 vcc_lo, 0x42b17218, v26
	v_and_b32_e32 v0, 0xffff, v32
	v_cndmask_b32_e32 v6, 0x7f800000, v7, vcc_lo
	v_cmp_nlt_f32_e32 vcc_lo, 0x42b17218, v33
	v_cvt_f16_f32_e32 v33, v1
	s_delay_alu instid0(VALU_DEP_4) | instskip(SKIP_2) | instid1(VALU_DEP_4)
	v_mul_u32_u24_e32 v0, 0x10001, v0
	v_cndmask_b32_e32 v5, 0x7f800000, v38, vcc_lo
	v_cmp_nlt_f32_e32 vcc_lo, 0x42b17218, v27
	v_and_b32_e32 v1, 0xffff, v33
	s_delay_alu instid0(VALU_DEP_4)
	v_pk_mul_f16 v164, v164, v0
	v_pk_mul_f16 v165, v165, v0
	v_cndmask_b32_e32 v7, 0x7f800000, v39, vcc_lo
	v_cmp_nlt_f32_e32 vcc_lo, 0x42b17218, v34
	v_cvt_f16_f32_e32 v34, v4
	v_mul_u32_u24_e32 v1, 0x10001, v1
	s_delay_alu instid0(VALU_DEP_4)
	v_pk_fma_f32 v[12:13], v[12:13], v[4:5], v[6:7]
	v_cndmask_b32_e32 v24, 0x7f800000, v40, vcc_lo
	v_cmp_nlt_f32_e32 vcc_lo, 0x42b17218, v28
	v_and_b32_e32 v2, 0xffff, v34
	v_pk_mul_f16 v162, v162, v1
	v_pk_mul_f16 v163, v163, v1
	v_cndmask_b32_e32 v26, 0x7f800000, v41, vcc_lo
	v_cmp_nlt_f32_e32 vcc_lo, 0x42b17218, v35
	v_cvt_f16_f32_e32 v35, v5
	v_mul_u32_u24_e32 v2, 0x10001, v2
	v_cndmask_b32_e32 v25, 0x7f800000, v42, vcc_lo
	v_cmp_nlt_f32_e32 vcc_lo, 0x42b17218, v29
	s_delay_alu instid0(VALU_DEP_4) | instskip(NEXT) | instid1(VALU_DEP_4)
	v_and_b32_e32 v3, 0xffff, v35
	v_pk_mul_f16 v161, v161, v2
	v_pk_mul_f16 v160, v160, v2
	v_cndmask_b32_e32 v27, 0x7f800000, v43, vcc_lo
	v_cmp_nlt_f32_e32 vcc_lo, 0x42b17218, v36
	v_cvt_f16_f32_e32 v36, v24
	v_mul_u32_u24_e32 v3, 0x10001, v3
	s_delay_alu instid0(VALU_DEP_4)
	v_pk_fma_f32 v[10:11], v[10:11], v[24:25], v[26:27]
	v_cndmask_b32_e32 v28, 0x7f800000, v44, vcc_lo
	v_cmp_nlt_f32_e32 vcc_lo, 0x42b17218, v30
	v_and_b32_e32 v4, 0xffff, v36
	v_pk_mul_f16 v159, v159, v3
	v_pk_mul_f16 v158, v158, v3
	v_cvt_f16_f32_e32 v38, v28
	v_cndmask_b32_e32 v30, 0x7f800000, v45, vcc_lo
	v_cmp_nlt_f32_e32 vcc_lo, 0x42b17218, v37
	v_cvt_f16_f32_e32 v37, v25
	v_mul_u32_u24_e32 v4, 0x10001, v4
	v_and_b32_e32 v6, 0xffff, v38
	v_cndmask_b32_e32 v29, 0x7f800000, v46, vcc_lo
	s_delay_alu instid0(VALU_DEP_4) | instskip(SKIP_1) | instid1(VALU_DEP_4)
	v_and_b32_e32 v5, 0xffff, v37
	v_cmp_nlt_f32_e32 vcc_lo, 0x42b17218, v31
	v_mul_u32_u24_e32 v6, 0x10001, v6
	v_pk_mul_f16 v156, v156, v4
	v_cvt_f16_f32_e32 v39, v29
	v_mul_u32_u24_e32 v5, 0x10001, v5
	v_cndmask_b32_e32 v31, 0x7f800000, v47, vcc_lo
	v_pk_mul_f16 v157, v157, v4
	v_pk_mul_f16 v152, v152, v6
	v_and_b32_e32 v7, 0xffff, v39
	v_pk_mul_f16 v154, v154, v5
	v_pk_mul_f16 v155, v155, v5
	;; [unrolled: 1-line block ×3, first 2 shown]
	v_pk_fma_f32 v[8:9], v[8:9], v[28:29], v[30:31]
	v_mul_u32_u24_e32 v7, 0x10001, v7
	s_delay_alu instid0(VALU_DEP_1)
	v_pk_mul_f16 v150, v150, v7
	v_pk_mul_f16 v148, v148, v7
	v_mov_b64_e32 v[0:1], v[16:17]
	v_mov_b64_e32 v[2:3], v[18:19]
	;; [unrolled: 1-line block ×4, first 2 shown]
.LBB0_32:
	s_mov_b32 s3, exec_lo
	v_cmpx_gt_i32_e64 s38, v137
	s_cbranch_execz .LBB0_67
; %bb.33:
	s_load_b32 s0, s[0:1], 0xd4
	v_mov_b32_e32 v16, 1.0
	s_wait_kmcnt 0x0
	s_cmp_lg_u32 s0, 1
	s_cselect_b32 s1, -1, 0
	s_cmp_eq_u32 s0, 1
	s_cselect_b32 s3, -1, 0
	s_and_b32 vcc_lo, exec_lo, s1
	s_cbranch_vccnz .LBB0_35
; %bb.34:
	v_div_scale_f32 v16, null, v14, v14, 1.0
	s_delay_alu instid0(VALU_DEP_1) | instskip(SKIP_1) | instid1(TRANS32_DEP_1)
	v_rcp_f32_e32 v17, v16
	v_nop
	v_fma_f32 v18, -v16, v17, 1.0
	s_delay_alu instid0(VALU_DEP_1) | instskip(SKIP_1) | instid1(VALU_DEP_1)
	v_fmac_f32_e32 v17, v18, v17
	v_div_scale_f32 v18, vcc_lo, 1.0, v14, 1.0
	v_mul_f32_e32 v19, v18, v17
	s_delay_alu instid0(VALU_DEP_1) | instskip(NEXT) | instid1(VALU_DEP_1)
	v_fma_f32 v20, -v16, v19, v18
	v_fmac_f32_e32 v19, v20, v17
	s_delay_alu instid0(VALU_DEP_1) | instskip(NEXT) | instid1(VALU_DEP_1)
	v_fma_f32 v16, -v16, v19, v18
	v_div_fmas_f32 v16, v16, v17, v19
	s_delay_alu instid0(VALU_DEP_1)
	v_div_fixup_f32 v16, v16, v14, 1.0
.LBB0_35:
	v_mad_u32 v17, s34, s38, v137
	s_delay_alu instid0(VALU_DEP_1) | instskip(NEXT) | instid1(VALU_DEP_1)
	v_mad_u32 v17, v17, s39, s22
	v_mul_lo_u32 v17, s0, v17
	s_delay_alu instid0(VALU_DEP_1)
	v_add_nc_u32_e32 v18, s33, v17
	s_and_saveexec_b32 s4, s2
	s_cbranch_execz .LBB0_37
; %bb.36:
	s_delay_alu instid0(VALU_DEP_1) | instskip(SKIP_4) | instid1(VALU_DEP_4)
	v_mad_u32 v22, 0x60, v18, v121
	v_dual_lshrrev_b32 v19, 16, v164 :: v_dual_lshrrev_b32 v25, 16, v165
	v_mov_b32_e32 v23, 0
	v_cvt_f32_f16_e64 v20, v164
	v_cvt_f32_f16_e64 v24, v165
	v_cvt_f32_f16_e32 v21, v19
	v_cvt_f32_f16_e32 v25, v25
	s_delay_alu instid0(VALU_DEP_2) | instskip(SKIP_1) | instid1(VALU_DEP_3)
	v_pk_mul_f32 v[20:21], v[16:17], v[20:21] op_sel_hi:[0,1]
	v_lshl_add_u64 v[26:27], v[22:23], 2, s[28:29]
	v_pk_mul_f32 v[22:23], v[16:17], v[24:25] op_sel_hi:[0,1]
	global_store_b128 v[26:27], v[20:23], off
.LBB0_37:
	s_wait_xcnt 0x0
	s_or_b32 exec_lo, exec_lo, s4
	v_cmp_eq_u32_e32 vcc_lo, 0, v136
	s_and_b32 s1, vcc_lo, s1
	s_delay_alu instid0(SALU_CYCLE_1)
	s_and_saveexec_b32 s4, s1
	s_cbranch_execz .LBB0_39
; %bb.38:
	v_dual_mov_b32 v20, v0 :: v_dual_mov_b32 v21, v14
	global_store_b64 v18, v[20:21], s[30:31] scale_offset
.LBB0_39:
	s_wait_xcnt 0x0
	s_or_b32 exec_lo, exec_lo, s4
	v_cndmask_b32_e64 v16, 0, 1, s3
	v_mov_b32_e32 v0, 1.0
	s_and_not1_b32 vcc_lo, exec_lo, s3
	s_cbranch_vccz .LBB0_68
; %bb.40:
	v_add_nc_u32_e32 v17, s0, v17
	s_delay_alu instid0(VALU_DEP_1)
	v_add_nc_u32_e32 v18, s33, v17
	s_and_saveexec_b32 s3, s2
	s_cbranch_execnz .LBB0_69
.LBB0_41:
	s_or_b32 exec_lo, exec_lo, s3
	s_and_saveexec_b32 s3, s1
	s_cbranch_execz .LBB0_43
.LBB0_42:
	v_mov_b32_e32 v14, v1
	global_store_b64 v18, v[14:15], s[30:31] scale_offset
.LBB0_43:
	s_wait_xcnt 0x0
	s_or_b32 exec_lo, exec_lo, s3
	v_cmp_ne_u32_e32 vcc_lo, 1, v16
	v_mov_b32_e32 v0, 1.0
	s_cbranch_vccz .LBB0_70
; %bb.44:
	v_add_nc_u32_e32 v1, s0, v17
	s_delay_alu instid0(VALU_DEP_1)
	v_add_nc_u32_e32 v14, s33, v1
	s_and_saveexec_b32 s3, s2
	s_cbranch_execnz .LBB0_71
.LBB0_45:
	s_or_b32 exec_lo, exec_lo, s3
	s_and_saveexec_b32 s3, s1
	s_cbranch_execz .LBB0_47
.LBB0_46:
	v_dual_mov_b32 v18, v2 :: v_dual_mov_b32 v19, v12
	global_store_b64 v14, v[18:19], s[30:31] scale_offset
.LBB0_47:
	s_wait_xcnt 0x0
	s_or_b32 exec_lo, exec_lo, s3
	v_cmp_ne_u32_e32 vcc_lo, 1, v16
	v_mov_b32_e32 v0, 1.0
	s_cbranch_vccz .LBB0_72
; %bb.48:
	v_add_nc_u32_e32 v1, s0, v1
	s_delay_alu instid0(VALU_DEP_1)
	v_add_nc_u32_e32 v2, s33, v1
	s_and_saveexec_b32 s3, s2
	s_cbranch_execnz .LBB0_73
.LBB0_49:
	s_or_b32 exec_lo, exec_lo, s3
	s_and_saveexec_b32 s3, s1
	s_cbranch_execz .LBB0_51
.LBB0_50:
	v_mov_b32_e32 v12, v3
	global_store_b64 v2, v[12:13], s[30:31] scale_offset
.LBB0_51:
	s_wait_xcnt 0x0
	s_or_b32 exec_lo, exec_lo, s3
	v_cmp_ne_u32_e32 vcc_lo, 1, v16
	v_mov_b32_e32 v0, 1.0
	s_cbranch_vccz .LBB0_74
; %bb.52:
	v_add_nc_u32_e32 v1, s0, v1
	s_delay_alu instid0(VALU_DEP_1)
	v_add_nc_u32_e32 v2, s33, v1
	s_and_saveexec_b32 s3, s2
	s_cbranch_execnz .LBB0_75
.LBB0_53:
	s_or_b32 exec_lo, exec_lo, s3
	s_and_saveexec_b32 s3, s1
	s_cbranch_execz .LBB0_55
.LBB0_54:
	v_dual_mov_b32 v12, v4 :: v_dual_mov_b32 v13, v10
	global_store_b64 v2, v[12:13], s[30:31] scale_offset
.LBB0_55:
	s_wait_xcnt 0x0
	s_or_b32 exec_lo, exec_lo, s3
	v_cmp_ne_u32_e32 vcc_lo, 1, v16
	v_mov_b32_e32 v0, 1.0
	s_cbranch_vccz .LBB0_76
; %bb.56:
	v_add_nc_u32_e32 v1, s0, v1
	s_delay_alu instid0(VALU_DEP_1)
	v_add_nc_u32_e32 v2, s33, v1
	s_and_saveexec_b32 s3, s2
	s_cbranch_execnz .LBB0_77
.LBB0_57:
	s_or_b32 exec_lo, exec_lo, s3
	s_and_saveexec_b32 s3, s1
	s_cbranch_execz .LBB0_59
.LBB0_58:
	v_mov_b32_e32 v10, v5
	global_store_b64 v2, v[10:11], s[30:31] scale_offset
.LBB0_59:
	s_wait_xcnt 0x0
	s_or_b32 exec_lo, exec_lo, s3
	v_cmp_ne_u32_e32 vcc_lo, 1, v16
	v_mov_b32_e32 v0, 1.0
	s_cbranch_vccz .LBB0_78
; %bb.60:
	v_add_nc_u32_e32 v1, s0, v1
	s_delay_alu instid0(VALU_DEP_1)
	v_add_nc_u32_e32 v2, s33, v1
	s_and_saveexec_b32 s3, s2
	s_cbranch_execnz .LBB0_79
.LBB0_61:
	s_or_b32 exec_lo, exec_lo, s3
	s_and_saveexec_b32 s3, s1
	s_cbranch_execz .LBB0_63
.LBB0_62:
	v_dual_mov_b32 v4, v6 :: v_dual_mov_b32 v5, v8
	global_store_b64 v2, v[4:5], s[30:31] scale_offset
.LBB0_63:
	s_wait_xcnt 0x0
	s_or_b32 exec_lo, exec_lo, s3
	v_cmp_ne_u32_e32 vcc_lo, 1, v16
	v_mov_b32_e32 v0, 1.0
	s_cbranch_vccz .LBB0_80
; %bb.64:
	v_add3_u32 v1, s33, s0, v1
	s_and_saveexec_b32 s0, s2
	s_cbranch_execnz .LBB0_81
.LBB0_65:
	s_or_b32 exec_lo, exec_lo, s0
	s_delay_alu instid0(SALU_CYCLE_1)
	s_and_b32 exec_lo, exec_lo, s1
	s_cbranch_execz .LBB0_67
.LBB0_66:
	v_mov_b32_e32 v8, v7
	global_store_b64 v1, v[8:9], s[30:31] scale_offset
.LBB0_67:
	s_sendmsg sendmsg(MSG_DEALLOC_VGPRS)
	s_endpgm
.LBB0_68:
	v_div_scale_f32 v0, null, v15, v15, 1.0
	s_delay_alu instid0(VALU_DEP_1) | instskip(SKIP_1) | instid1(TRANS32_DEP_1)
	v_rcp_f32_e32 v14, v0
	v_nop
	v_fma_f32 v18, -v0, v14, 1.0
	s_delay_alu instid0(VALU_DEP_1) | instskip(SKIP_1) | instid1(VALU_DEP_1)
	v_fmac_f32_e32 v14, v18, v14
	v_div_scale_f32 v18, vcc_lo, 1.0, v15, 1.0
	v_mul_f32_e32 v19, v18, v14
	s_delay_alu instid0(VALU_DEP_1) | instskip(NEXT) | instid1(VALU_DEP_1)
	v_fma_f32 v20, -v0, v19, v18
	v_fmac_f32_e32 v19, v20, v14
	s_delay_alu instid0(VALU_DEP_1) | instskip(NEXT) | instid1(VALU_DEP_1)
	v_fma_f32 v0, -v0, v19, v18
	v_div_fmas_f32 v0, v0, v14, v19
	s_delay_alu instid0(VALU_DEP_1) | instskip(SKIP_1) | instid1(VALU_DEP_1)
	v_div_fixup_f32 v0, v0, v15, 1.0
	v_add_nc_u32_e32 v17, s0, v17
	v_add_nc_u32_e32 v18, s33, v17
	s_and_saveexec_b32 s3, s2
	s_cbranch_execz .LBB0_41
.LBB0_69:
	s_delay_alu instid0(VALU_DEP_1) | instskip(SKIP_4) | instid1(VALU_DEP_4)
	v_mad_u32 v22, 0x60, v18, v121
	v_dual_lshrrev_b32 v14, 16, v162 :: v_dual_lshrrev_b32 v19, 16, v163
	v_mov_b32_e32 v23, 0
	v_cvt_f32_f16_e64 v20, v162
	v_cvt_f32_f16_e64 v24, v163
	v_cvt_f32_f16_e32 v21, v14
	v_cvt_f32_f16_e32 v25, v19
	s_delay_alu instid0(VALU_DEP_2) | instskip(SKIP_1) | instid1(VALU_DEP_3)
	v_pk_mul_f32 v[20:21], v[0:1], v[20:21] op_sel_hi:[0,1]
	v_lshl_add_u64 v[26:27], v[22:23], 2, s[28:29]
	v_pk_mul_f32 v[22:23], v[0:1], v[24:25] op_sel_hi:[0,1]
	global_store_b128 v[26:27], v[20:23], off
	s_wait_xcnt 0x0
	s_or_b32 exec_lo, exec_lo, s3
	s_and_saveexec_b32 s3, s1
	s_cbranch_execnz .LBB0_42
	s_branch .LBB0_43
.LBB0_70:
	v_div_scale_f32 v0, null, v12, v12, 1.0
	s_delay_alu instid0(VALU_DEP_1) | instskip(SKIP_1) | instid1(TRANS32_DEP_1)
	v_rcp_f32_e32 v1, v0
	v_nop
	v_fma_f32 v14, -v0, v1, 1.0
	s_delay_alu instid0(VALU_DEP_1) | instskip(SKIP_1) | instid1(VALU_DEP_1)
	v_fmac_f32_e32 v1, v14, v1
	v_div_scale_f32 v14, vcc_lo, 1.0, v12, 1.0
	v_mul_f32_e32 v15, v14, v1
	s_delay_alu instid0(VALU_DEP_1) | instskip(NEXT) | instid1(VALU_DEP_1)
	v_fma_f32 v18, -v0, v15, v14
	v_fmac_f32_e32 v15, v18, v1
	s_delay_alu instid0(VALU_DEP_1) | instskip(NEXT) | instid1(VALU_DEP_1)
	v_fma_f32 v0, -v0, v15, v14
	v_div_fmas_f32 v0, v0, v1, v15
	s_delay_alu instid0(VALU_DEP_1) | instskip(SKIP_1) | instid1(VALU_DEP_1)
	v_div_fixup_f32 v0, v0, v12, 1.0
	v_add_nc_u32_e32 v1, s0, v17
	v_add_nc_u32_e32 v14, s33, v1
	s_and_saveexec_b32 s3, s2
	s_cbranch_execz .LBB0_45
.LBB0_71:
	s_delay_alu instid0(VALU_DEP_1) | instskip(SKIP_4) | instid1(VALU_DEP_4)
	v_mad_u32 v20, 0x60, v14, v121
	v_dual_lshrrev_b32 v15, 16, v161 :: v_dual_lshrrev_b32 v17, 16, v160
	v_mov_b32_e32 v21, 0
	v_cvt_f32_f16_e64 v18, v161
	v_cvt_f32_f16_e64 v22, v160
	v_cvt_f32_f16_e32 v19, v15
	v_cvt_f32_f16_e32 v23, v17
	s_delay_alu instid0(VALU_DEP_2) | instskip(SKIP_1) | instid1(VALU_DEP_3)
	v_pk_mul_f32 v[18:19], v[0:1], v[18:19] op_sel_hi:[0,1]
	v_lshl_add_u64 v[24:25], v[20:21], 2, s[28:29]
	v_pk_mul_f32 v[20:21], v[0:1], v[22:23] op_sel_hi:[0,1]
	global_store_b128 v[24:25], v[18:21], off
	s_wait_xcnt 0x0
	s_or_b32 exec_lo, exec_lo, s3
	s_and_saveexec_b32 s3, s1
	s_cbranch_execnz .LBB0_46
	s_branch .LBB0_47
.LBB0_72:
	v_div_scale_f32 v0, null, v13, v13, 1.0
	s_delay_alu instid0(VALU_DEP_1) | instskip(SKIP_1) | instid1(TRANS32_DEP_1)
	v_rcp_f32_e32 v2, v0
	v_nop
	v_fma_f32 v12, -v0, v2, 1.0
	s_delay_alu instid0(VALU_DEP_1) | instskip(SKIP_1) | instid1(VALU_DEP_1)
	v_fmac_f32_e32 v2, v12, v2
	v_div_scale_f32 v12, vcc_lo, 1.0, v13, 1.0
	v_mul_f32_e32 v14, v12, v2
	s_delay_alu instid0(VALU_DEP_1) | instskip(NEXT) | instid1(VALU_DEP_1)
	v_fma_f32 v15, -v0, v14, v12
	v_fmac_f32_e32 v14, v15, v2
	s_delay_alu instid0(VALU_DEP_1) | instskip(NEXT) | instid1(VALU_DEP_1)
	v_fma_f32 v0, -v0, v14, v12
	v_div_fmas_f32 v0, v0, v2, v14
	s_delay_alu instid0(VALU_DEP_1) | instskip(SKIP_1) | instid1(VALU_DEP_1)
	v_div_fixup_f32 v0, v0, v13, 1.0
	v_add_nc_u32_e32 v1, s0, v1
	v_add_nc_u32_e32 v2, s33, v1
	s_and_saveexec_b32 s3, s2
	s_cbranch_execz .LBB0_49
.LBB0_73:
	s_delay_alu instid0(VALU_DEP_1) | instskip(SKIP_4) | instid1(VALU_DEP_4)
	v_mad_u32 v14, 0x60, v2, v121
	v_dual_lshrrev_b32 v12, 16, v159 :: v_dual_lshrrev_b32 v17, 16, v158
	v_mov_b32_e32 v15, 0
	v_cvt_f32_f16_e64 v18, v159
	v_cvt_f32_f16_e64 v20, v158
	v_cvt_f32_f16_e32 v19, v12
	v_cvt_f32_f16_e32 v21, v17
	s_delay_alu instid0(VALU_DEP_2) | instskip(SKIP_1) | instid1(VALU_DEP_3)
	v_pk_mul_f32 v[18:19], v[0:1], v[18:19] op_sel_hi:[0,1]
	v_lshl_add_u64 v[14:15], v[14:15], 2, s[28:29]
	v_pk_mul_f32 v[20:21], v[0:1], v[20:21] op_sel_hi:[0,1]
	global_store_b128 v[14:15], v[18:21], off
	s_wait_xcnt 0x0
	s_or_b32 exec_lo, exec_lo, s3
	s_and_saveexec_b32 s3, s1
	s_cbranch_execnz .LBB0_50
	s_branch .LBB0_51
.LBB0_74:
	v_div_scale_f32 v0, null, v10, v10, 1.0
	s_delay_alu instid0(VALU_DEP_1) | instskip(SKIP_1) | instid1(TRANS32_DEP_1)
	v_rcp_f32_e32 v2, v0
	v_nop
	v_fma_f32 v3, -v0, v2, 1.0
	s_delay_alu instid0(VALU_DEP_1) | instskip(SKIP_1) | instid1(VALU_DEP_1)
	v_fmac_f32_e32 v2, v3, v2
	v_div_scale_f32 v3, vcc_lo, 1.0, v10, 1.0
	v_mul_f32_e32 v12, v3, v2
	s_delay_alu instid0(VALU_DEP_1) | instskip(NEXT) | instid1(VALU_DEP_1)
	v_fma_f32 v13, -v0, v12, v3
	v_fmac_f32_e32 v12, v13, v2
	s_delay_alu instid0(VALU_DEP_1) | instskip(NEXT) | instid1(VALU_DEP_1)
	v_fma_f32 v0, -v0, v12, v3
	v_div_fmas_f32 v0, v0, v2, v12
	s_delay_alu instid0(VALU_DEP_1) | instskip(SKIP_1) | instid1(VALU_DEP_1)
	v_div_fixup_f32 v0, v0, v10, 1.0
	v_add_nc_u32_e32 v1, s0, v1
	v_add_nc_u32_e32 v2, s33, v1
	s_and_saveexec_b32 s3, s2
	s_cbranch_execz .LBB0_53
.LBB0_75:
	s_delay_alu instid0(VALU_DEP_1) | instskip(SKIP_4) | instid1(VALU_DEP_4)
	v_mad_u32 v14, 0x60, v2, v121
	v_dual_lshrrev_b32 v3, 16, v156 :: v_dual_lshrrev_b32 v17, 16, v157
	v_mov_b32_e32 v15, 0
	v_cvt_f32_f16_e64 v12, v156
	v_cvt_f32_f16_e64 v18, v157
	v_cvt_f32_f16_e32 v13, v3
	v_cvt_f32_f16_e32 v19, v17
	s_delay_alu instid0(VALU_DEP_2) | instskip(SKIP_1) | instid1(VALU_DEP_3)
	v_pk_mul_f32 v[12:13], v[0:1], v[12:13] op_sel_hi:[0,1]
	v_lshl_add_u64 v[20:21], v[14:15], 2, s[28:29]
	v_pk_mul_f32 v[14:15], v[0:1], v[18:19] op_sel_hi:[0,1]
	global_store_b128 v[20:21], v[12:15], off
	s_wait_xcnt 0x0
	s_or_b32 exec_lo, exec_lo, s3
	s_and_saveexec_b32 s3, s1
	s_cbranch_execnz .LBB0_54
	s_branch .LBB0_55
.LBB0_76:
	v_div_scale_f32 v0, null, v11, v11, 1.0
	s_delay_alu instid0(VALU_DEP_1) | instskip(SKIP_1) | instid1(TRANS32_DEP_1)
	v_rcp_f32_e32 v2, v0
	v_nop
	v_fma_f32 v3, -v0, v2, 1.0
	s_delay_alu instid0(VALU_DEP_1) | instskip(SKIP_1) | instid1(VALU_DEP_1)
	v_fmac_f32_e32 v2, v3, v2
	v_div_scale_f32 v3, vcc_lo, 1.0, v11, 1.0
	v_mul_f32_e32 v4, v3, v2
	s_delay_alu instid0(VALU_DEP_1) | instskip(NEXT) | instid1(VALU_DEP_1)
	v_fma_f32 v10, -v0, v4, v3
	v_fmac_f32_e32 v4, v10, v2
	s_delay_alu instid0(VALU_DEP_1) | instskip(NEXT) | instid1(VALU_DEP_1)
	v_fma_f32 v0, -v0, v4, v3
	v_div_fmas_f32 v0, v0, v2, v4
	s_delay_alu instid0(VALU_DEP_1) | instskip(SKIP_1) | instid1(VALU_DEP_1)
	v_div_fixup_f32 v0, v0, v11, 1.0
	v_add_nc_u32_e32 v1, s0, v1
	v_add_nc_u32_e32 v2, s33, v1
	s_and_saveexec_b32 s3, s2
	s_cbranch_execz .LBB0_57
.LBB0_77:
	s_delay_alu instid0(VALU_DEP_1) | instskip(SKIP_4) | instid1(VALU_DEP_4)
	v_mad_u32 v14, 0x60, v2, v121
	v_dual_lshrrev_b32 v3, 16, v154 :: v_dual_lshrrev_b32 v4, 16, v155
	v_mov_b32_e32 v15, 0
	v_cvt_f32_f16_e64 v12, v154
	v_cvt_f32_f16_e64 v18, v155
	v_cvt_f32_f16_e32 v13, v3
	v_cvt_f32_f16_e32 v19, v4
	s_delay_alu instid0(VALU_DEP_2) | instskip(SKIP_1) | instid1(VALU_DEP_3)
	v_pk_mul_f32 v[12:13], v[0:1], v[12:13] op_sel_hi:[0,1]
	v_lshl_add_u64 v[20:21], v[14:15], 2, s[28:29]
	v_pk_mul_f32 v[14:15], v[0:1], v[18:19] op_sel_hi:[0,1]
	global_store_b128 v[20:21], v[12:15], off
	s_wait_xcnt 0x0
	s_or_b32 exec_lo, exec_lo, s3
	s_and_saveexec_b32 s3, s1
	s_cbranch_execnz .LBB0_58
	s_branch .LBB0_59
.LBB0_78:
	v_div_scale_f32 v0, null, v8, v8, 1.0
	s_delay_alu instid0(VALU_DEP_1) | instskip(SKIP_1) | instid1(TRANS32_DEP_1)
	v_rcp_f32_e32 v2, v0
	v_nop
	v_fma_f32 v3, -v0, v2, 1.0
	s_delay_alu instid0(VALU_DEP_1) | instskip(SKIP_1) | instid1(VALU_DEP_1)
	v_fmac_f32_e32 v2, v3, v2
	v_div_scale_f32 v3, vcc_lo, 1.0, v8, 1.0
	v_mul_f32_e32 v4, v3, v2
	s_delay_alu instid0(VALU_DEP_1) | instskip(NEXT) | instid1(VALU_DEP_1)
	v_fma_f32 v5, -v0, v4, v3
	v_fmac_f32_e32 v4, v5, v2
	s_delay_alu instid0(VALU_DEP_1) | instskip(NEXT) | instid1(VALU_DEP_1)
	v_fma_f32 v0, -v0, v4, v3
	v_div_fmas_f32 v0, v0, v2, v4
	s_delay_alu instid0(VALU_DEP_1) | instskip(SKIP_1) | instid1(VALU_DEP_1)
	v_div_fixup_f32 v0, v0, v8, 1.0
	v_add_nc_u32_e32 v1, s0, v1
	v_add_nc_u32_e32 v2, s33, v1
	s_and_saveexec_b32 s3, s2
	s_cbranch_execz .LBB0_61
.LBB0_79:
	s_delay_alu instid0(VALU_DEP_1) | instskip(SKIP_4) | instid1(VALU_DEP_4)
	v_mad_u32 v4, 0x60, v2, v121
	v_dual_lshrrev_b32 v3, 16, v152 :: v_dual_lshrrev_b32 v13, 16, v153
	v_mov_b32_e32 v5, 0
	v_cvt_f32_f16_e64 v10, v152
	v_cvt_f32_f16_e64 v12, v153
	v_cvt_f32_f16_e32 v11, v3
	v_cvt_f32_f16_e32 v13, v13
	s_delay_alu instid0(VALU_DEP_2) | instskip(SKIP_1) | instid1(VALU_DEP_3)
	v_pk_mul_f32 v[10:11], v[0:1], v[10:11] op_sel_hi:[0,1]
	v_lshl_add_u64 v[4:5], v[4:5], 2, s[28:29]
	v_pk_mul_f32 v[12:13], v[0:1], v[12:13] op_sel_hi:[0,1]
	global_store_b128 v[4:5], v[10:13], off
	s_wait_xcnt 0x0
	s_or_b32 exec_lo, exec_lo, s3
	s_and_saveexec_b32 s3, s1
	s_cbranch_execnz .LBB0_62
	s_branch .LBB0_63
.LBB0_80:
	v_div_scale_f32 v0, null, v9, v9, 1.0
	s_delay_alu instid0(VALU_DEP_1) | instskip(SKIP_1) | instid1(TRANS32_DEP_1)
	v_rcp_f32_e32 v2, v0
	v_nop
	v_fma_f32 v3, -v0, v2, 1.0
	s_delay_alu instid0(VALU_DEP_1) | instskip(SKIP_1) | instid1(VALU_DEP_1)
	v_fmac_f32_e32 v2, v3, v2
	v_div_scale_f32 v3, vcc_lo, 1.0, v9, 1.0
	v_mul_f32_e32 v4, v3, v2
	s_delay_alu instid0(VALU_DEP_1) | instskip(NEXT) | instid1(VALU_DEP_1)
	v_fma_f32 v5, -v0, v4, v3
	v_fmac_f32_e32 v4, v5, v2
	s_delay_alu instid0(VALU_DEP_1) | instskip(NEXT) | instid1(VALU_DEP_1)
	v_fma_f32 v0, -v0, v4, v3
	v_div_fmas_f32 v0, v0, v2, v4
	s_delay_alu instid0(VALU_DEP_1)
	v_div_fixup_f32 v0, v0, v9, 1.0
	v_add3_u32 v1, s33, s0, v1
	s_and_saveexec_b32 s0, s2
	s_cbranch_execz .LBB0_65
.LBB0_81:
	s_delay_alu instid0(VALU_DEP_1) | instskip(SKIP_4) | instid1(VALU_DEP_4)
	v_mad_u32 v4, 0x60, v1, v121
	v_dual_lshrrev_b32 v3, 16, v150 :: v_dual_lshrrev_b32 v6, 16, v148
	v_mov_b32_e32 v5, 0
	v_cvt_f32_f16_e64 v2, v150
	v_cvt_f32_f16_e64 v10, v148
	v_cvt_f32_f16_e32 v3, v3
	v_cvt_f32_f16_e32 v11, v6
	s_delay_alu instid0(VALU_DEP_2) | instskip(SKIP_1) | instid1(VALU_DEP_3)
	v_pk_mul_f32 v[2:3], v[0:1], v[2:3] op_sel_hi:[0,1]
	v_lshl_add_u64 v[12:13], v[4:5], 2, s[28:29]
	v_pk_mul_f32 v[4:5], v[0:1], v[10:11] op_sel_hi:[0,1]
	global_store_b128 v[12:13], v[2:5], off
	s_wait_xcnt 0x0
	s_or_b32 exec_lo, exec_lo, s0
	s_delay_alu instid0(SALU_CYCLE_1)
	s_and_b32 exec_lo, exec_lo, s1
	s_cbranch_execnz .LBB0_66
	s_branch .LBB0_67
	.section	.rodata,"a",@progbits
	.p2align	6, 0x0
	.amdhsa_kernel _ZL15flash_attn_tileILi96ELi96ELi8ELi8ELb0EEvPKcS1_S1_S1_S1_PKiPfP15HIP_vector_typeIfLj2EEffffjfiS5_IjLj3EEiiiiiiiiiiiliiliiiiil
		.amdhsa_group_segment_fixed_size 20096
		.amdhsa_private_segment_fixed_size 0
		.amdhsa_kernarg_size 464
		.amdhsa_user_sgpr_count 2
		.amdhsa_user_sgpr_dispatch_ptr 0
		.amdhsa_user_sgpr_queue_ptr 0
		.amdhsa_user_sgpr_kernarg_segment_ptr 1
		.amdhsa_user_sgpr_dispatch_id 0
		.amdhsa_user_sgpr_kernarg_preload_length 0
		.amdhsa_user_sgpr_kernarg_preload_offset 0
		.amdhsa_user_sgpr_private_segment_size 0
		.amdhsa_wavefront_size32 1
		.amdhsa_uses_dynamic_stack 0
		.amdhsa_enable_private_segment 0
		.amdhsa_system_sgpr_workgroup_id_x 1
		.amdhsa_system_sgpr_workgroup_id_y 1
		.amdhsa_system_sgpr_workgroup_id_z 1
		.amdhsa_system_sgpr_workgroup_info 0
		.amdhsa_system_vgpr_workitem_id 1
		.amdhsa_next_free_vgpr 244
		.amdhsa_next_free_sgpr 54
		.amdhsa_named_barrier_count 0
		.amdhsa_reserve_vcc 1
		.amdhsa_float_round_mode_32 0
		.amdhsa_float_round_mode_16_64 0
		.amdhsa_float_denorm_mode_32 3
		.amdhsa_float_denorm_mode_16_64 3
		.amdhsa_fp16_overflow 0
		.amdhsa_memory_ordered 1
		.amdhsa_forward_progress 1
		.amdhsa_inst_pref_size 168
		.amdhsa_round_robin_scheduling 0
		.amdhsa_exception_fp_ieee_invalid_op 0
		.amdhsa_exception_fp_denorm_src 0
		.amdhsa_exception_fp_ieee_div_zero 0
		.amdhsa_exception_fp_ieee_overflow 0
		.amdhsa_exception_fp_ieee_underflow 0
		.amdhsa_exception_fp_ieee_inexact 0
		.amdhsa_exception_int_div_zero 0
	.end_amdhsa_kernel
	.section	.text._ZL15flash_attn_tileILi96ELi96ELi8ELi8ELb0EEvPKcS1_S1_S1_S1_PKiPfP15HIP_vector_typeIfLj2EEffffjfiS5_IjLj3EEiiiiiiiiiiiliiliiiiil,"axG",@progbits,_ZL15flash_attn_tileILi96ELi96ELi8ELi8ELb0EEvPKcS1_S1_S1_S1_PKiPfP15HIP_vector_typeIfLj2EEffffjfiS5_IjLj3EEiiiiiiiiiiiliiliiiiil,comdat
.Lfunc_end0:
	.size	_ZL15flash_attn_tileILi96ELi96ELi8ELi8ELb0EEvPKcS1_S1_S1_S1_PKiPfP15HIP_vector_typeIfLj2EEffffjfiS5_IjLj3EEiiiiiiiiiiiliiliiiiil, .Lfunc_end0-_ZL15flash_attn_tileILi96ELi96ELi8ELi8ELb0EEvPKcS1_S1_S1_S1_PKiPfP15HIP_vector_typeIfLj2EEffffjfiS5_IjLj3EEiiiiiiiiiiiliiliiiiil
                                        ; -- End function
	.set _ZL15flash_attn_tileILi96ELi96ELi8ELi8ELb0EEvPKcS1_S1_S1_S1_PKiPfP15HIP_vector_typeIfLj2EEffffjfiS5_IjLj3EEiiiiiiiiiiiliiliiiiil.num_vgpr, 244
	.set _ZL15flash_attn_tileILi96ELi96ELi8ELi8ELb0EEvPKcS1_S1_S1_S1_PKiPfP15HIP_vector_typeIfLj2EEffffjfiS5_IjLj3EEiiiiiiiiiiiliiliiiiil.num_agpr, 0
	.set _ZL15flash_attn_tileILi96ELi96ELi8ELi8ELb0EEvPKcS1_S1_S1_S1_PKiPfP15HIP_vector_typeIfLj2EEffffjfiS5_IjLj3EEiiiiiiiiiiiliiliiiiil.numbered_sgpr, 54
	.set _ZL15flash_attn_tileILi96ELi96ELi8ELi8ELb0EEvPKcS1_S1_S1_S1_PKiPfP15HIP_vector_typeIfLj2EEffffjfiS5_IjLj3EEiiiiiiiiiiiliiliiiiil.num_named_barrier, 0
	.set _ZL15flash_attn_tileILi96ELi96ELi8ELi8ELb0EEvPKcS1_S1_S1_S1_PKiPfP15HIP_vector_typeIfLj2EEffffjfiS5_IjLj3EEiiiiiiiiiiiliiliiiiil.private_seg_size, 0
	.set _ZL15flash_attn_tileILi96ELi96ELi8ELi8ELb0EEvPKcS1_S1_S1_S1_PKiPfP15HIP_vector_typeIfLj2EEffffjfiS5_IjLj3EEiiiiiiiiiiiliiliiiiil.uses_vcc, 1
	.set _ZL15flash_attn_tileILi96ELi96ELi8ELi8ELb0EEvPKcS1_S1_S1_S1_PKiPfP15HIP_vector_typeIfLj2EEffffjfiS5_IjLj3EEiiiiiiiiiiiliiliiiiil.uses_flat_scratch, 0
	.set _ZL15flash_attn_tileILi96ELi96ELi8ELi8ELb0EEvPKcS1_S1_S1_S1_PKiPfP15HIP_vector_typeIfLj2EEffffjfiS5_IjLj3EEiiiiiiiiiiiliiliiiiil.has_dyn_sized_stack, 0
	.set _ZL15flash_attn_tileILi96ELi96ELi8ELi8ELb0EEvPKcS1_S1_S1_S1_PKiPfP15HIP_vector_typeIfLj2EEffffjfiS5_IjLj3EEiiiiiiiiiiiliiliiiiil.has_recursion, 0
	.set _ZL15flash_attn_tileILi96ELi96ELi8ELi8ELb0EEvPKcS1_S1_S1_S1_PKiPfP15HIP_vector_typeIfLj2EEffffjfiS5_IjLj3EEiiiiiiiiiiiliiliiiiil.has_indirect_call, 0
	.section	.AMDGPU.csdata,"",@progbits
; Kernel info:
; codeLenInByte = 21384
; TotalNumSgprs: 56
; NumVgprs: 244
; ScratchSize: 0
; MemoryBound: 0
; FloatMode: 240
; IeeeMode: 1
; LDSByteSize: 20096 bytes/workgroup (compile time only)
; SGPRBlocks: 0
; VGPRBlocks: 15
; NumSGPRsForWavesPerEU: 56
; NumVGPRsForWavesPerEU: 244
; NamedBarCnt: 0
; Occupancy: 4
; WaveLimiterHint : 1
; COMPUTE_PGM_RSRC2:SCRATCH_EN: 0
; COMPUTE_PGM_RSRC2:USER_SGPR: 2
; COMPUTE_PGM_RSRC2:TRAP_HANDLER: 0
; COMPUTE_PGM_RSRC2:TGID_X_EN: 1
; COMPUTE_PGM_RSRC2:TGID_Y_EN: 1
; COMPUTE_PGM_RSRC2:TGID_Z_EN: 1
; COMPUTE_PGM_RSRC2:TIDIG_COMP_CNT: 1
	.section	.text._ZL25flash_attn_mask_to_KV_maxILi8EEvPK7__half2Piiii,"axG",@progbits,_ZL25flash_attn_mask_to_KV_maxILi8EEvPK7__half2Piiii,comdat
	.globl	_ZL25flash_attn_mask_to_KV_maxILi8EEvPK7__half2Piiii ; -- Begin function _ZL25flash_attn_mask_to_KV_maxILi8EEvPK7__half2Piiii
	.p2align	8
	.type	_ZL25flash_attn_mask_to_KV_maxILi8EEvPK7__half2Piiii,@function
_ZL25flash_attn_mask_to_KV_maxILi8EEvPK7__half2Piiii: ; @_ZL25flash_attn_mask_to_KV_maxILi8EEvPK7__half2Piiii
; %bb.0:
	s_load_b128 s[4:7], s[0:1], 0x0
	s_mov_b32 s2, exec_lo
	v_cmpx_gt_u32_e32 32, v0
; %bb.1:
	v_dual_mov_b32 v2, 1 :: v_dual_lshlrev_b32 v1, 2, v0
	ds_store_b32 v1, v2
; %bb.2:
	s_or_b32 exec_lo, exec_lo, s2
	s_clause 0x1
	s_load_b96 s[8:10], s[0:1], 0x10
	s_load_b32 s11, s[0:1], 0x20
	s_wait_xcnt 0x0
	s_bfe_u32 s1, ttmp6, 0x4000c
	s_bfe_u32 s2, ttmp6, 0x40010
	s_add_co_i32 s1, s1, 1
	s_add_co_i32 s2, s2, 1
	s_and_b32 s0, ttmp6, 15
	s_bfe_u32 s3, ttmp6, 0x40004
	s_mul_i32 s1, ttmp9, s1
	s_mul_i32 s2, ttmp7, s2
	s_getreg_b32 s12, hwreg(HW_REG_IB_STS2, 6, 4)
	s_add_co_i32 s0, s0, s1
	s_add_co_i32 s3, s3, s2
	s_cmp_eq_u32 s12, 0
	v_dual_lshrrev_b32 v1, 3, v0 :: v_dual_bitop2_b32 v2, 31, v0 bitop3:0x40
	s_cselect_b32 s1, ttmp9, s0
	s_cselect_b32 s12, ttmp7, s3
	s_wait_dscnt 0x0
	s_barrier_signal -1
	s_wait_kmcnt 0x0
	s_mul_i32 s0, s1, s9
	s_mul_i32 s2, s10, s12
	s_lshl_b32 s0, s0, 3
	s_barrier_wait -1
	s_add_co_i32 s2, s2, s0
	v_cmp_eq_u32_e64 s0, 0, v2
	s_ashr_i32 s3, s2, 31
	v_lshlrev_b32_e32 v2, 2, v2
	s_lshl_b64 s[2:3], s[2:3], 2
	s_delay_alu instid0(SALU_CYCLE_1)
	s_add_nc_u64 s[2:3], s[4:5], s[2:3]
	s_lshl_b32 s5, s8, 8
	s_branch .LBB1_4
.LBB1_3:                                ;   in Loop: Header=BB1_4 Depth=1
	s_or_b32 exec_lo, exec_lo, s8
	s_wait_dscnt 0x0
	s_barrier_signal -1
	s_barrier_wait -1
	ds_load_b32 v3, v2
	s_wait_dscnt 0x0
	s_barrier_signal -1
	s_barrier_wait -1
	v_cmp_ne_u32_e32 vcc_lo, 0, v3
	s_cmp_lg_u32 vcc_lo, exec_lo
	s_cselect_b32 s8, -1, 0
	s_delay_alu instid0(SALU_CYCLE_1)
	s_and_b32 vcc_lo, exec_lo, s8
	s_cbranch_vccnz .LBB1_36
.LBB1_4:                                ; =>This Inner Loop Header: Depth=1
	s_mov_b32 s4, s5
	s_addk_co_i32 s5, 0xff00
	s_delay_alu instid0(SALU_CYCLE_1)
	s_cmp_lt_i32 s5, 0
	s_cbranch_scc1 .LBB1_35
; %bb.5:                                ;   in Loop: Header=BB1_4 Depth=1
	s_lshr_b32 s8, s5, 1
	s_delay_alu instid0(SALU_CYCLE_1) | instskip(SKIP_4) | instid1(VALU_DEP_2)
	v_add_nc_u32_e32 v3, s8, v0
	global_load_b32 v4, v3, s[2:3] scale_offset
	s_wait_loadcnt 0x0
	v_lshrrev_b32_e32 v5, 16, v4
	v_cmp_class_f16_e64 s8, v4, 0x204
	v_cmp_class_f16_e64 s10, v5, 0x204
	s_and_b32 s13, s8, s10
	s_mov_b32 s10, 0
	s_and_saveexec_b32 s8, s13
	s_cbranch_execz .LBB1_33
; %bb.6:                                ;   in Loop: Header=BB1_4 Depth=1
	v_add_nc_u32_e32 v3, s9, v3
	s_mov_b32 s13, 0
	global_load_b32 v4, v3, s[2:3] scale_offset
	s_wait_loadcnt 0x0
	v_cmp_class_f16_e64 s14, v4, 0x204
	s_and_saveexec_b32 s10, s14
	s_cbranch_execz .LBB1_32
; %bb.7:                                ;   in Loop: Header=BB1_4 Depth=1
	v_lshrrev_b32_e32 v4, 16, v4
	s_mov_b32 s14, 0
	s_delay_alu instid0(VALU_DEP_1)
	v_cmp_class_f16_e64 s15, v4, 0x204
	s_and_saveexec_b32 s13, s15
	s_cbranch_execz .LBB1_31
; %bb.8:                                ;   in Loop: Header=BB1_4 Depth=1
	v_add_nc_u32_e32 v3, s9, v3
	s_mov_b32 s15, 0
	global_load_b32 v4, v3, s[2:3] scale_offset
	s_wait_loadcnt 0x0
	v_cmp_class_f16_e64 s16, v4, 0x204
	s_and_saveexec_b32 s14, s16
	s_cbranch_execz .LBB1_30
; %bb.9:                                ;   in Loop: Header=BB1_4 Depth=1
	v_lshrrev_b32_e32 v4, 16, v4
	s_mov_b32 s16, 0
	s_delay_alu instid0(VALU_DEP_1)
	v_cmp_class_f16_e64 s17, v4, 0x204
	s_and_saveexec_b32 s15, s17
	s_cbranch_execz .LBB1_29
; %bb.10:                               ;   in Loop: Header=BB1_4 Depth=1
	v_add_nc_u32_e32 v3, s9, v3
	s_mov_b32 s17, 0
	global_load_b32 v4, v3, s[2:3] scale_offset
	s_wait_loadcnt 0x0
	v_cmp_class_f16_e64 s18, v4, 0x204
	s_and_saveexec_b32 s16, s18
	s_cbranch_execz .LBB1_28
; %bb.11:                               ;   in Loop: Header=BB1_4 Depth=1
	v_lshrrev_b32_e32 v4, 16, v4
	s_mov_b32 s18, 0
	s_delay_alu instid0(VALU_DEP_1)
	v_cmp_class_f16_e64 s19, v4, 0x204
	s_and_saveexec_b32 s17, s19
	s_cbranch_execz .LBB1_27
; %bb.12:                               ;   in Loop: Header=BB1_4 Depth=1
	v_add_nc_u32_e32 v3, s9, v3
	s_mov_b32 s19, 0
	global_load_b32 v4, v3, s[2:3] scale_offset
	s_wait_loadcnt 0x0
	v_cmp_class_f16_e64 s20, v4, 0x204
	s_and_saveexec_b32 s18, s20
	s_cbranch_execz .LBB1_26
; %bb.13:                               ;   in Loop: Header=BB1_4 Depth=1
	;; [unrolled: 15-line block ×4, first 2 shown]
	v_lshrrev_b32_e32 v4, 16, v4
	s_mov_b32 s24, 0
	s_delay_alu instid0(VALU_DEP_1)
	v_cmp_class_f16_e64 s25, v4, 0x204
	s_and_saveexec_b32 s23, s25
	s_cbranch_execz .LBB1_21
; %bb.18:                               ;   in Loop: Header=BB1_4 Depth=1
	v_add_nc_u32_e32 v3, s9, v3
	global_load_b32 v3, v3, s[2:3] scale_offset
	s_wait_loadcnt 0x0
	v_cmp_class_f16_e64 s26, v3, 0x204
	s_and_saveexec_b32 s25, s26
; %bb.19:                               ;   in Loop: Header=BB1_4 Depth=1
	v_lshrrev_b32_e32 v3, 16, v3
	s_delay_alu instid0(VALU_DEP_1)
	v_cmp_class_f16_e64 s24, v3, 0x204
	s_and_b32 s24, s24, exec_lo
; %bb.20:                               ;   in Loop: Header=BB1_4 Depth=1
	s_or_b32 exec_lo, exec_lo, s25
	s_delay_alu instid0(SALU_CYCLE_1)
	s_and_b32 s24, s24, exec_lo
.LBB1_21:                               ;   in Loop: Header=BB1_4 Depth=1
	s_or_b32 exec_lo, exec_lo, s23
	s_delay_alu instid0(SALU_CYCLE_1)
	s_and_b32 s23, s24, exec_lo
.LBB1_22:                               ;   in Loop: Header=BB1_4 Depth=1
	s_or_b32 exec_lo, exec_lo, s22
	s_delay_alu instid0(SALU_CYCLE_1)
	s_and_b32 s22, s23, exec_lo
.LBB1_23:                               ;   in Loop: Header=BB1_4 Depth=1
	s_or_b32 exec_lo, exec_lo, s21
	s_delay_alu instid0(SALU_CYCLE_1)
	s_and_b32 s21, s22, exec_lo
.LBB1_24:                               ;   in Loop: Header=BB1_4 Depth=1
	s_or_b32 exec_lo, exec_lo, s20
	s_delay_alu instid0(SALU_CYCLE_1)
	s_and_b32 s20, s21, exec_lo
.LBB1_25:                               ;   in Loop: Header=BB1_4 Depth=1
	s_or_b32 exec_lo, exec_lo, s19
	s_delay_alu instid0(SALU_CYCLE_1)
	s_and_b32 s19, s20, exec_lo
.LBB1_26:                               ;   in Loop: Header=BB1_4 Depth=1
	s_or_b32 exec_lo, exec_lo, s18
	s_delay_alu instid0(SALU_CYCLE_1)
	s_and_b32 s18, s19, exec_lo
.LBB1_27:                               ;   in Loop: Header=BB1_4 Depth=1
	s_or_b32 exec_lo, exec_lo, s17
	s_delay_alu instid0(SALU_CYCLE_1)
	s_and_b32 s17, s18, exec_lo
.LBB1_28:                               ;   in Loop: Header=BB1_4 Depth=1
	s_or_b32 exec_lo, exec_lo, s16
	s_delay_alu instid0(SALU_CYCLE_1)
	s_and_b32 s16, s17, exec_lo
.LBB1_29:                               ;   in Loop: Header=BB1_4 Depth=1
	s_or_b32 exec_lo, exec_lo, s15
	s_delay_alu instid0(SALU_CYCLE_1)
	s_and_b32 s15, s16, exec_lo
.LBB1_30:                               ;   in Loop: Header=BB1_4 Depth=1
	s_or_b32 exec_lo, exec_lo, s14
	s_delay_alu instid0(SALU_CYCLE_1)
	s_and_b32 s14, s15, exec_lo
.LBB1_31:                               ;   in Loop: Header=BB1_4 Depth=1
	s_or_b32 exec_lo, exec_lo, s13
	s_delay_alu instid0(SALU_CYCLE_1)
	s_and_b32 s13, s14, exec_lo
.LBB1_32:                               ;   in Loop: Header=BB1_4 Depth=1
	s_or_b32 exec_lo, exec_lo, s10
	s_delay_alu instid0(SALU_CYCLE_1)
	s_and_b32 s10, s13, exec_lo
.LBB1_33:                               ;   in Loop: Header=BB1_4 Depth=1
	s_or_b32 exec_lo, exec_lo, s8
	v_cndmask_b32_e64 v3, 0, 1, s10
	s_mov_b32 s13, exec_lo
	s_delay_alu instid0(VALU_DEP_1)
	v_cmp_ne_u32_e32 vcc_lo, 0, v3
	s_and_saveexec_b32 s8, s0
	s_cbranch_execz .LBB1_3
; %bb.34:                               ;   in Loop: Header=BB1_4 Depth=1
	s_cmp_eq_u32 vcc_lo, s13
	s_cselect_b32 s10, -1, 0
	s_delay_alu instid0(SALU_CYCLE_1)
	v_cndmask_b32_e64 v3, 0, 1, s10
	ds_store_b32 v1, v3
	s_branch .LBB1_3
.LBB1_35:                               ;   in Loop: Header=BB1_4 Depth=1
	s_cbranch_execz .LBB1_4
.LBB1_36:
	s_mov_b32 s0, exec_lo
	v_cmpx_eq_u32_e32 0, v0
	s_cbranch_execz .LBB1_38
; %bb.37:
	s_mul_i32 s0, s11, s12
	v_mov_b32_e32 v1, s4
	s_add_co_i32 s0, s0, s1
	s_delay_alu instid0(SALU_CYCLE_1)
	v_mov_b32_e32 v0, s0
	global_store_b32 v0, v1, s[6:7] scale_offset
.LBB1_38:
	s_endpgm
	.section	.rodata,"a",@progbits
	.p2align	6, 0x0
	.amdhsa_kernel _ZL25flash_attn_mask_to_KV_maxILi8EEvPK7__half2Piiii
		.amdhsa_group_segment_fixed_size 128
		.amdhsa_private_segment_fixed_size 0
		.amdhsa_kernarg_size 288
		.amdhsa_user_sgpr_count 2
		.amdhsa_user_sgpr_dispatch_ptr 0
		.amdhsa_user_sgpr_queue_ptr 0
		.amdhsa_user_sgpr_kernarg_segment_ptr 1
		.amdhsa_user_sgpr_dispatch_id 0
		.amdhsa_user_sgpr_kernarg_preload_length 0
		.amdhsa_user_sgpr_kernarg_preload_offset 0
		.amdhsa_user_sgpr_private_segment_size 0
		.amdhsa_wavefront_size32 1
		.amdhsa_uses_dynamic_stack 0
		.amdhsa_enable_private_segment 0
		.amdhsa_system_sgpr_workgroup_id_x 1
		.amdhsa_system_sgpr_workgroup_id_y 1
		.amdhsa_system_sgpr_workgroup_id_z 0
		.amdhsa_system_sgpr_workgroup_info 0
		.amdhsa_system_vgpr_workitem_id 0
		.amdhsa_next_free_vgpr 6
		.amdhsa_next_free_sgpr 27
		.amdhsa_named_barrier_count 0
		.amdhsa_reserve_vcc 1
		.amdhsa_float_round_mode_32 0
		.amdhsa_float_round_mode_16_64 0
		.amdhsa_float_denorm_mode_32 3
		.amdhsa_float_denorm_mode_16_64 3
		.amdhsa_fp16_overflow 0
		.amdhsa_memory_ordered 1
		.amdhsa_forward_progress 1
		.amdhsa_inst_pref_size 9
		.amdhsa_round_robin_scheduling 0
		.amdhsa_exception_fp_ieee_invalid_op 0
		.amdhsa_exception_fp_denorm_src 0
		.amdhsa_exception_fp_ieee_div_zero 0
		.amdhsa_exception_fp_ieee_overflow 0
		.amdhsa_exception_fp_ieee_underflow 0
		.amdhsa_exception_fp_ieee_inexact 0
		.amdhsa_exception_int_div_zero 0
	.end_amdhsa_kernel
	.section	.text._ZL25flash_attn_mask_to_KV_maxILi8EEvPK7__half2Piiii,"axG",@progbits,_ZL25flash_attn_mask_to_KV_maxILi8EEvPK7__half2Piiii,comdat
.Lfunc_end1:
	.size	_ZL25flash_attn_mask_to_KV_maxILi8EEvPK7__half2Piiii, .Lfunc_end1-_ZL25flash_attn_mask_to_KV_maxILi8EEvPK7__half2Piiii
                                        ; -- End function
	.set _ZL25flash_attn_mask_to_KV_maxILi8EEvPK7__half2Piiii.num_vgpr, 6
	.set _ZL25flash_attn_mask_to_KV_maxILi8EEvPK7__half2Piiii.num_agpr, 0
	.set _ZL25flash_attn_mask_to_KV_maxILi8EEvPK7__half2Piiii.numbered_sgpr, 27
	.set _ZL25flash_attn_mask_to_KV_maxILi8EEvPK7__half2Piiii.num_named_barrier, 0
	.set _ZL25flash_attn_mask_to_KV_maxILi8EEvPK7__half2Piiii.private_seg_size, 0
	.set _ZL25flash_attn_mask_to_KV_maxILi8EEvPK7__half2Piiii.uses_vcc, 1
	.set _ZL25flash_attn_mask_to_KV_maxILi8EEvPK7__half2Piiii.uses_flat_scratch, 0
	.set _ZL25flash_attn_mask_to_KV_maxILi8EEvPK7__half2Piiii.has_dyn_sized_stack, 0
	.set _ZL25flash_attn_mask_to_KV_maxILi8EEvPK7__half2Piiii.has_recursion, 0
	.set _ZL25flash_attn_mask_to_KV_maxILi8EEvPK7__half2Piiii.has_indirect_call, 0
	.section	.AMDGPU.csdata,"",@progbits
; Kernel info:
; codeLenInByte = 1148
; TotalNumSgprs: 29
; NumVgprs: 6
; ScratchSize: 0
; MemoryBound: 0
; FloatMode: 240
; IeeeMode: 1
; LDSByteSize: 128 bytes/workgroup (compile time only)
; SGPRBlocks: 0
; VGPRBlocks: 0
; NumSGPRsForWavesPerEU: 29
; NumVGPRsForWavesPerEU: 6
; NamedBarCnt: 0
; Occupancy: 16
; WaveLimiterHint : 0
; COMPUTE_PGM_RSRC2:SCRATCH_EN: 0
; COMPUTE_PGM_RSRC2:USER_SGPR: 2
; COMPUTE_PGM_RSRC2:TRAP_HANDLER: 0
; COMPUTE_PGM_RSRC2:TGID_X_EN: 1
; COMPUTE_PGM_RSRC2:TGID_Y_EN: 1
; COMPUTE_PGM_RSRC2:TGID_Z_EN: 0
; COMPUTE_PGM_RSRC2:TIDIG_COMP_CNT: 0
	.section	.text._ZL33flash_attn_stream_k_fixup_uniformILi96ELi8ELi8EEvPfPK15HIP_vector_typeIfLj2EEiiiiiiS1_IjLj3EES5_S5_,"axG",@progbits,_ZL33flash_attn_stream_k_fixup_uniformILi96ELi8ELi8EEvPfPK15HIP_vector_typeIfLj2EEiiiiiiS1_IjLj3EES5_S5_,comdat
	.globl	_ZL33flash_attn_stream_k_fixup_uniformILi96ELi8ELi8EEvPfPK15HIP_vector_typeIfLj2EEiiiiiiS1_IjLj3EES5_S5_ ; -- Begin function _ZL33flash_attn_stream_k_fixup_uniformILi96ELi8ELi8EEvPfPK15HIP_vector_typeIfLj2EEiiiiiiS1_IjLj3EES5_S5_
	.p2align	8
	.type	_ZL33flash_attn_stream_k_fixup_uniformILi96ELi8ELi8EEvPfPK15HIP_vector_typeIfLj2EEiiiiiiS1_IjLj3EES5_S5_,@function
_ZL33flash_attn_stream_k_fixup_uniformILi96ELi8ELi8EEvPfPK15HIP_vector_typeIfLj2EEiiiiiiS1_IjLj3EES5_S5_: ; @_ZL33flash_attn_stream_k_fixup_uniformILi96ELi8ELi8EEvPfPK15HIP_vector_typeIfLj2EEiiiiiiS1_IjLj3EES5_S5_
; %bb.0:
	s_load_b256 s[4:11], s[0:1], 0x1c
	s_bfe_u32 s2, ttmp6, 0x40014
	s_lshr_b32 s3, ttmp7, 16
	s_add_co_i32 s2, s2, 1
	s_bfe_u32 s13, ttmp6, 0x40010
	s_mul_i32 s2, s3, s2
	s_bfe_u32 s12, ttmp6, 0x40008
	s_and_b32 s15, ttmp7, 0xffff
	s_add_co_i32 s13, s13, 1
	s_bfe_u32 s14, ttmp6, 0x4000c
	s_add_co_i32 s2, s12, s2
	s_mul_i32 s12, s15, s13
	s_bfe_u32 s13, ttmp6, 0x40004
	s_add_co_i32 s14, s14, 1
	s_add_co_i32 s13, s13, s12
	s_and_b32 s12, ttmp6, 15
	s_mul_i32 s14, ttmp9, s14
	s_getreg_b32 s20, hwreg(HW_REG_IB_STS2, 6, 4)
	s_add_co_i32 s12, s12, s14
	s_load_b128 s[16:19], s[0:1], 0x3c
	s_cmp_eq_u32 s20, 0
	s_cselect_b32 s14, ttmp9, s12
	s_cselect_b32 s12, s15, s13
	s_wait_kmcnt 0x0
	s_mul_hi_u32 s7, s7, s14
	s_cselect_b32 s13, s3, s2
	s_add_co_i32 s2, s14, s7
	s_delay_alu instid0(SALU_CYCLE_1) | instskip(NEXT) | instid1(SALU_CYCLE_1)
	s_lshr_b32 s7, s2, s8
	s_mul_i32 s2, s7, s9
	s_delay_alu instid0(SALU_CYCLE_1) | instskip(NEXT) | instid1(SALU_CYCLE_1)
	s_sub_co_i32 s8, s14, s2
	s_mul_hi_u32 s2, s8, s10
	s_delay_alu instid0(SALU_CYCLE_1) | instskip(SKIP_2) | instid1(SALU_CYCLE_1)
	s_add_co_i32 s9, s8, s2
	s_load_b64 s[2:3], s[0:1], 0x10
	s_lshr_b32 s15, s9, s11
	s_mul_i32 s9, s15, s16
	s_delay_alu instid0(SALU_CYCLE_1) | instskip(NEXT) | instid1(SALU_CYCLE_1)
	s_sub_co_i32 s8, s8, s9
	s_mul_hi_u32 s9, s8, s17
	s_delay_alu instid0(SALU_CYCLE_1) | instskip(NEXT) | instid1(SALU_CYCLE_1)
	s_add_co_i32 s9, s8, s9
	s_lshr_b32 s9, s9, s18
	s_delay_alu instid0(SALU_CYCLE_1) | instskip(SKIP_2) | instid1(SALU_CYCLE_1)
	s_mul_i32 s10, s9, s19
	s_lshl_b32 s17, s9, 3
	s_sub_co_i32 s16, s8, s10
	s_lshl_b32 s8, s16, 3
	s_delay_alu instid0(SALU_CYCLE_1) | instskip(SKIP_4) | instid1(SALU_CYCLE_1)
	s_add_co_i32 s8, s8, s12
	s_wait_kmcnt 0x0
	s_cmp_lt_i32 s8, s2
	s_cselect_b32 s8, -1, 0
	s_add_co_i32 s17, s17, s13
	s_cmp_lt_i32 s17, s5
	s_cselect_b32 s9, -1, 0
	s_delay_alu instid0(SALU_CYCLE_1) | instskip(NEXT) | instid1(SALU_CYCLE_1)
	s_and_b32 s8, s8, s9
	s_and_not1_b32 vcc_lo, exec_lo, s8
	s_cbranch_vccnz .LBB2_6
; %bb.1:
	s_load_b128 s[8:11], s[0:1], 0x0
	s_wait_xcnt 0x0
	s_mul_i32 s0, s7, s2
	s_mul_i32 s15, s15, s5
	s_add_co_i32 s0, s0, s12
	s_add_co_i32 s1, s17, s15
	s_mul_i32 s0, s0, s3
	s_mul_i32 s2, s3, s16
	s_add_co_i32 s0, s1, s0
	s_mulk_i32 s2, 0x300
	s_mulk_i32 s0, 0x60
	s_mul_i32 s7, s6, s14
	v_add3_u32 v4, s0, s2, v0
	s_lshl_b32 s5, s12, 3
	s_add_co_i32 s15, s7, s6
	s_add_co_i32 s0, s5, s13
	s_lshl_b32 s1, s15, 6
	v_ashrrev_i32_e32 v5, 31, v4
	s_add_co_i32 s0, s0, s1
	s_add_co_i32 s2, s15, -2
	s_sub_co_i32 s0, s0, 64
	s_wait_kmcnt 0x0
	global_load_b32 v3, v4, s[8:9] scale_offset
	s_ashr_i32 s1, s0, 31
	s_delay_alu instid0(SALU_CYCLE_1)
	s_lshl_b64 s[0:1], s[0:1], 3
	s_cmp_lt_i32 s2, s7
	s_add_nc_u64 s[0:1], s[10:11], s[0:1]
	s_load_b32 s16, s[0:1], 0x4
	s_cbranch_scc1 .LBB2_4
; %bb.2:
	s_wait_xcnt 0x0
	s_load_b32 s0, s[0:1], 0x0
	s_add_co_i32 s14, s14, 1
	s_mulk_i32 s12, 0x300
	s_wait_xcnt 0x0
	s_mul_i32 s1, s6, s14
	s_lshl_b32 s2, s4, 8
	s_lshl_b32 s6, s1, 6
	s_mulk_i32 s1, 0x1800
	s_add_co_i32 s6, s13, s6
	s_mulk_i32 s13, 0x60
	s_lshl_b32 s4, s4, 6
	s_add_co_i32 s12, s13, s12
	s_ashr_i32 s3, s2, 31
	s_add_co_i32 s12, s12, s1
	s_add_co_i32 s1, s6, s4
	v_add3_u32 v0, s12, v0, 0xffffd000
	s_wait_kmcnt 0x0
	v_mov_b32_e32 v2, s16
	s_lshl_b64 s[2:3], s[2:3], 2
	s_add_co_i32 s4, s1, s5
	s_add_nc_u64 s[2:3], s[10:11], s[2:3]
	s_add_co_i32 s1, s15, -1
	s_addk_co_i32 s4, 0xff80
.LBB2_3:                                ; =>This Inner Loop Header: Depth=1
	global_load_b32 v7, v0, s[2:3] scale_offset
	s_ashr_i32 s5, s4, 31
	v_max_num_f32_e64 v1, s0, s0
	s_lshl_b64 s[12:13], s[4:5], 3
	s_delay_alu instid0(SALU_CYCLE_1) | instskip(SKIP_1) | instid1(VALU_DEP_1)
	s_add_nc_u64 s[12:13], s[10:11], s[12:13]
	s_load_b64 s[12:13], s[12:13], 0x0
	v_readfirstlane_b32 s5, v1
	v_add_nc_u32_e32 v0, 0xffffe800, v0
	s_wait_kmcnt 0x0
	v_max_num_f32_e64 v1, s12, s12
	s_delay_alu instid0(VALU_DEP_1) | instskip(SKIP_1) | instid1(SALU_CYCLE_3)
	v_readfirstlane_b32 s6, v1
	s_max_num_f32 s5, s5, s6
	s_sub_f32 s0, s0, s5
	s_sub_f32 s6, s12, s5
	s_delay_alu instid0(SALU_CYCLE_2) | instskip(NEXT) | instid1(SALU_CYCLE_2)
	s_mul_f32 s12, s0, 0x3fb8aa3b
	s_mul_f32 s14, s6, 0x3fb8aa3b
	s_delay_alu instid0(SALU_CYCLE_2)
	s_xor_b32 s15, s12, 0x80000000
	s_rndne_f32 s16, s12
	s_fmamk_f32 s15, s0, 0x3fb8aa3b, s15
	s_cmp_nlt_f32 s0, 0xc2ce8ed0
	s_rndne_f32 s17, s14
	s_sub_f32 s12, s12, s16
	s_fmamk_f32 s15, s0, 0x32a5705f, s15
	s_cselect_b32 vcc_lo, -1, 0
	s_cmp_ngt_f32 s0, 0x42b17218
	s_delay_alu instid0(SALU_CYCLE_1) | instskip(SKIP_2) | instid1(SALU_CYCLE_1)
	s_add_f32 s12, s12, s15
	s_cvt_i32_f32 s15, s16
	s_sub_f32 s16, s14, s17
	v_s_exp_f32 s12, s12
	v_nop
	s_delay_alu instid0(TRANS32_DEP_1) | instskip(SKIP_1) | instid1(VALU_DEP_1)
	v_ldexp_f32 v1, s12, s15
	s_cvt_i32_f32 s12, s17
	v_cndmask_b32_e32 v1, 0, v1, vcc_lo
	s_cselect_b32 vcc_lo, -1, 0
	s_cmp_ge_f32 s0, 0xc1a00000
	s_delay_alu instid0(VALU_DEP_1)
	v_cndmask_b32_e32 v1, 0x7f800000, v1, vcc_lo
	s_cselect_b32 vcc_lo, -1, 0
	s_xor_b32 s0, s14, 0x80000000
	s_cmp_nlt_f32 s6, 0xc2ce8ed0
	s_fmamk_f32 s0, s6, 0x3fb8aa3b, s0
	v_cndmask_b32_e32 v10, 0, v1, vcc_lo
	s_delay_alu instid0(SALU_CYCLE_2) | instskip(NEXT) | instid1(SALU_CYCLE_3)
	s_fmamk_f32 s0, s6, 0x32a5705f, s0
	s_add_f32 s0, s16, s0
	s_delay_alu instid0(SALU_CYCLE_3) | instskip(SKIP_1) | instid1(TRANS32_DEP_1)
	v_s_exp_f32 s0, s0
	v_nop
	v_ldexp_f32 v6, s0, s12
	s_cselect_b32 s0, -1, 0
	s_cmp_ngt_f32 s6, 0x42b17218
	s_delay_alu instid0(VALU_DEP_1) | instskip(SKIP_2) | instid1(VALU_DEP_1)
	v_cndmask_b32_e64 v6, 0, v6, s0
	s_cselect_b32 s0, -1, 0
	s_cmp_ge_f32 s6, 0xc1a00000
	v_cndmask_b32_e64 v8, 0x7f800000, v6, s0
	s_cselect_b32 s0, -1, 0
	v_mov_b32_e32 v6, s13
	s_add_co_i32 s1, s1, -1
	s_sub_co_i32 s4, s4, 64
	v_cndmask_b32_e64 v8, 0, v8, s0
	s_cmp_le_i32 s1, s7
	s_mov_b32 s0, s5
	s_wait_loadcnt 0x0
	s_delay_alu instid0(VALU_DEP_1) | instskip(NEXT) | instid1(VALU_DEP_1)
	v_pk_mul_f32 v[6:7], v[6:7], v[8:9] op_sel_hi:[1,0]
	v_pk_fma_f32 v[2:3], v[2:3], v[10:11], v[6:7] op_sel_hi:[1,0,1]
	s_cbranch_scc0 .LBB2_3
	s_branch .LBB2_5
.LBB2_4:
	s_wait_kmcnt 0x0
	v_mov_b32_e32 v2, s16
.LBB2_5:
	v_lshl_add_u64 v[0:1], v[4:5], 2, s[8:9]
	s_wait_loadcnt 0x0
	s_delay_alu instid0(VALU_DEP_2) | instskip(NEXT) | instid1(VALU_DEP_1)
	v_div_scale_f32 v4, null, v2, v2, v3
	v_rcp_f32_e32 v5, v4
	v_nop
	s_delay_alu instid0(TRANS32_DEP_1) | instskip(NEXT) | instid1(VALU_DEP_1)
	v_fma_f32 v6, -v4, v5, 1.0
	v_fmac_f32_e32 v5, v6, v5
	v_div_scale_f32 v6, vcc_lo, v3, v2, v3
	s_delay_alu instid0(VALU_DEP_1) | instskip(NEXT) | instid1(VALU_DEP_1)
	v_mul_f32_e32 v7, v6, v5
	v_fma_f32 v8, -v4, v7, v6
	s_delay_alu instid0(VALU_DEP_1) | instskip(NEXT) | instid1(VALU_DEP_1)
	v_fmac_f32_e32 v7, v8, v5
	v_fma_f32 v4, -v4, v7, v6
	s_delay_alu instid0(VALU_DEP_1) | instskip(NEXT) | instid1(VALU_DEP_1)
	v_div_fmas_f32 v4, v4, v5, v7
	v_div_fixup_f32 v2, v4, v2, v3
	global_store_b32 v[0:1], v2, off
.LBB2_6:
	s_endpgm
	.section	.rodata,"a",@progbits
	.p2align	6, 0x0
	.amdhsa_kernel _ZL33flash_attn_stream_k_fixup_uniformILi96ELi8ELi8EEvPfPK15HIP_vector_typeIfLj2EEiiiiiiS1_IjLj3EES5_S5_
		.amdhsa_group_segment_fixed_size 0
		.amdhsa_private_segment_fixed_size 0
		.amdhsa_kernarg_size 76
		.amdhsa_user_sgpr_count 2
		.amdhsa_user_sgpr_dispatch_ptr 0
		.amdhsa_user_sgpr_queue_ptr 0
		.amdhsa_user_sgpr_kernarg_segment_ptr 1
		.amdhsa_user_sgpr_dispatch_id 0
		.amdhsa_user_sgpr_kernarg_preload_length 0
		.amdhsa_user_sgpr_kernarg_preload_offset 0
		.amdhsa_user_sgpr_private_segment_size 0
		.amdhsa_wavefront_size32 1
		.amdhsa_uses_dynamic_stack 0
		.amdhsa_enable_private_segment 0
		.amdhsa_system_sgpr_workgroup_id_x 1
		.amdhsa_system_sgpr_workgroup_id_y 1
		.amdhsa_system_sgpr_workgroup_id_z 1
		.amdhsa_system_sgpr_workgroup_info 0
		.amdhsa_system_vgpr_workitem_id 0
		.amdhsa_next_free_vgpr 12
		.amdhsa_next_free_sgpr 21
		.amdhsa_named_barrier_count 0
		.amdhsa_reserve_vcc 1
		.amdhsa_float_round_mode_32 0
		.amdhsa_float_round_mode_16_64 0
		.amdhsa_float_denorm_mode_32 3
		.amdhsa_float_denorm_mode_16_64 3
		.amdhsa_fp16_overflow 0
		.amdhsa_memory_ordered 1
		.amdhsa_forward_progress 1
		.amdhsa_inst_pref_size 9
		.amdhsa_round_robin_scheduling 0
		.amdhsa_exception_fp_ieee_invalid_op 0
		.amdhsa_exception_fp_denorm_src 0
		.amdhsa_exception_fp_ieee_div_zero 0
		.amdhsa_exception_fp_ieee_overflow 0
		.amdhsa_exception_fp_ieee_underflow 0
		.amdhsa_exception_fp_ieee_inexact 0
		.amdhsa_exception_int_div_zero 0
	.end_amdhsa_kernel
	.section	.text._ZL33flash_attn_stream_k_fixup_uniformILi96ELi8ELi8EEvPfPK15HIP_vector_typeIfLj2EEiiiiiiS1_IjLj3EES5_S5_,"axG",@progbits,_ZL33flash_attn_stream_k_fixup_uniformILi96ELi8ELi8EEvPfPK15HIP_vector_typeIfLj2EEiiiiiiS1_IjLj3EES5_S5_,comdat
.Lfunc_end2:
	.size	_ZL33flash_attn_stream_k_fixup_uniformILi96ELi8ELi8EEvPfPK15HIP_vector_typeIfLj2EEiiiiiiS1_IjLj3EES5_S5_, .Lfunc_end2-_ZL33flash_attn_stream_k_fixup_uniformILi96ELi8ELi8EEvPfPK15HIP_vector_typeIfLj2EEiiiiiiS1_IjLj3EES5_S5_
                                        ; -- End function
	.set _ZL33flash_attn_stream_k_fixup_uniformILi96ELi8ELi8EEvPfPK15HIP_vector_typeIfLj2EEiiiiiiS1_IjLj3EES5_S5_.num_vgpr, 12
	.set _ZL33flash_attn_stream_k_fixup_uniformILi96ELi8ELi8EEvPfPK15HIP_vector_typeIfLj2EEiiiiiiS1_IjLj3EES5_S5_.num_agpr, 0
	.set _ZL33flash_attn_stream_k_fixup_uniformILi96ELi8ELi8EEvPfPK15HIP_vector_typeIfLj2EEiiiiiiS1_IjLj3EES5_S5_.numbered_sgpr, 21
	.set _ZL33flash_attn_stream_k_fixup_uniformILi96ELi8ELi8EEvPfPK15HIP_vector_typeIfLj2EEiiiiiiS1_IjLj3EES5_S5_.num_named_barrier, 0
	.set _ZL33flash_attn_stream_k_fixup_uniformILi96ELi8ELi8EEvPfPK15HIP_vector_typeIfLj2EEiiiiiiS1_IjLj3EES5_S5_.private_seg_size, 0
	.set _ZL33flash_attn_stream_k_fixup_uniformILi96ELi8ELi8EEvPfPK15HIP_vector_typeIfLj2EEiiiiiiS1_IjLj3EES5_S5_.uses_vcc, 1
	.set _ZL33flash_attn_stream_k_fixup_uniformILi96ELi8ELi8EEvPfPK15HIP_vector_typeIfLj2EEiiiiiiS1_IjLj3EES5_S5_.uses_flat_scratch, 0
	.set _ZL33flash_attn_stream_k_fixup_uniformILi96ELi8ELi8EEvPfPK15HIP_vector_typeIfLj2EEiiiiiiS1_IjLj3EES5_S5_.has_dyn_sized_stack, 0
	.set _ZL33flash_attn_stream_k_fixup_uniformILi96ELi8ELi8EEvPfPK15HIP_vector_typeIfLj2EEiiiiiiS1_IjLj3EES5_S5_.has_recursion, 0
	.set _ZL33flash_attn_stream_k_fixup_uniformILi96ELi8ELi8EEvPfPK15HIP_vector_typeIfLj2EEiiiiiiS1_IjLj3EES5_S5_.has_indirect_call, 0
	.section	.AMDGPU.csdata,"",@progbits
; Kernel info:
; codeLenInByte = 1084
; TotalNumSgprs: 23
; NumVgprs: 12
; ScratchSize: 0
; MemoryBound: 0
; FloatMode: 240
; IeeeMode: 1
; LDSByteSize: 0 bytes/workgroup (compile time only)
; SGPRBlocks: 0
; VGPRBlocks: 0
; NumSGPRsForWavesPerEU: 23
; NumVGPRsForWavesPerEU: 12
; NamedBarCnt: 0
; Occupancy: 16
; WaveLimiterHint : 0
; COMPUTE_PGM_RSRC2:SCRATCH_EN: 0
; COMPUTE_PGM_RSRC2:USER_SGPR: 2
; COMPUTE_PGM_RSRC2:TRAP_HANDLER: 0
; COMPUTE_PGM_RSRC2:TGID_X_EN: 1
; COMPUTE_PGM_RSRC2:TGID_Y_EN: 1
; COMPUTE_PGM_RSRC2:TGID_Z_EN: 1
; COMPUTE_PGM_RSRC2:TIDIG_COMP_CNT: 0
	.section	.text._ZL33flash_attn_stream_k_fixup_generalILi96ELi8ELi8EEvPfPK15HIP_vector_typeIfLj2EEiiiiS1_IjLj3EES5_S5_S5_,"axG",@progbits,_ZL33flash_attn_stream_k_fixup_generalILi96ELi8ELi8EEvPfPK15HIP_vector_typeIfLj2EEiiiiS1_IjLj3EES5_S5_S5_,comdat
	.globl	_ZL33flash_attn_stream_k_fixup_generalILi96ELi8ELi8EEvPfPK15HIP_vector_typeIfLj2EEiiiiS1_IjLj3EES5_S5_S5_ ; -- Begin function _ZL33flash_attn_stream_k_fixup_generalILi96ELi8ELi8EEvPfPK15HIP_vector_typeIfLj2EEiiiiS1_IjLj3EES5_S5_S5_
	.p2align	8
	.type	_ZL33flash_attn_stream_k_fixup_generalILi96ELi8ELi8EEvPfPK15HIP_vector_typeIfLj2EEiiiiS1_IjLj3EES5_S5_S5_,@function
_ZL33flash_attn_stream_k_fixup_generalILi96ELi8ELi8EEvPfPK15HIP_vector_typeIfLj2EEiiiiS1_IjLj3EES5_S5_S5_: ; @_ZL33flash_attn_stream_k_fixup_generalILi96ELi8ELi8EEvPfPK15HIP_vector_typeIfLj2EEiiiiS1_IjLj3EES5_S5_S5_
; %bb.0:
	s_clause 0x1
	s_load_b128 s[4:7], s[0:1], 0x10
	s_load_b32 s16, s[0:1], 0x50
	s_bfe_u32 s2, ttmp6, 0x4000c
	s_and_b32 s3, ttmp6, 15
	s_add_co_i32 s2, s2, 1
	s_getreg_b32 s15, hwreg(HW_REG_IB_STS2, 6, 4)
	s_mul_i32 s2, ttmp9, s2
	s_mov_b32 s17, 0
	s_add_co_i32 s3, s3, s2
	s_cmp_eq_u32 s15, 0
	s_cselect_b32 s2, ttmp9, s3
	s_delay_alu instid0(SALU_CYCLE_1) | instskip(SKIP_3) | instid1(SALU_CYCLE_1)
	s_ashr_i32 s3, s2, 31
	s_wait_kmcnt 0x0
	s_ashr_i32 s19, s7, 31
	s_mov_b32 s18, s7
	s_mul_u64 s[8:9], s[18:19], s[2:3]
	s_delay_alu instid0(SALU_CYCLE_1) | instskip(NEXT) | instid1(SALU_CYCLE_1)
	s_and_b64 s[10:11], s[8:9], 0xffffffff00000000
	s_cmp_lg_u64 s[10:11], 0
	s_cbranch_scc0 .LBB3_21
; %bb.1:
	s_add_nc_u64 s[10:11], s[16:17], 0
	s_mov_b32 s23, s17
	s_xor_b64 s[10:11], s[10:11], 0
	s_mov_b32 s27, s17
	s_cvt_f32_u32 s3, s10
	s_cvt_f32_u32 s7, s11
	s_sub_nc_u64 s[20:21], 0, s[10:11]
	s_delay_alu instid0(SALU_CYCLE_2) | instskip(NEXT) | instid1(SALU_CYCLE_3)
	s_fmamk_f32 s3, s7, 0x4f800000, s3
	v_s_rcp_f32 s3, s3
	s_delay_alu instid0(TRANS32_DEP_1) | instskip(NEXT) | instid1(SALU_CYCLE_3)
	s_mul_f32 s3, s3, 0x5f7ffffc
	s_mul_f32 s7, s3, 0x2f800000
	s_delay_alu instid0(SALU_CYCLE_3) | instskip(NEXT) | instid1(SALU_CYCLE_3)
	s_trunc_f32 s7, s7
	s_fmamk_f32 s3, s7, 0xcf800000, s3
	s_cvt_u32_f32 s13, s7
	s_delay_alu instid0(SALU_CYCLE_2) | instskip(NEXT) | instid1(SALU_CYCLE_3)
	s_cvt_u32_f32 s12, s3
	s_mul_u64 s[24:25], s[20:21], s[12:13]
	s_delay_alu instid0(SALU_CYCLE_1)
	s_mul_hi_u32 s29, s12, s25
	s_mul_i32 s28, s12, s25
	s_mul_hi_u32 s22, s12, s24
	s_mul_i32 s7, s13, s24
	s_add_nc_u64 s[22:23], s[22:23], s[28:29]
	s_mul_hi_u32 s3, s13, s24
	s_mul_hi_u32 s14, s13, s25
	s_add_co_u32 s7, s22, s7
	s_add_co_ci_u32 s26, s23, s3
	s_mul_i32 s24, s13, s25
	s_add_co_ci_u32 s25, s14, 0
	s_delay_alu instid0(SALU_CYCLE_1) | instskip(SKIP_3) | instid1(SALU_CYCLE_1)
	s_add_nc_u64 s[22:23], s[26:27], s[24:25]
	s_mov_b32 s25, s17
	s_add_co_u32 s12, s12, s22
	s_cselect_b32 s3, -1, 0
	s_cmp_lg_u32 s3, 0
	s_add_co_ci_u32 s13, s13, s23
	s_mov_b32 s23, s17
	s_mul_u64 s[20:21], s[20:21], s[12:13]
	s_delay_alu instid0(SALU_CYCLE_1)
	s_mul_hi_u32 s27, s12, s21
	s_mul_i32 s26, s12, s21
	s_mul_hi_u32 s22, s12, s20
	s_mul_i32 s7, s13, s20
	s_add_nc_u64 s[22:23], s[22:23], s[26:27]
	s_mul_hi_u32 s3, s13, s20
	s_mul_hi_u32 s14, s13, s21
	s_add_co_u32 s7, s22, s7
	s_add_co_ci_u32 s24, s23, s3
	s_mul_i32 s20, s13, s21
	s_add_co_ci_u32 s21, s14, 0
	s_mov_b32 s23, s17
	s_add_nc_u64 s[20:21], s[24:25], s[20:21]
	s_delay_alu instid0(SALU_CYCLE_1) | instskip(SKIP_1) | instid1(SALU_CYCLE_1)
	s_add_co_u32 s3, s12, s20
	s_cselect_b32 s7, -1, 0
	s_cmp_lg_u32 s7, 0
	s_add_co_ci_u32 s7, s13, s21
	s_ashr_i32 s12, s9, 31
	s_delay_alu instid0(SALU_CYCLE_1) | instskip(NEXT) | instid1(SALU_CYCLE_1)
	s_mov_b32 s13, s12
	s_add_nc_u64 s[20:21], s[8:9], s[12:13]
	s_delay_alu instid0(SALU_CYCLE_1) | instskip(NEXT) | instid1(SALU_CYCLE_1)
	s_xor_b64 s[20:21], s[20:21], s[12:13]
	s_mul_hi_u32 s27, s20, s7
	s_mul_i32 s26, s20, s7
	s_mul_hi_u32 s22, s20, s3
	s_mul_hi_u32 s14, s21, s3
	s_mul_i32 s3, s21, s3
	s_add_nc_u64 s[22:23], s[22:23], s[26:27]
	s_mul_hi_u32 s9, s21, s7
	s_add_co_u32 s3, s22, s3
	s_add_co_ci_u32 s24, s23, s14
	s_mul_i32 s26, s21, s7
	s_add_co_ci_u32 s27, s9, 0
	s_delay_alu instid0(SALU_CYCLE_1) | instskip(NEXT) | instid1(SALU_CYCLE_1)
	s_add_nc_u64 s[22:23], s[24:25], s[26:27]
	s_and_b64 s[24:25], s[22:23], 0xffffffff00000000
	s_delay_alu instid0(SALU_CYCLE_1) | instskip(NEXT) | instid1(SALU_CYCLE_1)
	s_or_b32 s24, s24, s22
	s_mul_u64 s[22:23], s[10:11], s[24:25]
	s_add_nc_u64 s[26:27], s[24:25], 1
	s_sub_co_u32 s3, s20, s22
	s_cselect_b32 s7, -1, 0
	s_sub_co_i32 s9, s21, s23
	s_cmp_lg_u32 s7, 0
	s_add_nc_u64 s[28:29], s[24:25], 2
	s_sub_co_ci_u32 s9, s9, s11
	s_sub_co_u32 s14, s3, s10
	s_cselect_b32 s20, -1, 0
	s_delay_alu instid0(SALU_CYCLE_1) | instskip(SKIP_1) | instid1(SALU_CYCLE_1)
	s_cmp_lg_u32 s20, 0
	s_sub_co_ci_u32 s9, s9, 0
	s_cmp_ge_u32 s9, s11
	s_cselect_b32 s20, -1, 0
	s_cmp_ge_u32 s14, s10
	s_cselect_b32 s14, -1, 0
	s_cmp_eq_u32 s9, s11
	s_cselect_b32 s9, s14, s20
	s_delay_alu instid0(SALU_CYCLE_1) | instskip(SKIP_4) | instid1(SALU_CYCLE_1)
	s_cmp_lg_u32 s9, 0
	s_cselect_b32 s9, s28, s26
	s_cselect_b32 s14, s29, s27
	s_cmp_lg_u32 s7, 0
	s_sub_co_ci_u32 s7, s21, s23
	s_cmp_ge_u32 s7, s11
	s_cselect_b32 s20, -1, 0
	s_cmp_ge_u32 s3, s10
	s_cselect_b32 s3, -1, 0
	s_cmp_eq_u32 s7, s11
	s_cselect_b32 s3, s3, s20
	s_delay_alu instid0(SALU_CYCLE_1) | instskip(SKIP_4) | instid1(SALU_CYCLE_1)
	s_cmp_lg_u32 s3, 0
	s_mov_b32 s3, s17
	s_cselect_b32 s11, s14, s25
	s_cselect_b32 s10, s9, s24
	s_xor_b64 s[12:13], s[12:13], 0
	s_xor_b64 s[10:11], s[10:11], s[12:13]
	s_delay_alu instid0(SALU_CYCLE_1)
	s_sub_nc_u64 s[20:21], s[10:11], s[12:13]
	s_and_not1_b32 vcc_lo, exec_lo, s3
	s_cbranch_vccnz .LBB3_3
.LBB3_2:
	v_cvt_f32_u32_e32 v1, s16
	s_sub_co_i32 s7, 0, s16
	s_mov_b32 s21, 0
	s_delay_alu instid0(VALU_DEP_1) | instskip(SKIP_1) | instid1(TRANS32_DEP_1)
	v_rcp_iflag_f32_e32 v1, v1
	v_nop
	v_mul_f32_e32 v1, 0x4f7ffffe, v1
	s_delay_alu instid0(VALU_DEP_1) | instskip(NEXT) | instid1(VALU_DEP_1)
	v_cvt_u32_f32_e32 v1, v1
	v_readfirstlane_b32 s3, v1
	s_mul_i32 s7, s7, s3
	s_delay_alu instid0(SALU_CYCLE_1) | instskip(NEXT) | instid1(SALU_CYCLE_1)
	s_mul_hi_u32 s7, s3, s7
	s_add_co_i32 s3, s3, s7
	s_delay_alu instid0(SALU_CYCLE_1) | instskip(NEXT) | instid1(SALU_CYCLE_1)
	s_mul_hi_u32 s3, s8, s3
	s_mul_i32 s7, s3, s16
	s_delay_alu instid0(SALU_CYCLE_1)
	s_sub_co_i32 s7, s8, s7
	s_add_co_i32 s8, s3, 1
	s_sub_co_i32 s9, s7, s16
	s_cmp_ge_u32 s7, s16
	s_cselect_b32 s3, s8, s3
	s_cselect_b32 s7, s9, s7
	s_add_co_i32 s8, s3, 1
	s_cmp_ge_u32 s7, s16
	s_cselect_b32 s20, s8, s3
.LBB3_3:
	s_add_co_i32 s8, s2, 1
	s_delay_alu instid0(SALU_CYCLE_1) | instskip(NEXT) | instid1(SALU_CYCLE_1)
	s_ashr_i32 s9, s8, 31
	s_mul_u64 s[8:9], s[18:19], s[8:9]
	s_delay_alu instid0(SALU_CYCLE_1) | instskip(NEXT) | instid1(SALU_CYCLE_1)
	s_and_b64 s[10:11], s[8:9], 0xffffffff00000000
	s_cmp_lg_u64 s[10:11], 0
	s_cbranch_scc0 .LBB3_22
; %bb.4:
	s_add_nc_u64 s[10:11], s[16:17], 0
	s_delay_alu instid0(SALU_CYCLE_1) | instskip(SKIP_4) | instid1(SALU_CYCLE_2)
	s_xor_b64 s[12:13], s[10:11], 0
	s_mov_b32 s11, 0
	s_cvt_f32_u32 s3, s12
	s_cvt_f32_u32 s7, s13
	s_sub_nc_u64 s[24:25], 0, s[12:13]
	s_fmamk_f32 s3, s7, 0x4f800000, s3
	s_delay_alu instid0(SALU_CYCLE_3) | instskip(NEXT) | instid1(TRANS32_DEP_1)
	v_s_rcp_f32 s3, s3
	s_mul_f32 s3, s3, 0x5f7ffffc
	s_delay_alu instid0(SALU_CYCLE_3) | instskip(NEXT) | instid1(SALU_CYCLE_3)
	s_mul_f32 s7, s3, 0x2f800000
	s_trunc_f32 s7, s7
	s_delay_alu instid0(SALU_CYCLE_3) | instskip(SKIP_1) | instid1(SALU_CYCLE_2)
	s_fmamk_f32 s3, s7, 0xcf800000, s3
	s_cvt_u32_f32 s23, s7
	s_cvt_u32_f32 s22, s3
	s_delay_alu instid0(SALU_CYCLE_3) | instskip(NEXT) | instid1(SALU_CYCLE_1)
	s_mul_u64 s[26:27], s[24:25], s[22:23]
	s_mul_hi_u32 s29, s22, s27
	s_mul_i32 s28, s22, s27
	s_mul_hi_u32 s10, s22, s26
	s_mul_i32 s7, s23, s26
	s_add_nc_u64 s[28:29], s[10:11], s[28:29]
	s_mul_hi_u32 s3, s23, s26
	s_mul_hi_u32 s14, s23, s27
	s_add_co_u32 s7, s28, s7
	s_add_co_ci_u32 s10, s29, s3
	s_mul_i32 s26, s23, s27
	s_add_co_ci_u32 s27, s14, 0
	s_delay_alu instid0(SALU_CYCLE_1) | instskip(NEXT) | instid1(SALU_CYCLE_1)
	s_add_nc_u64 s[26:27], s[10:11], s[26:27]
	s_add_co_u32 s22, s22, s26
	s_cselect_b32 s3, -1, 0
	s_delay_alu instid0(SALU_CYCLE_1) | instskip(SKIP_1) | instid1(SALU_CYCLE_1)
	s_cmp_lg_u32 s3, 0
	s_add_co_ci_u32 s23, s23, s27
	s_mul_u64 s[24:25], s[24:25], s[22:23]
	s_delay_alu instid0(SALU_CYCLE_1)
	s_mul_hi_u32 s27, s22, s25
	s_mul_i32 s26, s22, s25
	s_mul_hi_u32 s10, s22, s24
	s_mul_i32 s7, s23, s24
	s_add_nc_u64 s[26:27], s[10:11], s[26:27]
	s_mul_hi_u32 s3, s23, s24
	s_mul_hi_u32 s14, s23, s25
	s_add_co_u32 s7, s26, s7
	s_add_co_ci_u32 s10, s27, s3
	s_mul_i32 s24, s23, s25
	s_add_co_ci_u32 s25, s14, 0
	s_delay_alu instid0(SALU_CYCLE_1) | instskip(NEXT) | instid1(SALU_CYCLE_1)
	s_add_nc_u64 s[24:25], s[10:11], s[24:25]
	s_add_co_u32 s3, s22, s24
	s_cselect_b32 s7, -1, 0
	s_delay_alu instid0(SALU_CYCLE_1) | instskip(SKIP_2) | instid1(SALU_CYCLE_1)
	s_cmp_lg_u32 s7, 0
	s_add_co_ci_u32 s7, s23, s25
	s_ashr_i32 s22, s9, 31
	s_mov_b32 s23, s22
	s_delay_alu instid0(SALU_CYCLE_1) | instskip(NEXT) | instid1(SALU_CYCLE_1)
	s_add_nc_u64 s[24:25], s[8:9], s[22:23]
	s_xor_b64 s[24:25], s[24:25], s[22:23]
	s_delay_alu instid0(SALU_CYCLE_1)
	s_mul_hi_u32 s27, s24, s7
	s_mul_i32 s26, s24, s7
	s_mul_hi_u32 s10, s24, s3
	s_mul_hi_u32 s14, s25, s3
	s_mul_i32 s3, s25, s3
	s_add_nc_u64 s[26:27], s[10:11], s[26:27]
	s_mul_hi_u32 s9, s25, s7
	s_add_co_u32 s3, s26, s3
	s_add_co_ci_u32 s10, s27, s14
	s_mul_i32 s28, s25, s7
	s_add_co_ci_u32 s29, s9, 0
	s_delay_alu instid0(SALU_CYCLE_1) | instskip(NEXT) | instid1(SALU_CYCLE_1)
	s_add_nc_u64 s[26:27], s[10:11], s[28:29]
	s_and_b64 s[28:29], s[26:27], 0xffffffff00000000
	s_delay_alu instid0(SALU_CYCLE_1) | instskip(NEXT) | instid1(SALU_CYCLE_1)
	s_or_b32 s28, s28, s26
	s_mul_u64 s[26:27], s[12:13], s[28:29]
	s_add_nc_u64 s[30:31], s[28:29], 1
	s_sub_co_u32 s3, s24, s26
	s_cselect_b32 s7, -1, 0
	s_sub_co_i32 s9, s25, s27
	s_cmp_lg_u32 s7, 0
	s_add_nc_u64 s[34:35], s[28:29], 2
	s_sub_co_ci_u32 s9, s9, s13
	s_sub_co_u32 s10, s3, s12
	s_cselect_b32 s14, -1, 0
	s_delay_alu instid0(SALU_CYCLE_1) | instskip(SKIP_1) | instid1(SALU_CYCLE_1)
	s_cmp_lg_u32 s14, 0
	s_sub_co_ci_u32 s9, s9, 0
	s_cmp_ge_u32 s9, s13
	s_cselect_b32 s14, -1, 0
	s_cmp_ge_u32 s10, s12
	s_cselect_b32 s10, -1, 0
	s_cmp_eq_u32 s9, s13
	s_cselect_b32 s9, s10, s14
	s_delay_alu instid0(SALU_CYCLE_1) | instskip(SKIP_4) | instid1(SALU_CYCLE_1)
	s_cmp_lg_u32 s9, 0
	s_cselect_b32 s9, s34, s30
	s_cselect_b32 s10, s35, s31
	s_cmp_lg_u32 s7, 0
	s_sub_co_ci_u32 s7, s25, s27
	s_cmp_ge_u32 s7, s13
	s_cselect_b32 s14, -1, 0
	s_cmp_ge_u32 s3, s12
	s_cselect_b32 s3, -1, 0
	s_cmp_eq_u32 s7, s13
	s_cselect_b32 s3, s3, s14
	s_delay_alu instid0(SALU_CYCLE_1) | instskip(SKIP_3) | instid1(SALU_CYCLE_1)
	s_cmp_lg_u32 s3, 0
	s_cselect_b32 s13, s10, s29
	s_cselect_b32 s12, s9, s28
	s_xor_b64 s[22:23], s[22:23], 0
	s_xor_b64 s[12:13], s[12:13], s[22:23]
	s_delay_alu instid0(SALU_CYCLE_1)
	s_sub_nc_u64 s[24:25], s[12:13], s[22:23]
	s_load_b96 s[12:14], s[0:1], 0x44
	s_cbranch_execnz .LBB3_6
.LBB3_5:
	v_cvt_f32_u32_e32 v1, s16
	s_sub_co_i32 s7, 0, s16
	s_delay_alu instid0(VALU_DEP_1) | instskip(SKIP_1) | instid1(TRANS32_DEP_1)
	v_rcp_iflag_f32_e32 v1, v1
	v_nop
	v_mul_f32_e32 v1, 0x4f7ffffe, v1
	s_delay_alu instid0(VALU_DEP_1) | instskip(NEXT) | instid1(VALU_DEP_1)
	v_cvt_u32_f32_e32 v1, v1
	v_readfirstlane_b32 s3, v1
	s_mul_i32 s7, s7, s3
	s_delay_alu instid0(SALU_CYCLE_1) | instskip(NEXT) | instid1(SALU_CYCLE_1)
	s_mul_hi_u32 s7, s3, s7
	s_add_co_i32 s3, s3, s7
	s_delay_alu instid0(SALU_CYCLE_1) | instskip(NEXT) | instid1(SALU_CYCLE_1)
	s_mul_hi_u32 s3, s8, s3
	s_mul_i32 s7, s3, s16
	s_delay_alu instid0(SALU_CYCLE_1)
	s_sub_co_i32 s7, s8, s7
	s_add_co_i32 s8, s3, 1
	s_sub_co_i32 s9, s7, s16
	s_cmp_ge_u32 s7, s16
	s_cselect_b32 s3, s8, s3
	s_cselect_b32 s7, s9, s7
	s_add_co_i32 s8, s3, 1
	s_cmp_ge_u32 s7, s16
	s_cselect_b32 s24, s8, s3
.LBB3_6:
	s_delay_alu instid0(SALU_CYCLE_1)
	s_cmp_eq_u32 s20, s24
	s_mov_b64 s[8:9], 0xffffffff
	s_cselect_b32 s3, -1, 0
	s_and_b64 s[8:9], s[20:21], s[8:9]
	s_mov_b32 s23, 0
	s_wait_kmcnt 0x0
	s_mov_b32 s22, s12
	s_mov_b32 s25, s23
	s_mul_u64 s[10:11], s[8:9], s[22:23]
	s_delay_alu instid0(SALU_CYCLE_1) | instskip(SKIP_2) | instid1(SALU_CYCLE_1)
	s_add_co_i32 s7, s11, s20
	s_mul_u64 s[10:11], s[24:25], s[22:23]
	s_lshr_b32 s12, s7, s13
	s_mul_i32 s7, s12, s14
	s_delay_alu instid0(SALU_CYCLE_1) | instskip(SKIP_2) | instid1(SALU_CYCLE_1)
	s_cmp_eq_u32 s7, s20
	s_cselect_b32 s7, -1, 0
	s_add_co_i32 s10, s11, s24
	s_lshr_b32 s10, s10, s13
	s_delay_alu instid0(SALU_CYCLE_1)
	s_cmp_eq_u32 s12, s10
	s_mul_i32 s10, s10, s14
	s_cselect_b32 s11, -1, 0
	s_cmp_lg_u32 s10, s24
	s_cselect_b32 s10, -1, 0
	s_or_b32 s3, s3, s7
	s_and_b32 s10, s11, s10
	s_delay_alu instid0(SALU_CYCLE_1) | instskip(NEXT) | instid1(SALU_CYCLE_1)
	s_or_b32 s3, s3, s10
	s_and_b32 vcc_lo, exec_lo, s3
	s_cbranch_vccnz .LBB3_24
; %bb.7:
	s_load_b256 s[24:31], s[0:1], 0x20
	s_bfe_u32 s7, ttmp6, 0x40014
	s_bfe_u32 s33, ttmp6, 0x40010
	s_lshr_b32 s3, ttmp7, 16
	s_add_co_i32 s7, s7, 1
	s_and_b32 s21, ttmp7, 0xffff
	s_add_co_i32 s33, s33, 1
	s_bfe_u32 s10, ttmp6, 0x40008
	s_mul_i32 s7, s3, s7
	s_bfe_u32 s34, ttmp6, 0x40004
	s_mul_i32 s33, s21, s33
	s_mov_b32 s11, s23
	s_add_co_i32 s35, s10, s7
	s_add_co_i32 s34, s34, s33
	s_cmp_eq_u32 s15, 0
	s_cselect_b32 s7, s21, s34
	s_cselect_b32 s3, s3, s35
	s_wait_kmcnt 0x0
	s_mov_b32 s10, s24
	s_delay_alu instid0(SALU_CYCLE_1) | instskip(NEXT) | instid1(SALU_CYCLE_1)
	s_mul_u64 s[8:9], s[8:9], s[10:11]
	s_add_co_i32 s8, s9, s20
	s_delay_alu instid0(SALU_CYCLE_1) | instskip(SKIP_2) | instid1(SALU_CYCLE_1)
	s_lshr_b32 s15, s8, s25
	s_load_b32 s8, s[0:1], 0x40
	s_mul_i32 s9, s15, s26
	s_sub_co_i32 s9, s20, s9
	s_delay_alu instid0(SALU_CYCLE_1) | instskip(NEXT) | instid1(SALU_CYCLE_1)
	s_mul_hi_u32 s10, s9, s27
	s_add_co_i32 s10, s9, s10
	s_delay_alu instid0(SALU_CYCLE_1) | instskip(NEXT) | instid1(SALU_CYCLE_1)
	s_lshr_b32 s21, s10, s28
	s_mul_i32 s10, s21, s29
	s_delay_alu instid0(SALU_CYCLE_1) | instskip(NEXT) | instid1(SALU_CYCLE_1)
	s_sub_co_i32 s10, s9, s10
	s_mul_hi_u32 s9, s10, s30
	s_delay_alu instid0(SALU_CYCLE_1) | instskip(NEXT) | instid1(SALU_CYCLE_1)
	s_add_co_i32 s9, s10, s9
	s_lshr_b32 s25, s9, s31
	s_mov_b32 s9, s23
	s_wait_kmcnt 0x0
	s_mul_i32 s8, s25, s8
	s_lshl_b32 s25, s25, 3
	s_sub_co_i32 s8, s10, s8
	s_delay_alu instid0(SALU_CYCLE_1) | instskip(NEXT) | instid1(SALU_CYCLE_1)
	s_mul_u64 s[10:11], s[8:9], s[22:23]
	s_add_co_i32 s8, s8, s11
	s_delay_alu instid0(SALU_CYCLE_1) | instskip(NEXT) | instid1(SALU_CYCLE_1)
	s_lshr_b32 s24, s8, s13
	s_lshl_b32 s8, s24, 3
	s_delay_alu instid0(SALU_CYCLE_1) | instskip(NEXT) | instid1(SALU_CYCLE_1)
	s_add_co_i32 s8, s8, s7
	s_cmp_lt_i32 s8, s4
	s_cselect_b32 s8, -1, 0
	s_add_co_i32 s25, s25, s3
	s_delay_alu instid0(SALU_CYCLE_1) | instskip(SKIP_1) | instid1(SALU_CYCLE_1)
	s_cmp_lt_i32 s25, s6
	s_cselect_b32 s9, -1, 0
	s_and_b32 s8, s8, s9
	s_delay_alu instid0(SALU_CYCLE_1)
	s_and_not1_b32 vcc_lo, exec_lo, s8
	s_cbranch_vccnz .LBB3_24
; %bb.8:
	s_load_b128 s[8:11], s[0:1], 0x0
	s_wait_xcnt 0x0
	s_mul_i32 s0, s15, s4
	s_mul_i32 s21, s21, s6
	s_add_co_i32 s0, s0, s7
	s_add_co_i32 s1, s25, s21
	s_mul_i32 s0, s0, s5
	s_mul_i32 s4, s5, s24
	s_add_co_i32 s0, s1, s0
	s_mulk_i32 s4, 0x300
	s_mulk_i32 s0, 0x60
	s_lshl_b32 s15, s7, 3
	v_add3_u32 v2, s4, s0, v0
	s_add_nc_u64 s[0:1], s[16:17], 0
	s_add_co_i32 s15, s15, s3
	s_xor_b64 s[6:7], s[0:1], 0
	s_lshl_b32 s0, s2, 6
	s_cvt_f32_u32 s3, s6
	s_cvt_f32_u32 s4, s7
	s_add_co_i32 s0, s15, s0
	v_cvt_f32_u32_e32 v4, s16
	s_wait_kmcnt 0x0
	global_load_b32 v1, v2, s[8:9] scale_offset
	s_fmamk_f32 s3, s4, 0x4f800000, s3
	s_ashr_i32 s1, s0, 31
	s_lshl_b32 s24, s16, 8
	s_lshl_b64 s[0:1], s[0:1], 3
	v_s_rcp_f32 s3, s3
	s_add_nc_u64 s[0:1], s[10:11], s[0:1]
	v_rcp_iflag_f32_e32 v4, v4
	s_load_b64 s[28:29], s[0:1], 0x0
	s_mov_b32 s25, 0
	v_mad_u32 v6, 0x60, s15, v0
	v_ashrrev_i32_e32 v3, 31, v2
	s_wait_xcnt 0x0
	s_lshl_b64 s[0:1], s[24:25], 2
	s_mul_f32 s3, s3, 0x5f7ffffc
	v_mul_f32_e32 v4, 0x4f7ffffe, v4
	s_add_nc_u64 s[26:27], s[10:11], s[0:1]
	v_lshl_add_u64 v[2:3], v[2:3], 2, s[8:9]
	s_mul_f32 s4, s3, 0x2f800000
	s_mov_b64 s[8:9], 0xffffffff
	v_cvt_u32_f32_e32 v7, v4
	s_add_co_i32 s36, s2, -1
	s_trunc_f32 s4, s4
	s_sub_nc_u64 s[34:35], 0, s[6:7]
	s_delay_alu instid0(SALU_CYCLE_2)
	s_fmamk_f32 s0, s4, 0xcf800000, s3
	s_cvt_u32_f32 s31, s4
	s_wait_kmcnt 0x0
	v_mov_b32_e32 v0, s29
	s_cvt_u32_f32 s30, s0
.LBB3_9:                                ; =>This Inner Loop Header: Depth=1
	s_ashr_i32 s37, s36, 31
                                        ; implicit-def: $sgpr40_sgpr41
	s_delay_alu instid0(SALU_CYCLE_1) | instskip(NEXT) | instid1(SALU_CYCLE_1)
	s_mul_u64 s[0:1], s[36:37], s[18:19]
	s_and_b64 s[2:3], s[0:1], 0xffffffff00000000
	s_delay_alu instid0(SALU_CYCLE_1)
	s_cmp_lg_u64 s[2:3], 0
	s_mov_b32 s2, -1
	s_cbranch_scc0 .LBB3_11
; %bb.10:                               ;   in Loop: Header=BB3_9 Depth=1
	s_mul_u64 s[2:3], s[34:35], s[30:31]
	s_delay_alu instid0(SALU_CYCLE_1)
	s_mul_hi_u32 s5, s30, s3
	s_mul_i32 s4, s30, s3
	s_mul_hi_u32 s24, s30, s2
	s_mul_hi_u32 s17, s31, s2
	s_add_nc_u64 s[4:5], s[24:25], s[4:5]
	s_mul_i32 s2, s31, s2
	s_mul_hi_u32 s21, s31, s3
	s_add_co_u32 s2, s4, s2
	s_add_co_ci_u32 s24, s5, s17
	s_add_co_ci_u32 s5, s21, 0
	s_mul_i32 s4, s31, s3
	s_delay_alu instid0(SALU_CYCLE_1) | instskip(NEXT) | instid1(SALU_CYCLE_1)
	s_add_nc_u64 s[2:3], s[24:25], s[4:5]
	s_add_co_u32 s2, s30, s2
	s_cselect_b32 s4, -1, 0
	s_delay_alu instid0(SALU_CYCLE_1) | instskip(SKIP_1) | instid1(SALU_CYCLE_1)
	s_cmp_lg_u32 s4, 0
	s_add_co_ci_u32 s3, s31, s3
	s_mul_u64 s[4:5], s[34:35], s[2:3]
	s_delay_alu instid0(SALU_CYCLE_1)
	s_mul_hi_u32 s39, s2, s5
	s_mul_i32 s38, s2, s5
	s_mul_hi_u32 s24, s2, s4
	s_mul_hi_u32 s17, s3, s4
	s_mul_i32 s4, s3, s4
	s_add_nc_u64 s[38:39], s[24:25], s[38:39]
	s_mul_hi_u32 s21, s3, s5
	s_add_co_u32 s4, s38, s4
	s_add_co_ci_u32 s24, s39, s17
	s_mul_i32 s4, s3, s5
	s_add_co_ci_u32 s5, s21, 0
	s_delay_alu instid0(SALU_CYCLE_1) | instskip(NEXT) | instid1(SALU_CYCLE_1)
	s_add_nc_u64 s[4:5], s[24:25], s[4:5]
	s_add_co_u32 s17, s2, s4
	s_cselect_b32 s2, -1, 0
	s_delay_alu instid0(SALU_CYCLE_1) | instskip(SKIP_2) | instid1(SALU_CYCLE_1)
	s_cmp_lg_u32 s2, 0
	s_add_co_ci_u32 s21, s3, s5
	s_ashr_i32 s2, s1, 31
	s_mov_b32 s3, s2
	s_delay_alu instid0(SALU_CYCLE_1) | instskip(NEXT) | instid1(SALU_CYCLE_1)
	s_add_nc_u64 s[4:5], s[0:1], s[2:3]
	s_xor_b64 s[4:5], s[4:5], s[2:3]
	s_delay_alu instid0(SALU_CYCLE_1)
	s_mul_hi_u32 s39, s4, s21
	s_mul_i32 s38, s4, s21
	s_mul_hi_u32 s24, s4, s17
	s_mul_hi_u32 s29, s5, s17
	s_mul_i32 s17, s5, s17
	s_add_nc_u64 s[38:39], s[24:25], s[38:39]
	s_mul_hi_u32 s1, s5, s21
	s_add_co_u32 s17, s38, s17
	s_add_co_ci_u32 s24, s39, s29
	s_mul_i32 s40, s5, s21
	s_add_co_ci_u32 s41, s1, 0
	s_delay_alu instid0(SALU_CYCLE_1) | instskip(NEXT) | instid1(SALU_CYCLE_1)
	s_add_nc_u64 s[38:39], s[24:25], s[40:41]
	s_and_b64 s[40:41], s[38:39], 0xffffffff00000000
	s_delay_alu instid0(SALU_CYCLE_1) | instskip(NEXT) | instid1(SALU_CYCLE_1)
	s_or_b32 s40, s40, s38
	s_mul_u64 s[38:39], s[6:7], s[40:41]
	s_add_nc_u64 s[42:43], s[40:41], 1
	s_sub_co_u32 s1, s4, s38
	s_cselect_b32 s4, -1, 0
	s_sub_co_i32 s17, s5, s39
	s_cmp_lg_u32 s4, 0
	s_add_nc_u64 s[44:45], s[40:41], 2
	s_sub_co_ci_u32 s17, s17, s7
	s_sub_co_u32 s21, s1, s6
	s_cselect_b32 s24, -1, 0
	s_delay_alu instid0(SALU_CYCLE_1) | instskip(SKIP_1) | instid1(SALU_CYCLE_1)
	s_cmp_lg_u32 s24, 0
	s_sub_co_ci_u32 s17, s17, 0
	s_cmp_ge_u32 s17, s7
	s_cselect_b32 s24, -1, 0
	s_cmp_ge_u32 s21, s6
	s_cselect_b32 s21, -1, 0
	s_cmp_eq_u32 s17, s7
	s_cselect_b32 s17, s21, s24
	s_delay_alu instid0(SALU_CYCLE_1) | instskip(SKIP_4) | instid1(SALU_CYCLE_1)
	s_cmp_lg_u32 s17, 0
	s_cselect_b32 s17, s44, s42
	s_cselect_b32 s21, s45, s43
	s_cmp_lg_u32 s4, 0
	s_sub_co_ci_u32 s4, s5, s39
	s_cmp_ge_u32 s4, s7
	s_cselect_b32 s5, -1, 0
	s_cmp_ge_u32 s1, s6
	s_cselect_b32 s1, -1, 0
	s_cmp_eq_u32 s4, s7
	s_cselect_b32 s1, s1, s5
	s_delay_alu instid0(SALU_CYCLE_1) | instskip(SKIP_3) | instid1(SALU_CYCLE_1)
	s_cmp_lg_u32 s1, 0
	s_cselect_b32 s5, s21, s41
	s_cselect_b32 s4, s17, s40
	s_xor_b64 s[2:3], s[2:3], 0
	s_xor_b64 s[4:5], s[4:5], s[2:3]
	s_delay_alu instid0(SALU_CYCLE_1)
	s_sub_nc_u64 s[40:41], s[4:5], s[2:3]
	s_mov_b32 s2, 0
.LBB3_11:                               ;   in Loop: Header=BB3_9 Depth=1
	s_delay_alu instid0(SALU_CYCLE_1)
	s_and_not1_b32 vcc_lo, exec_lo, s2
	s_cbranch_vccnz .LBB3_13
; %bb.12:                               ;   in Loop: Header=BB3_9 Depth=1
	v_readfirstlane_b32 s1, v7
	s_sub_co_i32 s2, 0, s16
	s_delay_alu instid0(SALU_CYCLE_1) | instskip(NEXT) | instid1(SALU_CYCLE_1)
	s_mul_i32 s2, s2, s1
	s_mul_hi_u32 s2, s1, s2
	s_delay_alu instid0(SALU_CYCLE_1) | instskip(NEXT) | instid1(SALU_CYCLE_1)
	s_add_co_i32 s1, s1, s2
	s_mul_hi_u32 s1, s0, s1
	s_delay_alu instid0(SALU_CYCLE_1) | instskip(NEXT) | instid1(SALU_CYCLE_1)
	s_mul_i32 s2, s1, s16
	s_sub_co_i32 s0, s0, s2
	s_add_co_i32 s2, s1, 1
	s_sub_co_i32 s3, s0, s16
	s_cmp_ge_u32 s0, s16
	s_cselect_b32 s1, s2, s1
	s_cselect_b32 s0, s3, s0
	s_add_co_i32 s2, s1, 1
	s_cmp_ge_u32 s0, s16
	s_cselect_b32 s24, s2, s1
	s_delay_alu instid0(SALU_CYCLE_1)
	s_mov_b64 s[40:41], s[24:25]
.LBB3_13:                               ;   in Loop: Header=BB3_9 Depth=1
	s_delay_alu instid0(SALU_CYCLE_1)
	s_cmp_lg_u32 s20, s40
	s_mov_b32 s0, -1
                                        ; implicit-def: $vgpr4_vgpr5
                                        ; implicit-def: $sgpr24
                                        ; implicit-def: $sgpr17
                                        ; implicit-def: $sgpr21
                                        ; implicit-def: $sgpr29
	s_cbranch_scc0 .LBB3_18
; %bb.14:                               ;   in Loop: Header=BB3_9 Depth=1
	s_add_co_i32 s0, s36, s16
	v_max_num_f32_e64 v4, s28, s28
	s_lshl_b32 s0, s0, 6
	s_mov_b32 s29, s20
	s_add_co_i32 s0, s0, s15
	s_load_b64 s[38:39], s[10:11], s0 offset:0x0 scale_offset
	s_wait_xcnt 0x0
	v_readfirstlane_b32 s0, v4
	s_wait_kmcnt 0x0
	v_max_num_f32_e64 v5, s38, s38
	s_delay_alu instid0(VALU_DEP_1) | instskip(SKIP_1) | instid1(SALU_CYCLE_3)
	v_readfirstlane_b32 s1, v5
	s_max_num_f32 s17, s0, s1
	s_sub_f32 s33, s28, s17
	s_sub_f32 s37, s38, s17
	s_delay_alu instid0(SALU_CYCLE_2)
	s_cmp_nlt_f32 s33, 0xc2ce8ed0
	s_cselect_b32 s1, -1, 0
	s_cmp_ngt_f32 s33, 0x42b17218
	s_cselect_b32 s2, -1, 0
	s_cmp_ge_f32 s33, 0xc1a00000
	s_cselect_b32 s0, -1, 0
	s_cmp_nlt_f32 s37, 0xc2ce8ed0
	s_cselect_b32 s3, -1, 0
	s_cmp_ngt_f32 s37, 0x42b17218
	s_cselect_b32 s4, -1, 0
	s_cmp_ge_f32 s37, 0xc1a00000
	s_cselect_b32 s5, -1, 0
	s_and_b64 s[42:43], s[40:41], s[8:9]
	s_delay_alu instid0(SALU_CYCLE_1) | instskip(NEXT) | instid1(SALU_CYCLE_1)
	s_mul_u64 s[42:43], s[42:43], s[22:23]
	s_add_co_i32 s21, s43, s40
	s_delay_alu instid0(SALU_CYCLE_1) | instskip(NEXT) | instid1(SALU_CYCLE_1)
	s_lshr_b32 s21, s21, s13
	s_mul_i32 s24, s21, s14
	s_delay_alu instid0(SALU_CYCLE_1) | instskip(SKIP_3) | instid1(SALU_CYCLE_1)
	s_cmp_eq_u32 s24, s40
	s_cselect_b32 s24, -1, 0
	s_cmp_lt_u32 s21, s12
	s_cselect_b32 s21, -1, 0
	s_or_b32 s21, s21, s24
	s_mov_b32 s24, -1
	s_and_b32 vcc_lo, exec_lo, s21
	s_mov_b32 s21, s36
	s_cbranch_vccnz .LBB3_16
; %bb.15:                               ;   in Loop: Header=BB3_9 Depth=1
	s_add_co_i32 s21, s36, -1
	s_mov_b32 s24, 0
	s_mov_b32 s29, s40
.LBB3_16:                               ;   in Loop: Header=BB3_9 Depth=1
	v_mad_u32 v4, 0x1800, s36, v6
	s_mul_f32 s40, s33, 0x3fb8aa3b
	s_mul_f32 s38, s37, 0x3fb8aa3b
	s_delay_alu instid0(SALU_CYCLE_2)
	s_xor_b32 s42, s40, 0x80000000
	s_rndne_f32 s44, s40
	s_fmamk_f32 s42, s33, 0x3fb8aa3b, s42
	s_xor_b32 s41, s38, 0x80000000
	s_rndne_f32 s43, s38
	s_sub_f32 s40, s40, s44
	global_load_b32 v5, v4, s[26:27] scale_offset
	s_fmamk_f32 s33, s33, 0x32a5705f, s42
	s_fmamk_f32 s41, s37, 0x3fb8aa3b, s41
	s_sub_f32 s38, s38, s43
	s_delay_alu instid0(SALU_CYCLE_1) | instskip(NEXT) | instid1(SALU_CYCLE_1)
	s_add_f32 s33, s40, s33
	s_fmamk_f32 s37, s37, 0x32a5705f, s41
	s_cvt_i32_f32 s40, s44
	s_delay_alu instid0(SALU_CYCLE_1) | instskip(NEXT) | instid1(SALU_CYCLE_1)
	v_s_exp_f32 s33, s33
	s_add_f32 s37, s38, s37
	s_cvt_i32_f32 s38, s43
	s_delay_alu instid0(SALU_CYCLE_2) | instskip(NEXT) | instid1(TRANS32_DEP_2)
	v_s_exp_f32 s37, s37
	v_ldexp_f32 v8, s33, s40
	s_wait_xcnt 0x0
	s_delay_alu instid0(TRANS32_DEP_1) | instskip(NEXT) | instid1(VALU_DEP_2)
	v_ldexp_f32 v4, s37, s38
	v_cndmask_b32_e64 v8, 0, v8, s1
	s_delay_alu instid0(VALU_DEP_1) | instskip(NEXT) | instid1(VALU_DEP_1)
	v_cndmask_b32_e64 v9, 0x7f800000, v8, s2
	v_dual_cndmask_b32 v4, 0, v4, s3 :: v_dual_cndmask_b32 v10, 0, v9, s0
	s_delay_alu instid0(VALU_DEP_1) | instskip(NEXT) | instid1(VALU_DEP_1)
	v_cndmask_b32_e64 v4, 0x7f800000, v4, s4
	v_dual_cndmask_b32 v8, 0, v4, s5 :: v_dual_mov_b32 v4, s39
	s_wait_loadcnt 0x0
	s_delay_alu instid0(VALU_DEP_1) | instskip(NEXT) | instid1(VALU_DEP_1)
	v_pk_mul_f32 v[4:5], v[4:5], v[8:9] op_sel_hi:[1,0]
	v_pk_fma_f32 v[4:5], v[0:1], v[10:11], v[4:5] op_sel_hi:[1,0,1]
	s_cbranch_execz .LBB3_19
.LBB3_17:                               ;   in Loop: Header=BB3_9 Depth=1
	s_and_not1_b32 vcc_lo, exec_lo, s24
	s_cbranch_vccnz .LBB3_20
	s_branch .LBB3_23
.LBB3_18:                               ;   in Loop: Header=BB3_9 Depth=1
	s_and_not1_b32 vcc_lo, exec_lo, s0
	s_cbranch_vccnz .LBB3_17
.LBB3_19:                               ;   in Loop: Header=BB3_9 Depth=1
	s_wait_loadcnt 0x0
	v_mov_b64_e32 v[4:5], v[0:1]
	s_add_co_i32 s21, s36, -1
	s_mov_b32 s29, s20
	s_mov_b32 s17, s28
	s_cbranch_execz .LBB3_23
.LBB3_20:                               ;   in Loop: Header=BB3_9 Depth=1
	s_wait_loadcnt 0x0
	s_delay_alu instid0(VALU_DEP_1)
	v_mov_b64_e32 v[0:1], v[4:5]
	s_mov_b32 s20, s29
	s_mov_b32 s36, s21
	;; [unrolled: 1-line block ×3, first 2 shown]
	s_branch .LBB3_9
.LBB3_21:
                                        ; implicit-def: $sgpr20_sgpr21
	s_branch .LBB3_2
.LBB3_22:
                                        ; implicit-def: $sgpr24_sgpr25
	s_load_b96 s[12:14], s[0:1], 0x44
	s_branch .LBB3_5
.LBB3_23:
	s_delay_alu instid0(VALU_DEP_1) | instskip(SKIP_1) | instid1(VALU_DEP_1)
	v_div_scale_f32 v0, null, v4, v4, v5
	s_wait_loadcnt 0x0
	v_rcp_f32_e32 v1, v0
	v_nop
	s_delay_alu instid0(TRANS32_DEP_1) | instskip(NEXT) | instid1(VALU_DEP_1)
	v_fma_f32 v6, -v0, v1, 1.0
	v_fmac_f32_e32 v1, v6, v1
	v_div_scale_f32 v6, vcc_lo, v5, v4, v5
	s_delay_alu instid0(VALU_DEP_1) | instskip(NEXT) | instid1(VALU_DEP_1)
	v_mul_f32_e32 v7, v6, v1
	v_fma_f32 v8, -v0, v7, v6
	s_delay_alu instid0(VALU_DEP_1) | instskip(NEXT) | instid1(VALU_DEP_1)
	v_fmac_f32_e32 v7, v8, v1
	v_fma_f32 v0, -v0, v7, v6
	s_delay_alu instid0(VALU_DEP_1) | instskip(NEXT) | instid1(VALU_DEP_1)
	v_div_fmas_f32 v0, v0, v1, v7
	v_div_fixup_f32 v0, v0, v4, v5
	global_store_b32 v[2:3], v0, off
.LBB3_24:
	s_endpgm
	.section	.rodata,"a",@progbits
	.p2align	6, 0x0
	.amdhsa_kernel _ZL33flash_attn_stream_k_fixup_generalILi96ELi8ELi8EEvPfPK15HIP_vector_typeIfLj2EEiiiiS1_IjLj3EES5_S5_S5_
		.amdhsa_group_segment_fixed_size 0
		.amdhsa_private_segment_fixed_size 0
		.amdhsa_kernarg_size 336
		.amdhsa_user_sgpr_count 2
		.amdhsa_user_sgpr_dispatch_ptr 0
		.amdhsa_user_sgpr_queue_ptr 0
		.amdhsa_user_sgpr_kernarg_segment_ptr 1
		.amdhsa_user_sgpr_dispatch_id 0
		.amdhsa_user_sgpr_kernarg_preload_length 0
		.amdhsa_user_sgpr_kernarg_preload_offset 0
		.amdhsa_user_sgpr_private_segment_size 0
		.amdhsa_wavefront_size32 1
		.amdhsa_uses_dynamic_stack 0
		.amdhsa_enable_private_segment 0
		.amdhsa_system_sgpr_workgroup_id_x 1
		.amdhsa_system_sgpr_workgroup_id_y 1
		.amdhsa_system_sgpr_workgroup_id_z 1
		.amdhsa_system_sgpr_workgroup_info 0
		.amdhsa_system_vgpr_workitem_id 0
		.amdhsa_next_free_vgpr 12
		.amdhsa_next_free_sgpr 46
		.amdhsa_named_barrier_count 0
		.amdhsa_reserve_vcc 1
		.amdhsa_float_round_mode_32 0
		.amdhsa_float_round_mode_16_64 0
		.amdhsa_float_denorm_mode_32 3
		.amdhsa_float_denorm_mode_16_64 3
		.amdhsa_fp16_overflow 0
		.amdhsa_memory_ordered 1
		.amdhsa_forward_progress 1
		.amdhsa_inst_pref_size 27
		.amdhsa_round_robin_scheduling 0
		.amdhsa_exception_fp_ieee_invalid_op 0
		.amdhsa_exception_fp_denorm_src 0
		.amdhsa_exception_fp_ieee_div_zero 0
		.amdhsa_exception_fp_ieee_overflow 0
		.amdhsa_exception_fp_ieee_underflow 0
		.amdhsa_exception_fp_ieee_inexact 0
		.amdhsa_exception_int_div_zero 0
	.end_amdhsa_kernel
	.section	.text._ZL33flash_attn_stream_k_fixup_generalILi96ELi8ELi8EEvPfPK15HIP_vector_typeIfLj2EEiiiiS1_IjLj3EES5_S5_S5_,"axG",@progbits,_ZL33flash_attn_stream_k_fixup_generalILi96ELi8ELi8EEvPfPK15HIP_vector_typeIfLj2EEiiiiS1_IjLj3EES5_S5_S5_,comdat
.Lfunc_end3:
	.size	_ZL33flash_attn_stream_k_fixup_generalILi96ELi8ELi8EEvPfPK15HIP_vector_typeIfLj2EEiiiiS1_IjLj3EES5_S5_S5_, .Lfunc_end3-_ZL33flash_attn_stream_k_fixup_generalILi96ELi8ELi8EEvPfPK15HIP_vector_typeIfLj2EEiiiiS1_IjLj3EES5_S5_S5_
                                        ; -- End function
	.set _ZL33flash_attn_stream_k_fixup_generalILi96ELi8ELi8EEvPfPK15HIP_vector_typeIfLj2EEiiiiS1_IjLj3EES5_S5_S5_.num_vgpr, 12
	.set _ZL33flash_attn_stream_k_fixup_generalILi96ELi8ELi8EEvPfPK15HIP_vector_typeIfLj2EEiiiiS1_IjLj3EES5_S5_S5_.num_agpr, 0
	.set _ZL33flash_attn_stream_k_fixup_generalILi96ELi8ELi8EEvPfPK15HIP_vector_typeIfLj2EEiiiiS1_IjLj3EES5_S5_S5_.numbered_sgpr, 46
	.set _ZL33flash_attn_stream_k_fixup_generalILi96ELi8ELi8EEvPfPK15HIP_vector_typeIfLj2EEiiiiS1_IjLj3EES5_S5_S5_.num_named_barrier, 0
	.set _ZL33flash_attn_stream_k_fixup_generalILi96ELi8ELi8EEvPfPK15HIP_vector_typeIfLj2EEiiiiS1_IjLj3EES5_S5_S5_.private_seg_size, 0
	.set _ZL33flash_attn_stream_k_fixup_generalILi96ELi8ELi8EEvPfPK15HIP_vector_typeIfLj2EEiiiiS1_IjLj3EES5_S5_S5_.uses_vcc, 1
	.set _ZL33flash_attn_stream_k_fixup_generalILi96ELi8ELi8EEvPfPK15HIP_vector_typeIfLj2EEiiiiS1_IjLj3EES5_S5_S5_.uses_flat_scratch, 0
	.set _ZL33flash_attn_stream_k_fixup_generalILi96ELi8ELi8EEvPfPK15HIP_vector_typeIfLj2EEiiiiS1_IjLj3EES5_S5_S5_.has_dyn_sized_stack, 0
	.set _ZL33flash_attn_stream_k_fixup_generalILi96ELi8ELi8EEvPfPK15HIP_vector_typeIfLj2EEiiiiS1_IjLj3EES5_S5_S5_.has_recursion, 0
	.set _ZL33flash_attn_stream_k_fixup_generalILi96ELi8ELi8EEvPfPK15HIP_vector_typeIfLj2EEiiiiS1_IjLj3EES5_S5_S5_.has_indirect_call, 0
	.section	.AMDGPU.csdata,"",@progbits
; Kernel info:
; codeLenInByte = 3352
; TotalNumSgprs: 48
; NumVgprs: 12
; ScratchSize: 0
; MemoryBound: 0
; FloatMode: 240
; IeeeMode: 1
; LDSByteSize: 0 bytes/workgroup (compile time only)
; SGPRBlocks: 0
; VGPRBlocks: 0
; NumSGPRsForWavesPerEU: 48
; NumVGPRsForWavesPerEU: 12
; NamedBarCnt: 0
; Occupancy: 16
; WaveLimiterHint : 0
; COMPUTE_PGM_RSRC2:SCRATCH_EN: 0
; COMPUTE_PGM_RSRC2:USER_SGPR: 2
; COMPUTE_PGM_RSRC2:TRAP_HANDLER: 0
; COMPUTE_PGM_RSRC2:TGID_X_EN: 1
; COMPUTE_PGM_RSRC2:TGID_Y_EN: 1
; COMPUTE_PGM_RSRC2:TGID_Z_EN: 1
; COMPUTE_PGM_RSRC2:TIDIG_COMP_CNT: 0
	.section	.text._ZL26flash_attn_combine_resultsILi96EEvPKfPK15HIP_vector_typeIfLj2EEPfi,"axG",@progbits,_ZL26flash_attn_combine_resultsILi96EEvPKfPK15HIP_vector_typeIfLj2EEPfi,comdat
	.globl	_ZL26flash_attn_combine_resultsILi96EEvPKfPK15HIP_vector_typeIfLj2EEPfi ; -- Begin function _ZL26flash_attn_combine_resultsILi96EEvPKfPK15HIP_vector_typeIfLj2EEPfi
	.p2align	8
	.type	_ZL26flash_attn_combine_resultsILi96EEvPKfPK15HIP_vector_typeIfLj2EEPfi,@function
_ZL26flash_attn_combine_resultsILi96EEvPKfPK15HIP_vector_typeIfLj2EEPfi: ; @_ZL26flash_attn_combine_resultsILi96EEvPKfPK15HIP_vector_typeIfLj2EEPfi
; %bb.0:
	s_clause 0x2
	s_load_b128 s[4:7], s[0:1], 0x0
	s_load_b96 s[8:10], s[0:1], 0x10
	s_load_b64 s[2:3], s[0:1], 0x20
	s_bfe_u32 s11, ttmp6, 0x4000c
	s_wait_xcnt 0x0
	s_and_b32 s0, ttmp6, 15
	s_add_co_i32 s11, s11, 1
	s_and_b32 s12, ttmp7, 0xffff
	s_mul_i32 s1, ttmp9, s11
	s_bfe_u32 s11, ttmp6, 0x40010
	s_bfe_u32 s13, ttmp6, 0x40014
	s_add_co_i32 s11, s11, 1
	s_add_co_i32 s0, s0, s1
	s_mul_i32 s1, s12, s11
	s_bfe_u32 s11, ttmp6, 0x40004
	s_lshr_b32 s14, ttmp7, 16
	s_add_co_i32 s13, s13, 1
	s_add_co_i32 s11, s11, s1
	s_mul_i32 s1, s14, s13
	s_bfe_u32 s13, ttmp6, 0x40008
	s_getreg_b32 s15, hwreg(HW_REG_IB_STS2, 6, 4)
	s_add_co_i32 s13, s13, s1
	s_cmp_eq_u32 s15, 0
	v_mov_b32_e32 v2, v0
	s_cselect_b32 s1, s14, s13
	s_cselect_b32 s0, ttmp9, s0
	s_wait_kmcnt 0x0
	s_mul_i32 s1, s2, s1
	s_cselect_b32 s2, s12, s11
	s_add_co_i32 s0, s1, s0
	s_lshl_b32 s12, s10, 1
	s_mul_i32 s11, s0, s3
	s_mov_b32 s13, exec_lo
	s_add_co_i32 s11, s11, s2
	s_delay_alu instid0(SALU_CYCLE_1)
	s_mul_i32 s2, s11, s10
	v_cmpx_gt_i32_e64 s12, v0
	s_cbranch_execz .LBB4_13
; %bb.1:
	v_xad_u32 v1, v0, -1, s12
	s_ashr_i32 s3, s2, 31
	s_mov_b32 s0, -1
	s_mov_b32 s14, exec_lo
	s_delay_alu instid0(VALU_DEP_1)
	v_cmpx_lt_u32_e32 0x5f, v1
	s_cbranch_execz .LBB4_10
; %bb.2:
	v_mul_hi_u32 v1, 0xaaaaaaab, v1
	s_lshl_b64 s[0:1], s[2:3], 3
	v_mov_b32_e32 v4, 0
	s_add_nc_u64 s[0:1], s[6:7], s[0:1]
	s_delay_alu instid0(VALU_DEP_2) | instskip(SKIP_1) | instid1(VALU_DEP_2)
	v_lshrrev_b32_e32 v6, 6, v1
	v_add_nc_u32_e32 v1, 0x60, v0
	v_add_nc_u32_e32 v2, -1, v6
	s_delay_alu instid0(VALU_DEP_1) | instskip(SKIP_1) | instid1(VALU_DEP_2)
	v_lshrrev_b32_e32 v3, 1, v2
	v_cmp_lt_u32_e32 vcc_lo, 13, v2
	v_add_nc_u32_e32 v7, 1, v3
	v_mov_b64_e32 v[2:3], v[0:1]
	s_and_saveexec_b32 s15, vcc_lo
	s_cbranch_execz .LBB4_6
; %bb.3:
	v_mov_b64_e32 v[2:3], v[0:1]
	v_dual_mov_b32 v5, 0 :: v_dual_bitop2_b32 v8, -8, v7 bitop3:0x40
	v_lshl_add_u32 v9, v0, 2, 0
	s_mov_b32 s16, 0
	s_mov_b32 s17, 0
.LBB4_4:                                ; =>This Inner Loop Header: Depth=1
	s_delay_alu instid0(VALU_DEP_2) | instskip(NEXT) | instid1(VALU_DEP_4)
	v_dual_mov_b32 v4, v2 :: v_dual_mov_b32 v11, v5
	v_dual_mov_b32 v13, v5 :: v_dual_add_nc_u32 v10, 0xc0, v3
	v_dual_mov_b32 v15, v5 :: v_dual_add_nc_u32 v12, 0x180, v3
	s_delay_alu instid0(VALU_DEP_3) | instskip(SKIP_1) | instid1(VALU_DEP_4)
	v_lshl_add_u64 v[24:25], v[4:5], 2, s[0:1]
	v_mov_b32_e32 v4, v3
	v_lshl_add_u64 v[10:11], v[10:11], 2, s[0:1]
	s_delay_alu instid0(VALU_DEP_4) | instskip(SKIP_1) | instid1(VALU_DEP_4)
	v_lshl_add_u64 v[12:13], v[12:13], 2, s[0:1]
	v_dual_mov_b32 v17, v5 :: v_dual_add_nc_u32 v14, 0x240, v3
	v_lshl_add_u64 v[26:27], v[4:5], 2, s[0:1]
	v_add_nc_u32_e32 v4, 0xc0, v2
	global_load_b32 v1, v[24:25], off
	v_dual_mov_b32 v19, v5 :: v_dual_add_nc_u32 v16, 0x300, v3
	global_load_b32 v28, v[26:27], off
	s_wait_xcnt 0x1
	v_lshl_add_u64 v[24:25], v[4:5], 2, s[0:1]
	v_add_nc_u32_e32 v4, 0x180, v2
	s_clause 0x1
	global_load_b32 v29, v[24:25], off
	global_load_b32 v30, v[10:11], off
	s_wait_xcnt 0x2
	v_lshl_add_u64 v[26:27], v[4:5], 2, s[0:1]
	v_add_nc_u32_e32 v4, 0x240, v2
	v_lshl_add_u64 v[14:15], v[14:15], 2, s[0:1]
	v_dual_mov_b32 v21, v5 :: v_dual_add_nc_u32 v18, 0x3c0, v3
	global_load_b32 v26, v[26:27], off
	s_wait_xcnt 0x1
	v_lshl_add_u64 v[10:11], v[4:5], 2, s[0:1]
	v_add_nc_u32_e32 v4, 0x300, v2
	global_load_b32 v27, v[12:13], off
	v_dual_mov_b32 v23, v5 :: v_dual_add_nc_u32 v20, 0x480, v3
	s_clause 0x1
	global_load_b32 v31, v[10:11], off
	global_load_b32 v32, v[14:15], off
	v_lshl_add_u64 v[24:25], v[4:5], 2, s[0:1]
	v_add_nc_u32_e32 v4, 0x3c0, v2
	v_add_nc_u32_e32 v22, 0x540, v3
	v_lshl_add_u64 v[16:17], v[16:17], 2, s[0:1]
	v_lshl_add_u64 v[18:19], v[18:19], 2, s[0:1]
	v_lshl_add_u64 v[20:21], v[20:21], 2, s[0:1]
	s_wait_xcnt 0x2
	v_lshl_add_u64 v[12:13], v[4:5], 2, s[0:1]
	v_add_nc_u32_e32 v4, 0x480, v2
	s_clause 0x2
	global_load_b32 v14, v[24:25], off
	global_load_b32 v15, v[16:17], off
	;; [unrolled: 1-line block ×3, first 2 shown]
	v_lshl_add_u64 v[22:23], v[22:23], 2, s[0:1]
	v_add_nc_u32_e32 v8, -8, v8
	v_lshl_add_u64 v[10:11], v[4:5], 2, s[0:1]
	v_add_nc_u32_e32 v4, 0x540, v2
	s_add_co_i32 s17, s17, 16
	v_add_nc_u32_e32 v3, 0x600, v3
	v_cmp_eq_u32_e32 vcc_lo, 0, v8
	v_add_nc_u32_e32 v2, 0x600, v2
	s_wait_xcnt 0x0
	v_lshl_add_u64 v[12:13], v[4:5], 2, s[0:1]
	s_clause 0x4
	global_load_b32 v16, v[18:19], off
	global_load_b32 v17, v[10:11], off
	;; [unrolled: 1-line block ×5, first 2 shown]
	s_wait_xcnt 0x3
	v_add_nc_u32_e32 v10, 0x200, v9
	v_add_nc_u32_e32 v11, 0x400, v9
	s_wait_xcnt 0x1
	v_add_nc_u32_e32 v12, 0x800, v9
	v_dual_mov_b32 v4, s17 :: v_dual_add_nc_u32 v13, 0xc00, v9
	v_add_nc_u32_e32 v18, 0xe00, v9
	v_add_nc_u32_e32 v19, 0x1000, v9
	;; [unrolled: 1-line block ×3, first 2 shown]
	s_or_b32 s16, vcc_lo, s16
	s_wait_loadcnt 0xe
	ds_store_2addr_b32 v9, v1, v28 offset1:96
	v_add_nc_u32_e32 v9, 0x1800, v9
	s_wait_loadcnt 0xc
	ds_store_2addr_b32 v10, v29, v30 offset0:64 offset1:160
	s_wait_loadcnt 0xa
	ds_store_2addr_b32 v11, v26, v27 offset0:128 offset1:224
	s_wait_loadcnt 0x8
	ds_store_2addr_b32 v12, v31, v32 offset0:64 offset1:160
	s_wait_loadcnt 0x6
	ds_store_2addr_b32 v13, v14, v15 offset1:96
	s_wait_loadcnt 0x4
	ds_store_2addr_b32 v18, v33, v16 offset0:64 offset1:160
	s_wait_loadcnt 0x2
	ds_store_2addr_b32 v19, v17, v24 offset0:128 offset1:224
	s_wait_loadcnt 0x0
	ds_store_2addr_b32 v20, v25, v34 offset0:64 offset1:160
	s_wait_xcnt 0x0
	s_and_not1_b32 exec_lo, exec_lo, s16
	s_cbranch_execnz .LBB4_4
; %bb.5:
	s_or_b32 exec_lo, exec_lo, s16
.LBB4_6:
	s_delay_alu instid0(SALU_CYCLE_1) | instskip(SKIP_3) | instid1(VALU_DEP_1)
	s_or_b32 exec_lo, exec_lo, s15
	v_and_b32_e32 v1, 7, v7
	s_mov_b32 s16, 0
	s_mov_b32 s15, exec_lo
	v_cmpx_ne_u32_e32 0, v1
	s_cbranch_execz .LBB4_9
; %bb.7:
	v_mul_lo_u32 v4, 0x180, v4
	v_lshlrev_b32_e32 v5, 2, v0
	s_delay_alu instid0(VALU_DEP_1)
	v_add3_u32 v7, v4, v5, 0
	v_mov_b32_e32 v5, 0
.LBB4_8:                                ; =>This Inner Loop Header: Depth=1
	v_dual_mov_b32 v4, v2 :: v_dual_add_nc_u32 v1, -1, v1
	v_add_nc_u32_e32 v2, 0xc0, v2
	s_delay_alu instid0(VALU_DEP_2) | instskip(SKIP_1) | instid1(VALU_DEP_4)
	v_lshl_add_u64 v[8:9], v[4:5], 2, s[0:1]
	v_dual_mov_b32 v4, v3 :: v_dual_add_nc_u32 v3, 0xc0, v3
	v_cmp_eq_u32_e32 vcc_lo, 0, v1
	s_delay_alu instid0(VALU_DEP_2)
	v_lshl_add_u64 v[10:11], v[4:5], 2, s[0:1]
	s_clause 0x1
	global_load_b32 v4, v[8:9], off
	global_load_b32 v12, v[10:11], off
	s_or_b32 s16, vcc_lo, s16
	s_wait_loadcnt 0x0
	ds_store_2addr_b32 v7, v4, v12 offset1:96
	v_add_nc_u32_e32 v7, 0x300, v7
	s_and_not1_b32 exec_lo, exec_lo, s16
	s_cbranch_execnz .LBB4_8
.LBB4_9:
	s_or_b32 exec_lo, exec_lo, s15
	v_add_nc_u32_e32 v1, 1, v6
	s_delay_alu instid0(VALU_DEP_1) | instskip(NEXT) | instid1(VALU_DEP_1)
	v_and_b32_e32 v3, 0x7fffffe, v1
	v_mad_u32 v2, 0x60, v3, v0
	v_cmp_ne_u32_e32 vcc_lo, v1, v3
	s_or_not1_b32 s0, vcc_lo, exec_lo
.LBB4_10:
	s_or_b32 exec_lo, exec_lo, s14
	s_delay_alu instid0(SALU_CYCLE_1)
	s_and_b32 exec_lo, exec_lo, s0
	s_cbranch_execz .LBB4_13
; %bb.11:
	v_mov_b32_e32 v3, 0
	s_lshl_b64 s[0:1], s[2:3], 3
	s_delay_alu instid0(VALU_DEP_3)
	v_lshl_add_u32 v1, v2, 2, 0
	s_add_nc_u64 s[0:1], s[6:7], s[0:1]
	s_delay_alu instid0(VALU_DEP_2) | instid1(SALU_CYCLE_1)
	v_lshl_add_u64 v[4:5], v[2:3], 2, s[0:1]
	s_mov_b32 s0, 0
.LBB4_12:                               ; =>This Inner Loop Header: Depth=1
	global_load_b32 v3, v[4:5], off
	v_add_nc_u32_e32 v2, 0x60, v2
	s_wait_xcnt 0x0
	v_add_nc_u64_e32 v[4:5], 0x180, v[4:5]
	s_delay_alu instid0(VALU_DEP_2)
	v_cmp_le_i32_e32 vcc_lo, s12, v2
	s_or_b32 s0, vcc_lo, s0
	s_wait_loadcnt 0x0
	ds_store_b32 v1, v3
	v_add_nc_u32_e32 v1, 0x180, v1
	s_and_not1_b32 exec_lo, exec_lo, s0
	s_cbranch_execnz .LBB4_12
.LBB4_13:
	s_or_b32 exec_lo, exec_lo, s13
	v_mov_b32_e32 v1, 0
	s_wait_dscnt 0x0
	s_barrier_signal -1
	s_barrier_wait -1
	ds_load_b32 v1, v1
	s_cmp_lt_i32 s10, 2
	s_wait_dscnt 0x0
	v_readfirstlane_b32 s6, v1
	s_cbranch_scc1 .LBB4_21
; %bb.14:
	s_cmp_eq_u32 s10, 2
	s_cbranch_scc1 .LBB4_18
; %bb.15:
	v_dual_mov_b32 v3, s6 :: v_dual_mov_b32 v4, s6
	s_add_co_i32 s1, s10, -1
	s_add_co_i32 s7, 0, 8
	s_and_b32 s3, s1, -2
	s_mov_b32 s6, 2
.LBB4_16:                               ; =>This Inner Loop Header: Depth=1
	v_dual_mov_b32 v1, s7 :: v_dual_mov_b32 v2, v3
	s_cmp_lg_u32 s3, s6
	s_cselect_b32 s12, -1, 0
	ds_load_2addr_b32 v[6:7], v1 offset1:2
	v_dual_mov_b32 v1, v4 :: v_dual_max_num_f32 v5, v2, v2
	s_delay_alu instid0(VALU_DEP_1)
	v_max_num_f32_e32 v3, v1, v1
	s_wait_dscnt 0x0
	v_cmp_u_f32_e32 vcc_lo, v7, v7
	v_max_num_f32_e32 v7, v7, v7
	v_cndmask_b32_e64 v4, 0, 1, vcc_lo
	v_cmp_u_f32_e32 vcc_lo, v6, v6
	v_max_num_f32_e32 v6, v6, v6
	s_delay_alu instid0(VALU_DEP_3) | instskip(SKIP_1) | instid1(VALU_DEP_3)
	v_readfirstlane_b32 s0, v4
	v_cndmask_b32_e64 v8, 0, 1, vcc_lo
	v_dual_max_num_f32 v4, v3, v7 :: v_dual_max_num_f32 v3, v5, v6
	s_lshl_b32 s0, s0, 1
	s_delay_alu instid0(VALU_DEP_2) | instskip(SKIP_1) | instid1(SALU_CYCLE_1)
	v_readfirstlane_b32 s13, v8
	s_or_b32 s0, s13, s0
	s_and_b32 s13, s0, 3
	s_delay_alu instid0(SALU_CYCLE_1)
	s_cmp_lg_u32 s13, 0
	s_cselect_b32 s0, -1, 0
	s_cmp_eq_u32 s13, 0
	s_cselect_b32 s13, -1, 0
	s_add_co_i32 s6, s6, 2
	s_and_b32 s12, s13, s12
	s_add_co_i32 s7, s7, 16
	s_and_b32 vcc_lo, exec_lo, s12
	s_cbranch_vccnz .LBB4_16
; %bb.17:
	v_dual_cndmask_b32 v2, v3, v2, s0 :: v_dual_cndmask_b32 v1, v4, v1, s0
	s_add_co_i32 s6, s6, -4
	s_and_b32 s7, s0, exec_lo
	s_cselect_b32 s6, s6, s1
	s_delay_alu instid0(VALU_DEP_1) | instskip(SKIP_3) | instid1(VALU_DEP_1)
	v_dual_max_num_f32 v2, v2, v2 :: v_dual_max_num_f32 v1, v1, v1
	s_or_b32 s7, s6, 1
	s_cmp_lg_u32 s1, s3
	s_cselect_b32 s1, -1, 0
	v_readfirstlane_b32 s12, v2
	v_readfirstlane_b32 s13, v1
	s_or_b32 s0, s1, s0
	s_max_num_f32 s6, s12, s13
	s_and_b32 vcc_lo, exec_lo, s0
	s_cbranch_vccnz .LBB4_19
	s_branch .LBB4_21
.LBB4_18:
	s_mov_b32 s7, 1
	s_cbranch_execz .LBB4_21
.LBB4_19:
	s_lshl_b32 s1, s7, 3
	s_sub_co_i32 s0, s10, s7
	s_add_co_i32 s1, s1, 0
.LBB4_20:                               ; =>This Inner Loop Header: Depth=1
	s_delay_alu instid0(SALU_CYCLE_1) | instskip(NEXT) | instid1(SALU_CYCLE_1)
	v_mov_b32_e32 v1, s1
	v_max_num_f32_e64 v2, s6, s6
	s_add_co_i32 s0, s0, -1
	s_add_co_i32 s1, s1, 8
	s_cmp_eq_u32 s0, 0
	ds_load_b32 v1, v1
	v_readfirstlane_b32 s3, v2
	s_wait_dscnt 0x0
	v_max_num_f32_e32 v1, v1, v1
	s_delay_alu instid0(VALU_DEP_1)
	v_readfirstlane_b32 s6, v1
	s_max_num_f32 s6, s3, s6
	s_cbranch_scc0 .LBB4_20
.LBB4_21:
	s_cmp_lt_i32 s10, 1
	s_cbranch_scc1 .LBB4_26
; %bb.22:
	s_mul_i32 s0, s2, 0x60
	s_delay_alu instid0(SALU_CYCLE_1)
	s_ashr_i32 s1, s0, 31
	s_cmp_lt_u32 s10, 8
	s_cbranch_scc1 .LBB4_27
; %bb.23:
	v_dual_mov_b32 v3, 0 :: v_dual_lshlrev_b32 v2, 2, v0
	s_lshl_b64 s[2:3], s[0:1], 2
	v_add_nc_u32_e32 v1, 0x2a0, v0
	s_add_nc_u64 s[2:3], s[4:5], s[2:3]
	s_and_b32 s7, s10, 0x7ffffff8
	v_add_nc_u64_e32 v[4:5], s[2:3], v[2:3]
	v_mov_b32_e32 v2, v3
	s_mov_b32 s12, 0
	s_mov_b32 s13, 0
	s_delay_alu instid0(VALU_DEP_2)
	v_add_nc_u64_e32 v[4:5], 0x180, v[4:5]
.LBB4_24:                               ; =>This Inner Loop Header: Depth=1
	v_add_nc_u32_e32 v6, 0xfffffd60, v1
	v_dual_mov_b32 v18, s13 :: v_dual_add_nc_u32 v7, 0xfffffe80, v1
	global_load_b32 v23, v6, s[2:3] scale_offset
	global_load_b32 v25, v[4:5], off
	s_wait_xcnt 0x1
	v_add_nc_u32_e32 v6, 0xfffffe20, v1
	s_wait_xcnt 0x0
	v_add_nc_u64_e32 v[4:5], 0xc00, v[4:5]
	global_load_b32 v29, v7, s[2:3] scale_offset
	s_wait_xcnt 0x0
	v_add_nc_u32_e32 v7, 0xffffff40, v1
	global_load_b32 v27, v6, s[2:3] scale_offset
	s_wait_xcnt 0x0
	v_add_nc_u32_e32 v6, 0xfffffee0, v1
	;; [unrolled: 3-line block ×3, first 2 shown]
	s_clause 0x2
	global_load_b32 v33, v7, s[2:3] scale_offset
	global_load_b32 v35, v6, s[2:3] scale_offset
	;; [unrolled: 1-line block ×3, first 2 shown]
	s_wait_xcnt 0x1
	ds_load_2addr_b64 v[6:9], v18 offset1:1
	ds_load_2addr_b64 v[10:13], v18 offset0:2 offset1:3
	ds_load_2addr_b64 v[14:17], v18 offset0:4 offset1:5
	;; [unrolled: 1-line block ×3, first 2 shown]
	s_wait_xcnt 0x0
	v_add_nc_u32_e32 v1, 0x300, v1
	s_wait_dscnt 0x3
	v_readfirstlane_b32 s14, v6
	v_readfirstlane_b32 s15, v8
	s_wait_dscnt 0x2
	v_readfirstlane_b32 s16, v10
	v_dual_mov_b32 v22, v7 :: v_dual_mov_b32 v26, v11
	s_sub_f32 s14, s14, s6
	s_sub_f32 s15, s15, s6
	;; [unrolled: 1-line block ×3, first 2 shown]
	v_readfirstlane_b32 s17, v12
	s_mul_f32 s22, s14, 0x3fb8aa3b
	s_mul_f32 s23, s15, 0x3fb8aa3b
	;; [unrolled: 1-line block ×3, first 2 shown]
	s_wait_dscnt 0x1
	v_readfirstlane_b32 s18, v14
	s_xor_b32 s30, s22, 0x80000000
	s_rndne_f32 s31, s22
	s_fmamk_f32 s30, s14, 0x3fb8aa3b, s30
	s_cmp_nlt_f32 s14, 0xc2ce8ed0
	s_rndne_f32 s33, s23
	s_sub_f32 s22, s22, s31
	s_fmamk_f32 s30, s14, 0x32a5705f, s30
	s_cvt_i32_f32 s31, s31
	s_cselect_b32 vcc_lo, -1, 0
	s_cmp_ngt_f32 s14, 0x42b17218
	s_add_f32 s22, s22, s30
	s_sub_f32 s40, s23, s33
	s_cvt_i32_f32 s33, s33
	s_rndne_f32 s34, s24
	v_s_exp_f32 s22, s22
	s_sub_f32 s17, s17, s6
	s_sub_f32 s18, s18, s6
	;; [unrolled: 1-line block ×3, first 2 shown]
	s_cvt_i32_f32 s34, s34
	s_mul_f32 s25, s17, 0x3fb8aa3b
	s_mul_f32 s26, s18, 0x3fb8aa3b
	v_readfirstlane_b32 s19, v16
	v_ldexp_f32 v6, s22, s31
	s_rndne_f32 s35, s25
	s_rndne_f32 s36, s26
	s_wait_dscnt 0x0
	v_readfirstlane_b32 s20, v18
	s_sub_f32 s19, s19, s6
	v_cndmask_b32_e32 v6, 0, v6, vcc_lo
	s_cselect_b32 vcc_lo, -1, 0
	s_xor_b32 s14, s23, 0x80000000
	s_cmp_nlt_f32 s15, 0xc2ce8ed0
	s_fmamk_f32 s14, s15, 0x3fb8aa3b, s14
	v_cndmask_b32_e32 v6, 0x7f800000, v6, vcc_lo
	s_sub_f32 s42, s25, s35
	s_cselect_b32 vcc_lo, -1, 0
	s_fmamk_f32 s14, s15, 0x32a5705f, s14
	s_cmp_ngt_f32 s15, 0x42b17218
	s_cvt_i32_f32 s35, s35
	s_sub_f32 s43, s26, s36
	s_add_f32 s14, s40, s14
	s_cvt_i32_f32 s36, s36
	s_mul_f32 s27, s19, 0x3fb8aa3b
	s_sub_f32 s20, s20, s6
	v_s_exp_f32 s14, s14
	v_readfirstlane_b32 s21, v20
	s_rndne_f32 s37, s27
	s_mul_f32 s28, s20, 0x3fb8aa3b
	v_dual_mov_b32 v24, v9 :: v_dual_mov_b32 v28, v13
	v_mov_b32_e32 v30, v15
	s_sub_f32 s44, s27, s37
	s_delay_alu instid0(TRANS32_DEP_1)
	v_ldexp_f32 v7, s14, s33
	s_cvt_i32_f32 s37, s37
	s_rndne_f32 s38, s28
	s_sub_f32 s21, s21, s6
	v_dual_mov_b32 v32, v17 :: v_dual_mov_b32 v34, v19
	v_cndmask_b32_e32 v7, 0, v7, vcc_lo
	s_cselect_b32 vcc_lo, -1, 0
	s_xor_b32 s14, s24, 0x80000000
	s_cmp_nlt_f32 s16, 0xc2ce8ed0
	s_fmamk_f32 s14, s16, 0x3fb8aa3b, s14
	v_cndmask_b32_e32 v8, 0x7f800000, v7, vcc_lo
	s_sub_f32 s45, s28, s38
	s_cselect_b32 vcc_lo, -1, 0
	s_fmamk_f32 s14, s16, 0x32a5705f, s14
	s_cmp_ngt_f32 s16, 0x42b17218
	s_cvt_i32_f32 s38, s38
	s_mul_f32 s29, s21, 0x3fb8aa3b
	s_add_f32 s14, s41, s14
	v_mov_b32_e32 v36, v21
	s_delay_alu instid0(SALU_CYCLE_1) | instskip(NEXT) | instid1(SALU_CYCLE_1)
	s_rndne_f32 s39, s29
	v_s_exp_f32 s14, s14
	s_delay_alu instid0(SALU_CYCLE_2) | instskip(SKIP_2) | instid1(TRANS32_DEP_1)
	s_sub_f32 s46, s29, s39
	s_cvt_i32_f32 s39, s39
	v_nop
	v_ldexp_f32 v7, s14, s34
	s_delay_alu instid0(VALU_DEP_1)
	v_cndmask_b32_e32 v7, 0, v7, vcc_lo
	s_cselect_b32 vcc_lo, -1, 0
	s_xor_b32 s14, s25, 0x80000000
	s_cmp_nlt_f32 s17, 0xc2ce8ed0
	s_fmamk_f32 s14, s17, 0x3fb8aa3b, s14
	v_cndmask_b32_e32 v10, 0x7f800000, v7, vcc_lo
	s_cselect_b32 vcc_lo, -1, 0
	s_delay_alu instid0(SALU_CYCLE_1) | instskip(SKIP_1) | instid1(SALU_CYCLE_2)
	s_fmamk_f32 s14, s17, 0x32a5705f, s14
	s_cmp_ngt_f32 s17, 0x42b17218
	s_add_f32 s14, s42, s14
	s_delay_alu instid0(SALU_CYCLE_3) | instskip(SKIP_1) | instid1(TRANS32_DEP_1)
	v_s_exp_f32 s14, s14
	v_nop
	v_ldexp_f32 v7, s14, s35
	s_delay_alu instid0(VALU_DEP_1)
	v_cndmask_b32_e32 v7, 0, v7, vcc_lo
	s_cselect_b32 vcc_lo, -1, 0
	s_xor_b32 s14, s26, 0x80000000
	s_cmp_nlt_f32 s18, 0xc2ce8ed0
	s_fmamk_f32 s14, s18, 0x3fb8aa3b, s14
	v_cndmask_b32_e32 v12, 0x7f800000, v7, vcc_lo
	s_cselect_b32 vcc_lo, -1, 0
	s_delay_alu instid0(SALU_CYCLE_1) | instskip(SKIP_1) | instid1(SALU_CYCLE_2)
	s_fmamk_f32 s14, s18, 0x32a5705f, s14
	s_cmp_ngt_f32 s18, 0x42b17218
	s_add_f32 s14, s43, s14
	s_delay_alu instid0(SALU_CYCLE_3) | instskip(SKIP_1) | instid1(TRANS32_DEP_1)
	v_s_exp_f32 s14, s14
	;; [unrolled: 16-line block ×4, first 2 shown]
	v_nop
	v_ldexp_f32 v7, s14, s38
	s_delay_alu instid0(VALU_DEP_1) | instskip(SKIP_4) | instid1(SALU_CYCLE_3)
	v_cndmask_b32_e32 v7, 0, v7, vcc_lo
	s_cselect_b32 vcc_lo, -1, 0
	s_xor_b32 s14, s29, 0x80000000
	s_cmp_nlt_f32 s21, 0xc2ce8ed0
	s_fmamk_f32 s14, s21, 0x3fb8aa3b, s14
	s_fmamk_f32 s14, s21, 0x32a5705f, s14
	s_delay_alu instid0(SALU_CYCLE_3) | instskip(NEXT) | instid1(SALU_CYCLE_3)
	s_add_f32 s14, s46, s14
	v_s_exp_f32 s14, s14
	s_wait_loadcnt 0x7
	v_pk_fma_f32 v[2:3], v[6:7], v[22:23], v[2:3] op_sel_hi:[0,1,1]
	v_cndmask_b32_e32 v6, 0x7f800000, v7, vcc_lo
	s_delay_alu instid0(TRANS32_DEP_1)
	v_ldexp_f32 v7, s14, s39
	s_cselect_b32 vcc_lo, -1, 0
	s_cmp_ngt_f32 s21, 0x42b17218
	s_wait_loadcnt 0x6
	v_pk_fma_f32 v[2:3], v[8:9], v[24:25], v[2:3] op_sel_hi:[0,1,1]
	v_cndmask_b32_e32 v7, 0, v7, vcc_lo
	s_cselect_b32 vcc_lo, -1, 0
	s_add_co_i32 s12, s12, 8
	s_wait_loadcnt 0x4
	v_pk_fma_f32 v[2:3], v[10:11], v[26:27], v[2:3] op_sel_hi:[0,1,1]
	s_add_co_i32 s13, s13, 64
	v_cndmask_b32_e32 v8, 0x7f800000, v7, vcc_lo
	s_cmp_eq_u32 s7, s12
	s_delay_alu instid0(VALU_DEP_2) | instskip(SKIP_1) | instid1(VALU_DEP_1)
	v_pk_fma_f32 v[2:3], v[12:13], v[28:29], v[2:3] op_sel_hi:[0,1,1]
	s_wait_loadcnt 0x3
	v_pk_fma_f32 v[2:3], v[14:15], v[30:31], v[2:3] op_sel_hi:[0,1,1]
	s_wait_loadcnt 0x2
	s_delay_alu instid0(VALU_DEP_1) | instskip(SKIP_1) | instid1(VALU_DEP_1)
	v_pk_fma_f32 v[2:3], v[16:17], v[32:33], v[2:3] op_sel_hi:[0,1,1]
	s_wait_loadcnt 0x1
	v_pk_fma_f32 v[2:3], v[6:7], v[34:35], v[2:3] op_sel_hi:[0,1,1]
	s_wait_loadcnt 0x0
	s_delay_alu instid0(VALU_DEP_1)
	v_pk_fma_f32 v[2:3], v[8:9], v[36:37], v[2:3] op_sel_hi:[0,1,1]
	s_cbranch_scc0 .LBB4_24
; %bb.25:
	s_and_b32 s2, s10, 7
	s_delay_alu instid0(SALU_CYCLE_1)
	s_cmp_eq_u32 s2, 0
	s_cbranch_scc0 .LBB4_28
	s_branch .LBB4_30
.LBB4_26:
	v_mov_b32_e32 v1, 0x7fc00000
	s_branch .LBB4_31
.LBB4_27:
	v_mov_b64_e32 v[2:3], 0
	s_mov_b32 s7, 0
	s_and_b32 s2, s10, 7
	s_delay_alu instid0(SALU_CYCLE_1)
	s_cmp_eq_u32 s2, 0
	s_cbranch_scc1 .LBB4_30
.LBB4_28:
	v_mad_u32 v4, 0x60, s7, v0
	v_mov_b32_e32 v5, 0
	s_lshl_b64 s[0:1], s[0:1], 2
	s_delay_alu instid0(SALU_CYCLE_1)
	s_add_nc_u64 s[0:1], s[4:5], s[0:1]
	s_delay_alu instid0(VALU_DEP_1) | instid1(SALU_CYCLE_1)
	v_lshl_add_u64 v[4:5], v[4:5], 2, s[0:1]
	s_lshl_b32 s0, s7, 3
	s_delay_alu instid0(SALU_CYCLE_1)
	s_add_co_i32 s0, s0, 0
.LBB4_29:                               ; =>This Inner Loop Header: Depth=1
	global_load_b32 v7, v[4:5], off
	v_mov_b32_e32 v1, s0
	s_wait_xcnt 0x0
	v_add_nc_u64_e32 v[4:5], 0x180, v[4:5]
	ds_load_b64 v[8:9], v1
	s_wait_dscnt 0x0
	v_readfirstlane_b32 s1, v8
	v_mov_b32_e32 v6, v9
	s_sub_f32 s1, s1, s6
	s_delay_alu instid0(SALU_CYCLE_3) | instskip(NEXT) | instid1(SALU_CYCLE_3)
	s_mul_f32 s3, s1, 0x3fb8aa3b
	s_xor_b32 s4, s3, 0x80000000
	s_rndne_f32 s5, s3
	s_fmamk_f32 s4, s1, 0x3fb8aa3b, s4
	s_cmp_nlt_f32 s1, 0xc2ce8ed0
	s_delay_alu instid0(SALU_CYCLE_1) | instskip(NEXT) | instid1(SALU_CYCLE_1)
	s_sub_f32 s3, s3, s5
	s_fmamk_f32 s4, s1, 0x32a5705f, s4
	s_cselect_b32 vcc_lo, -1, 0
	s_cmp_ngt_f32 s1, 0x42b17218
	s_delay_alu instid0(SALU_CYCLE_1) | instskip(SKIP_1) | instid1(SALU_CYCLE_2)
	s_add_f32 s3, s3, s4
	s_cvt_i32_f32 s4, s5
	v_s_exp_f32 s3, s3
	v_nop
	s_delay_alu instid0(TRANS32_DEP_1) | instid1(SALU_CYCLE_1)
	v_ldexp_f32 v1, s3, s4
	s_delay_alu instid0(VALU_DEP_1)
	v_cndmask_b32_e32 v1, 0, v1, vcc_lo
	s_cselect_b32 vcc_lo, -1, 0
	s_add_co_i32 s2, s2, -1
	s_add_co_i32 s0, s0, 8
	s_cmp_lg_u32 s2, 0
	v_cndmask_b32_e32 v8, 0x7f800000, v1, vcc_lo
	s_wait_loadcnt 0x0
	s_delay_alu instid0(VALU_DEP_1)
	v_pk_fma_f32 v[2:3], v[8:9], v[6:7], v[2:3] op_sel_hi:[0,1,1]
	s_cbranch_scc1 .LBB4_29
.LBB4_30:
	s_delay_alu instid0(VALU_DEP_1) | instskip(NEXT) | instid1(VALU_DEP_1)
	v_div_scale_f32 v1, null, v2, v2, v3
	v_rcp_f32_e32 v4, v1
	v_nop
	s_delay_alu instid0(TRANS32_DEP_1) | instskip(NEXT) | instid1(VALU_DEP_1)
	v_fma_f32 v5, -v1, v4, 1.0
	v_fmac_f32_e32 v4, v5, v4
	v_div_scale_f32 v5, vcc_lo, v3, v2, v3
	s_delay_alu instid0(VALU_DEP_1) | instskip(NEXT) | instid1(VALU_DEP_1)
	v_mul_f32_e32 v6, v5, v4
	v_fma_f32 v7, -v1, v6, v5
	s_delay_alu instid0(VALU_DEP_1) | instskip(NEXT) | instid1(VALU_DEP_1)
	v_fmac_f32_e32 v6, v7, v4
	v_fma_f32 v1, -v1, v6, v5
	s_delay_alu instid0(VALU_DEP_1) | instskip(NEXT) | instid1(VALU_DEP_1)
	v_div_fmas_f32 v1, v1, v4, v6
	v_div_fixup_f32 v1, v1, v2, v3
.LBB4_31:
	s_mul_i32 s0, s11, 0x60
	s_delay_alu instid0(SALU_CYCLE_1) | instskip(NEXT) | instid1(SALU_CYCLE_1)
	s_ashr_i32 s1, s0, 31
	s_lshl_b64 s[0:1], s[0:1], 2
	s_delay_alu instid0(SALU_CYCLE_1)
	s_add_nc_u64 s[0:1], s[8:9], s[0:1]
	global_store_b32 v0, v1, s[0:1] scale_offset
	s_endpgm
	.section	.rodata,"a",@progbits
	.p2align	6, 0x0
	.amdhsa_kernel _ZL26flash_attn_combine_resultsILi96EEvPKfPK15HIP_vector_typeIfLj2EEPfi
		.amdhsa_group_segment_fixed_size 0
		.amdhsa_private_segment_fixed_size 0
		.amdhsa_kernarg_size 288
		.amdhsa_user_sgpr_count 2
		.amdhsa_user_sgpr_dispatch_ptr 0
		.amdhsa_user_sgpr_queue_ptr 0
		.amdhsa_user_sgpr_kernarg_segment_ptr 1
		.amdhsa_user_sgpr_dispatch_id 0
		.amdhsa_user_sgpr_kernarg_preload_length 0
		.amdhsa_user_sgpr_kernarg_preload_offset 0
		.amdhsa_user_sgpr_private_segment_size 0
		.amdhsa_wavefront_size32 1
		.amdhsa_uses_dynamic_stack 0
		.amdhsa_enable_private_segment 0
		.amdhsa_system_sgpr_workgroup_id_x 1
		.amdhsa_system_sgpr_workgroup_id_y 1
		.amdhsa_system_sgpr_workgroup_id_z 1
		.amdhsa_system_sgpr_workgroup_info 0
		.amdhsa_system_vgpr_workitem_id 0
		.amdhsa_next_free_vgpr 38
		.amdhsa_next_free_sgpr 47
		.amdhsa_named_barrier_count 0
		.amdhsa_reserve_vcc 1
		.amdhsa_float_round_mode_32 0
		.amdhsa_float_round_mode_16_64 0
		.amdhsa_float_denorm_mode_32 3
		.amdhsa_float_denorm_mode_16_64 3
		.amdhsa_fp16_overflow 0
		.amdhsa_memory_ordered 1
		.amdhsa_forward_progress 1
		.amdhsa_inst_pref_size 30
		.amdhsa_round_robin_scheduling 0
		.amdhsa_exception_fp_ieee_invalid_op 0
		.amdhsa_exception_fp_denorm_src 0
		.amdhsa_exception_fp_ieee_div_zero 0
		.amdhsa_exception_fp_ieee_overflow 0
		.amdhsa_exception_fp_ieee_underflow 0
		.amdhsa_exception_fp_ieee_inexact 0
		.amdhsa_exception_int_div_zero 0
	.end_amdhsa_kernel
	.section	.text._ZL26flash_attn_combine_resultsILi96EEvPKfPK15HIP_vector_typeIfLj2EEPfi,"axG",@progbits,_ZL26flash_attn_combine_resultsILi96EEvPKfPK15HIP_vector_typeIfLj2EEPfi,comdat
.Lfunc_end4:
	.size	_ZL26flash_attn_combine_resultsILi96EEvPKfPK15HIP_vector_typeIfLj2EEPfi, .Lfunc_end4-_ZL26flash_attn_combine_resultsILi96EEvPKfPK15HIP_vector_typeIfLj2EEPfi
                                        ; -- End function
	.set _ZL26flash_attn_combine_resultsILi96EEvPKfPK15HIP_vector_typeIfLj2EEPfi.num_vgpr, 38
	.set _ZL26flash_attn_combine_resultsILi96EEvPKfPK15HIP_vector_typeIfLj2EEPfi.num_agpr, 0
	.set _ZL26flash_attn_combine_resultsILi96EEvPKfPK15HIP_vector_typeIfLj2EEPfi.numbered_sgpr, 47
	.set _ZL26flash_attn_combine_resultsILi96EEvPKfPK15HIP_vector_typeIfLj2EEPfi.num_named_barrier, 0
	.set _ZL26flash_attn_combine_resultsILi96EEvPKfPK15HIP_vector_typeIfLj2EEPfi.private_seg_size, 0
	.set _ZL26flash_attn_combine_resultsILi96EEvPKfPK15HIP_vector_typeIfLj2EEPfi.uses_vcc, 1
	.set _ZL26flash_attn_combine_resultsILi96EEvPKfPK15HIP_vector_typeIfLj2EEPfi.uses_flat_scratch, 0
	.set _ZL26flash_attn_combine_resultsILi96EEvPKfPK15HIP_vector_typeIfLj2EEPfi.has_dyn_sized_stack, 0
	.set _ZL26flash_attn_combine_resultsILi96EEvPKfPK15HIP_vector_typeIfLj2EEPfi.has_recursion, 0
	.set _ZL26flash_attn_combine_resultsILi96EEvPKfPK15HIP_vector_typeIfLj2EEPfi.has_indirect_call, 0
	.section	.AMDGPU.csdata,"",@progbits
; Kernel info:
; codeLenInByte = 3720
; TotalNumSgprs: 49
; NumVgprs: 38
; ScratchSize: 0
; MemoryBound: 0
; FloatMode: 240
; IeeeMode: 1
; LDSByteSize: 0 bytes/workgroup (compile time only)
; SGPRBlocks: 0
; VGPRBlocks: 2
; NumSGPRsForWavesPerEU: 49
; NumVGPRsForWavesPerEU: 38
; NamedBarCnt: 0
; Occupancy: 16
; WaveLimiterHint : 0
; COMPUTE_PGM_RSRC2:SCRATCH_EN: 0
; COMPUTE_PGM_RSRC2:USER_SGPR: 2
; COMPUTE_PGM_RSRC2:TRAP_HANDLER: 0
; COMPUTE_PGM_RSRC2:TGID_X_EN: 1
; COMPUTE_PGM_RSRC2:TGID_Y_EN: 1
; COMPUTE_PGM_RSRC2:TGID_Z_EN: 1
; COMPUTE_PGM_RSRC2:TIDIG_COMP_CNT: 0
	.section	.text._ZL15flash_attn_tileILi96ELi96ELi4ELi8ELb0EEvPKcS1_S1_S1_S1_PKiPfP15HIP_vector_typeIfLj2EEffffjfiS5_IjLj3EEiiiiiiiiiiiliiliiiiil,"axG",@progbits,_ZL15flash_attn_tileILi96ELi96ELi4ELi8ELb0EEvPKcS1_S1_S1_S1_PKiPfP15HIP_vector_typeIfLj2EEffffjfiS5_IjLj3EEiiiiiiiiiiiliiliiiiil,comdat
	.globl	_ZL15flash_attn_tileILi96ELi96ELi4ELi8ELb0EEvPKcS1_S1_S1_S1_PKiPfP15HIP_vector_typeIfLj2EEffffjfiS5_IjLj3EEiiiiiiiiiiiliiliiiiil ; -- Begin function _ZL15flash_attn_tileILi96ELi96ELi4ELi8ELb0EEvPKcS1_S1_S1_S1_PKiPfP15HIP_vector_typeIfLj2EEffffjfiS5_IjLj3EEiiiiiiiiiiiliiliiiiil
	.p2align	8
	.type	_ZL15flash_attn_tileILi96ELi96ELi4ELi8ELb0EEvPKcS1_S1_S1_S1_PKiPfP15HIP_vector_typeIfLj2EEffffjfiS5_IjLj3EEiiiiiiiiiiiliiliiiiil,@function
_ZL15flash_attn_tileILi96ELi96ELi4ELi8ELb0EEvPKcS1_S1_S1_S1_PKiPfP15HIP_vector_typeIfLj2EEffffjfiS5_IjLj3EEiiiiiiiiiiiliiliiiiil: ; @_ZL15flash_attn_tileILi96ELi96ELi4ELi8ELb0EEvPKcS1_S1_S1_S1_PKiPfP15HIP_vector_typeIfLj2EEffffjfiS5_IjLj3EEiiiiiiiiiiiliiliiiiil
; %bb.0:
	s_clause 0x1
	s_load_b128 s[24:27], s[0:1], 0x5c
	s_load_b64 s[30:31], s[0:1], 0x80
	s_bfe_u32 s5, ttmp6, 0x40014
	s_lshr_b32 s4, ttmp7, 16
	s_add_co_i32 s5, s5, 1
	s_bfe_u32 s6, ttmp6, 0x40008
	s_mul_i32 s5, s4, s5
	s_getreg_b32 s7, hwreg(HW_REG_IB_STS2, 6, 4)
	s_add_co_i32 s6, s6, s5
	s_mov_b32 s37, 0
	s_mov_b64 s[34:35], 0
	s_wait_kmcnt 0x0
	s_ashr_i32 s2, s27, 31
	s_delay_alu instid0(SALU_CYCLE_1) | instskip(NEXT) | instid1(SALU_CYCLE_1)
	s_lshr_b32 s2, s2, 29
	s_add_co_i32 s2, s27, s2
	s_delay_alu instid0(SALU_CYCLE_1) | instskip(NEXT) | instid1(SALU_CYCLE_1)
	s_ashr_i32 s2, s2, 3
	s_cvt_f32_u32 s3, s2
	s_sub_co_i32 s8, 0, s2
	s_delay_alu instid0(SALU_CYCLE_2) | instskip(SKIP_1) | instid1(TRANS32_DEP_1)
	v_rcp_iflag_f32_e32 v1, s3
	v_nop
	v_readfirstlane_b32 s3, v1
	s_mul_f32 s3, s3, 0x4f7ffffe
	s_delay_alu instid0(SALU_CYCLE_3) | instskip(NEXT) | instid1(SALU_CYCLE_3)
	s_cvt_u32_f32 s3, s3
	s_mul_i32 s8, s8, s3
	s_delay_alu instid0(SALU_CYCLE_1) | instskip(NEXT) | instid1(SALU_CYCLE_1)
	s_mul_hi_u32 s8, s3, s8
	s_add_co_i32 s3, s3, s8
	s_cmp_eq_u32 s7, 0
	s_cselect_b32 s4, s4, s6
	s_delay_alu instid0(SALU_CYCLE_1) | instskip(NEXT) | instid1(SALU_CYCLE_1)
	s_mul_hi_u32 s3, s4, s3
	s_mul_i32 s5, s3, s2
	s_add_co_i32 s6, s3, 1
	s_sub_co_i32 s5, s4, s5
	s_delay_alu instid0(SALU_CYCLE_1)
	s_sub_co_i32 s8, s5, s2
	s_cmp_ge_u32 s5, s2
	s_cselect_b32 s3, s6, s3
	s_cselect_b32 s5, s8, s5
	s_add_co_i32 s6, s3, 1
	s_cmp_ge_u32 s5, s2
	s_cselect_b32 s28, s6, s3
	s_abs_i32 s2, s31
	s_abs_i32 s6, s27
	s_cvt_f32_u32 s3, s2
	s_sub_co_i32 s5, 0, s2
	s_lshl_b32 s4, s4, 3
	s_delay_alu instid0(SALU_CYCLE_1) | instskip(SKIP_1) | instid1(TRANS32_DEP_1)
	v_rcp_iflag_f32_e32 v1, s3
	v_nop
	v_readfirstlane_b32 s3, v1
	s_mul_f32 s3, s3, 0x4f7ffffe
	s_delay_alu instid0(SALU_CYCLE_3) | instskip(NEXT) | instid1(SALU_CYCLE_3)
	s_cvt_u32_f32 s3, s3
	s_mul_i32 s5, s5, s3
	s_delay_alu instid0(SALU_CYCLE_1) | instskip(NEXT) | instid1(SALU_CYCLE_1)
	s_mul_hi_u32 s5, s3, s5
	s_add_co_i32 s3, s3, s5
	s_xor_b32 s5, s27, s31
	s_mul_hi_u32 s3, s6, s3
	s_ashr_i32 s5, s5, 31
	s_mul_i32 s8, s3, s2
	s_delay_alu instid0(SALU_CYCLE_1)
	s_sub_co_i32 s6, s6, s8
	s_add_co_i32 s8, s3, 1
	s_sub_co_i32 s9, s6, s2
	s_cmp_ge_u32 s6, s2
	s_cselect_b32 s3, s8, s3
	s_cselect_b32 s6, s9, s6
	s_add_co_i32 s8, s3, 1
	s_cmp_ge_u32 s6, s2
	s_cselect_b32 s2, s8, s3
	s_load_b512 s[8:23], s[0:1], 0x0
	s_xor_b32 s6, s2, s5
	s_load_b64 s[2:3], s[0:1], 0xb8
	s_sub_co_i32 s29, s6, s5
	s_delay_alu instid0(SALU_CYCLE_1) | instskip(NEXT) | instid1(SALU_CYCLE_1)
	s_abs_i32 s38, s29
	s_cvt_f32_u32 s5, s38
	s_delay_alu instid0(SALU_CYCLE_3) | instskip(SKIP_2) | instid1(TRANS32_DEP_1)
	v_rcp_iflag_f32_e32 v1, s5
	s_mul_i32 s5, s28, s27
	v_nop
	v_readfirstlane_b32 s36, v1
	s_wait_kmcnt 0x0
	s_cmp_eq_u64 s[14:15], 0
	s_cbranch_scc1 .LBB5_2
; %bb.1:
	s_abs_i32 s2, s2
	s_abs_i32 s33, s28
	s_cvt_f32_u32 s6, s2
	s_sub_co_i32 s31, 0, s2
	s_load_b64 s[34:35], s[0:1], 0xc8
	s_delay_alu instid0(SALU_CYCLE_1) | instskip(SKIP_1) | instid1(TRANS32_DEP_1)
	v_rcp_iflag_f32_e32 v1, s6
	v_nop
	v_readfirstlane_b32 s6, v1
	s_mul_f32 s6, s6, 0x4f7ffffe
	s_delay_alu instid0(SALU_CYCLE_3) | instskip(NEXT) | instid1(SALU_CYCLE_3)
	s_cvt_u32_f32 s6, s6
	s_mul_i32 s31, s31, s6
	s_delay_alu instid0(SALU_CYCLE_1) | instskip(NEXT) | instid1(SALU_CYCLE_1)
	s_mul_hi_u32 s31, s6, s31
	s_add_co_i32 s6, s6, s31
	s_ashr_i32 s31, s28, 31
	s_mul_hi_u32 s6, s33, s6
	s_delay_alu instid0(SALU_CYCLE_1) | instskip(NEXT) | instid1(SALU_CYCLE_1)
	s_mul_i32 s6, s6, s2
	s_sub_co_i32 s6, s33, s6
	s_delay_alu instid0(SALU_CYCLE_1) | instskip(SKIP_2) | instid1(SALU_CYCLE_1)
	s_sub_co_i32 s33, s6, s2
	s_cmp_ge_u32 s6, s2
	s_cselect_b32 s6, s33, s6
	s_sub_co_i32 s33, s6, s2
	s_cmp_ge_u32 s6, s2
	s_cselect_b32 s2, s33, s6
	s_delay_alu instid0(SALU_CYCLE_1) | instskip(NEXT) | instid1(SALU_CYCLE_1)
	s_xor_b32 s2, s2, s31
	s_sub_co_i32 s40, s2, s31
	s_delay_alu instid0(SALU_CYCLE_1) | instskip(SKIP_2) | instid1(SALU_CYCLE_1)
	s_ashr_i32 s41, s40, 31
	s_wait_kmcnt 0x0
	s_mul_u64 s[34:35], s[34:35], s[40:41]
	s_add_nc_u64 s[34:35], s[14:15], s[34:35]
.LBB5_2:
	s_bfe_u32 s2, ttmp6, 0x4000c
	v_bfe_u32 v2, v0, 10, 10
	v_lshrrev_b32_e32 v1, 10, v0
	s_add_co_i32 s2, s2, 1
	s_and_b32 s6, ttmp6, 15
	s_mul_i32 s2, ttmp9, s2
	s_sub_co_i32 s31, s4, s5
	s_add_co_i32 s6, s6, s2
	v_lshlrev_b32_e32 v3, 2, v2
	v_bfe_u32 v1, v1, 1, 9
	s_cmp_eq_u32 s7, 0
	v_and_b32_e32 v94, 0x3ff, v0
	s_cselect_b32 s14, ttmp9, s6
	v_and_b32_e32 v68, 4, v3
	v_lshl_add_u32 v95, s14, 2, v1
	s_delay_alu instid0(VALU_DEP_3) | instskip(SKIP_1) | instid1(VALU_DEP_3)
	v_dual_lshlrev_b32 v83, 2, v94 :: v_dual_lshlrev_b32 v96, 3, v94
	v_cmp_gt_u32_e64 s2, 24, v94
	v_mul_hi_u32 v1, s24, v95
	s_delay_alu instid0(VALU_DEP_1) | instskip(NEXT) | instid1(VALU_DEP_1)
	v_add_nc_u32_e32 v1, v95, v1
	v_lshrrev_b32_e32 v1, s25, v1
	s_delay_alu instid0(VALU_DEP_1) | instskip(NEXT) | instid1(VALU_DEP_1)
	v_mul_lo_u32 v1, v1, s26
	v_sub_nc_u32_e32 v0, v95, v1
	s_and_saveexec_b32 s15, s2
	s_cbranch_execz .LBB5_4
; %bb.3:
	s_load_b96 s[4:6], s[0:1], 0x70
	v_dual_mov_b32 v1, 0 :: v_dual_lshlrev_b32 v14, 2, v83
	v_bitop3_b32 v6, v3, 5, 1 bitop3:0xc8
	v_bitop3_b32 v10, v3, 6, 2 bitop3:0xc8
	;; [unrolled: 1-line block ×3, first 2 shown]
	s_delay_alu instid0(VALU_DEP_4)
	v_dual_mov_b32 v69, v1 :: v_dual_mov_b32 v7, v1
	v_dual_mov_b32 v11, v1 :: v_dual_mov_b32 v13, v1
	v_mov_b32_e32 v15, v1
	s_wait_kmcnt 0x0
	s_ashr_i32 s25, s4, 31
	s_mov_b32 s24, s4
	s_mul_i32 s4, s28, s6
	s_lshr_b64 s[24:25], s[24:25], 2
	s_delay_alu instid0(SALU_CYCLE_1) | instskip(SKIP_4) | instid1(SALU_CYCLE_1)
	v_mul_u64_e32 v[4:5], s[24:25], v[0:1]
	s_ashr_i32 s25, s5, 31
	s_mov_b32 s24, s5
	v_or_b32_e32 v1, 1, v3
	s_lshr_b64 s[24:25], s[24:25], 2
	v_mul_u64_e32 v[8:9], s[24:25], v[68:69]
	v_mul_u64_e32 v[6:7], s[24:25], v[6:7]
	;; [unrolled: 1-line block ×4, first 2 shown]
	s_mul_i32 s24, s31, s5
	s_ashr_i32 s5, s4, 31
	s_ashr_i32 s25, s24, 31
	s_add_nc_u64 s[4:5], s[8:9], s[4:5]
	v_mad_u32_u24 v1, 0xc0, v1, v96
	s_add_nc_u64 s[4:5], s[4:5], s[24:25]
	s_delay_alu instid0(SALU_CYCLE_1) | instskip(SKIP_1) | instid1(VALU_DEP_1)
	v_lshl_add_u64 v[4:5], v[4:5], 2, s[4:5]
	s_load_b32 s4, s[0:1], 0x40
	v_add_nc_u64_e32 v[14:15], v[4:5], v[14:15]
	s_delay_alu instid0(VALU_DEP_1)
	v_lshl_add_u64 v[4:5], v[8:9], 2, v[14:15]
	v_lshl_add_u64 v[8:9], v[6:7], 2, v[14:15]
	;; [unrolled: 1-line block ×4, first 2 shown]
	s_clause 0x3
	global_load_b128 v[4:7], v[4:5], off
	global_load_b128 v[8:11], v[8:9], off
	;; [unrolled: 1-line block ×4, first 2 shown]
	s_wait_xcnt 0x1
	v_mad_u32_u24 v20, 0x300, v2, v96
	s_wait_loadcnt 0x3
	s_wait_kmcnt 0x0
	v_fma_mixlo_f16 v4, s4, v4, 0
	v_fma_mixlo_f16 v5, s4, v5, 0
	v_fma_mixlo_f16 v6, s4, v6, 0
	v_fma_mixlo_f16 v7, s4, v7, 0
	s_wait_loadcnt 0x2
	v_fma_mixlo_f16 v8, s4, v8, 0
	v_fma_mixlo_f16 v9, s4, v9, 0
	s_wait_loadcnt 0x1
	v_fma_mixlo_f16 v12, s4, v12, 0
	v_fma_mixlo_f16 v13, s4, v13, 0
	;; [unrolled: 1-line block ×4, first 2 shown]
	s_wait_loadcnt 0x0
	v_fma_mixlo_f16 v16, s4, v16, 0
	v_fma_mixlo_f16 v17, s4, v17, 0
	v_dual_lshlrev_b32 v5, 16, v5 :: v_dual_lshlrev_b32 v7, 16, v7
	v_and_b32_e32 v4, 0xffff, v4
	v_fma_mixlo_f16 v14, s4, v14, 0
	v_fma_mixlo_f16 v15, s4, v15, 0
	v_and_b32_e32 v6, 0xffff, v6
	v_dual_lshlrev_b32 v9, 16, v9 :: v_dual_lshlrev_b32 v11, 16, v11
	v_and_b32_e32 v8, 0xffff, v8
	s_delay_alu instid0(VALU_DEP_4)
	v_dual_lshlrev_b32 v13, 16, v13 :: v_dual_lshlrev_b32 v15, 16, v15
	v_and_b32_e32 v12, 0xffff, v12
	v_fma_mixlo_f16 v18, s4, v18, 0
	v_fma_mixlo_f16 v19, s4, v19, 0
	v_and_b32_e32 v10, 0xffff, v10
	v_lshlrev_b32_e32 v17, 16, v17
	v_and_b32_e32 v16, 0xffff, v16
	v_or_b32_e32 v4, v5, v4
	v_and_b32_e32 v14, 0xffff, v14
	v_or3_b32 v5, v7, v6, 0
	v_or_b32_e32 v6, v9, v8
	v_dual_lshlrev_b32 v19, 16, v19 :: v_dual_bitop2_b32 v8, v13, v12 bitop3:0x54
	v_and_b32_e32 v18, 0xffff, v18
	v_or3_b32 v7, v11, v10, 0
	v_or_b32_e32 v10, v17, v16
	v_or3_b32 v4, 0, 0, v4
	v_or3_b32 v9, v15, v14, 0
	;; [unrolled: 1-line block ×6, first 2 shown]
	ds_store_b64 v20, v[4:5]
	ds_store_2addr_b64 v1, v[6:7], v[8:9] offset1:24
	ds_store_b64 v1, v[10:11] offset:384
.LBB5_4:
	s_or_b32 exec_lo, exec_lo, s15
	s_cmp_eq_u64 s[18:19], 0
	s_wait_dscnt 0x0
	s_barrier_signal -1
	s_barrier_wait -1
	s_cbranch_scc1 .LBB5_6
; %bb.5:
	s_load_b32 s4, s[0:1], 0xd0
	s_wait_kmcnt 0x0
	s_mul_i32 s4, s4, s28
	s_delay_alu instid0(SALU_CYCLE_1)
	s_add_co_i32 s4, s4, s14
	s_load_b32 s30, s[18:19], s4 offset:0x0 scale_offset
.LBB5_6:
	s_wait_xcnt 0x0
	s_bfe_u32 s4, ttmp6, 0x40010
	s_and_b32 s5, ttmp7, 0xffff
	s_add_co_i32 s4, s4, 1
	s_bfe_u32 s6, ttmp6, 0x40004
	s_mul_i32 s4, s5, s4
	v_mbcnt_lo_u32_b32 v69, -1, 0
	s_add_co_i32 s6, s6, s4
	s_cmp_eq_u32 s7, 0
	s_mov_b32 s4, 0
	s_cselect_b32 s33, s5, s6
	s_delay_alu instid0(SALU_CYCLE_1)
	s_lshl_b32 s14, s33, 5
	s_wait_kmcnt 0x0
	s_cmp_lt_i32 s14, s30
	s_cbranch_scc1 .LBB5_9
; %bb.7:
	v_mbcnt_lo_u32_b32 v4, -1, 0
	s_delay_alu instid0(VALU_DEP_1)
	v_dual_mov_b32 v97, 32 :: v_dual_bitop2_b32 v114, 16, v4 bitop3:0x14
	v_xor_b32_e32 v115, 8, v4
	v_xor_b32_e32 v116, 4, v4
	;; [unrolled: 1-line block ×4, first 2 shown]
	s_and_not1_b32 vcc_lo, exec_lo, s4
	s_cbranch_vccz .LBB5_10
; %bb.8:
	v_dual_mov_b32 v112, 0 :: v_dual_mov_b32 v71, 0
	v_dual_mov_b32 v3, 0xfeffffff :: v_dual_mov_b32 v2, 0xfeffffff
	;; [unrolled: 1-line block ×3, first 2 shown]
	s_delay_alu instid0(VALU_DEP_3)
	v_dual_mov_b32 v70, v71 :: v_dual_mov_b32 v73, v71
	v_dual_mov_b32 v72, v71 :: v_dual_mov_b32 v113, 0
	v_dual_mov_b32 v108, 0 :: v_dual_mov_b32 v111, 0
	v_dual_mov_b32 v100, 0 :: v_dual_mov_b32 v101, 0
	v_dual_mov_b32 v98, 0 :: v_dual_mov_b32 v99, 0
	s_branch .LBB5_30
.LBB5_9:
                                        ; implicit-def: $vgpr4
                                        ; implicit-def: $vgpr97
                                        ; implicit-def: $vgpr114
                                        ; implicit-def: $vgpr115
                                        ; implicit-def: $vgpr116
                                        ; implicit-def: $vgpr117
                                        ; implicit-def: $vgpr118
.LBB5_10:
	s_clause 0x1
	s_load_b64 s[8:9], s[0:1], 0x8c
	s_load_b128 s[4:7], s[0:1], 0x98
	s_mul_f32 s15, s36, 0x4f7ffffe
	v_dual_lshrrev_b32 v1, 1, v94 :: v_dual_lshrrev_b32 v4, 2, v94
	s_sub_co_i32 s18, 0, s38
	s_delay_alu instid0(SALU_CYCLE_1) | instskip(SKIP_1) | instid1(VALU_DEP_1)
	s_cvt_u32_f32 s15, s15
	s_ashr_i32 s24, s31, 31
	v_lshl_add_u32 v1, v2, 4, v1
	s_ashr_i32 s25, s29, 31
	s_mul_i32 s18, s18, s15
	s_xor_b32 s25, s24, s25
	s_mul_hi_u32 s18, s15, s18
	s_abs_i32 s36, s31
	s_mov_b32 s19, s37
	s_add_co_i32 s18, s15, s18
	v_lshl_add_u32 v4, v2, 3, v4
	v_and_b32_e32 v8, 12, v83
	v_and_b32_e32 v6, 4, v83
	s_mul_u64 s[18:19], s[36:37], s[18:19]
	s_wait_kmcnt 0x0
	s_ashr_i32 s24, s8, 2
	s_load_b64 s[40:41], s[0:1], 0xa8
	v_mul_lo_u32 v74, s24, v1
	s_ashr_i32 s15, s3, 1
	s_mul_i32 s3, s19, s38
	v_cmp_gt_u32_e32 vcc_lo, 32, v1
	v_mul_u32_u24_e32 v1, 0x70, v1
	v_mul_lo_u32 v76, s24, v4
	v_dual_lshlrev_b32 v9, 2, v8 :: v_dual_lshlrev_b32 v5, 2, v6
	v_dual_mov_b32 v79, 0 :: v_dual_lshrrev_b32 v10, 3, v94
	s_sub_co_i32 s3, s36, s3
	s_ashr_i32 s29, s28, 31
	s_ashr_i32 s18, s6, 2
	s_add_co_i32 s6, s19, 1
	s_sub_co_i32 s8, s3, s38
	s_cmp_ge_u32 s3, s38
	v_add3_u32 v104, v1, v5, 0x1840
	v_dual_ashrrev_i32 v75, 31, v74 :: v_dual_add_nc_u32 v1, v10, v3
	s_cselect_b32 s6, s6, s19
	s_cselect_b32 s3, s8, s3
	s_add_co_i32 s8, s6, 1
	s_cmp_ge_u32 s3, s38
	v_mul_lo_u32 v80, s18, v4
	v_mul_lo_u32 v84, s18, v1
	s_cselect_b32 s3, s8, s6
	v_dual_ashrrev_i32 v77, 31, v76 :: v_dual_bitop2_b32 v82, 28, v83 bitop3:0x40
	v_mul_u32_u24_e32 v3, 0xc0, v4
	s_xor_b32 s3, s3, s25
	v_mad_u32 v106, v0, s15, v94
	s_sub_co_i32 s3, s3, s25
	v_mul_u32_u24_e32 v103, 0x300, v2
	v_mul_u32_u24_e32 v7, 0x70, v4
	v_lshl_add_u32 v107, v2, 8, 0x2680
	v_dual_lshlrev_b32 v3, 2, v82 :: v_dual_bitop2_b32 v0, v3, v9 bitop3:0x54
	v_mul_u32_u24_e32 v2, 0xc0, v1
	s_mul_u64 s[4:5], s[4:5], s[28:29]
	s_mul_i32 s8, s3, s9
	s_wait_kmcnt 0x0
	s_mul_u64 s[36:37], s[40:41], s[28:29]
	s_add_nc_u64 s[4:5], s[10:11], s[4:5]
	s_ashr_i32 s9, s8, 31
	s_mul_i32 s6, s3, s7
	s_add_nc_u64 s[10:11], s[12:13], s[36:37]
	s_add_nc_u64 s[36:37], s[4:5], s[8:9]
	v_cmp_gt_u32_e64 s3, 32, v4
	v_mul_u32_u24_e32 v102, 0x70, v94
	v_add3_u32 v105, v7, v9, 0x1800
	v_cmp_gt_u32_e64 s4, 16, v4
	v_cmp_gt_u32_e64 s5, 16, v1
	v_dual_mov_b32 v98, v79 :: v_dual_add_nc_u32 v109, 0x1880, v0
	v_dual_mov_b32 v4, 0xfeffffff :: v_dual_ashrrev_i32 v81, 31, v80
	v_add3_u32 v110, v2, v3, 0x1800
	v_dual_ashrrev_i32 v85, 31, v84 :: v_dual_mov_b32 v97, 32
	v_dual_lshlrev_b32 v78, 2, v6 :: v_dual_lshlrev_b32 v86, 2, v8
	v_dual_mov_b32 v99, v79 :: v_dual_mov_b32 v101, v79
	v_dual_mov_b32 v100, v79 :: v_dual_mov_b32 v111, v79
	;; [unrolled: 1-line block ×7, first 2 shown]
	s_ashr_i32 s7, s6, 31
	s_ashr_i32 s25, s24, 31
	s_add_nc_u64 s[38:39], s[10:11], s[6:7]
	s_ashr_i32 s19, s18, 31
	s_add_nc_u64 s[40:41], s[0:1], 0xd0
.LBB5_11:                               ; =>This Inner Loop Header: Depth=1
	s_ashr_i32 s15, s14, 31
	s_delay_alu instid0(SALU_CYCLE_1) | instskip(NEXT) | instid1(SALU_CYCLE_1)
	s_mul_u64 s[6:7], s[14:15], s[24:25]
	s_lshl_b64 s[6:7], s[6:7], 2
	s_delay_alu instid0(SALU_CYCLE_1) | instskip(NEXT) | instid1(SALU_CYCLE_1)
	s_add_nc_u64 s[6:7], s[36:37], s[6:7]
	v_lshl_add_u64 v[0:1], v[74:75], 2, s[6:7]
	s_and_saveexec_b32 s8, vcc_lo
	s_cbranch_execz .LBB5_13
; %bb.12:                               ;   in Loop: Header=BB5_11 Depth=1
	s_delay_alu instid0(VALU_DEP_1)
	v_add_nc_u64_e32 v[2:3], v[0:1], v[78:79]
	global_load_b128 v[6:9], v[2:3], off offset:64
	s_wait_loadcnt 0x0
	ds_store_b128 v104, v[6:9]
.LBB5_13:                               ;   in Loop: Header=BB5_11 Depth=1
	s_or_b32 exec_lo, exec_lo, s8
	v_lshl_add_u64 v[2:3], v[76:77], 2, s[6:7]
	s_and_saveexec_b32 s6, s3
	s_cbranch_execz .LBB5_15
; %bb.14:                               ;   in Loop: Header=BB5_11 Depth=1
	v_mov_b32_e32 v87, v79
	s_delay_alu instid0(VALU_DEP_1)
	v_add_nc_u64_e32 v[6:7], v[2:3], v[86:87]
	global_load_b128 v[6:9], v[6:7], off
	s_wait_loadcnt 0x0
	ds_store_b128 v105, v[6:9]
.LBB5_15:                               ;   in Loop: Header=BB5_11 Depth=1
	s_or_b32 exec_lo, exec_lo, s6
	s_wait_dscnt 0x0
	s_barrier_signal -1
	s_barrier_wait -1
	ds_load_b128 v[10:13], v102 offset:6144
	ds_load_b128 v[14:17], v103
	ds_load_b128 v[18:21], v103 offset:192
	ds_load_b128 v[22:25], v103 offset:384
	ds_load_b128 v[26:29], v103 offset:576
	v_dual_mov_b32 v6, 0 :: v_dual_mov_b32 v7, 0
	v_dual_mov_b32 v8, 0 :: v_dual_mov_b32 v9, 0
	s_wait_dscnt 0x3
	;;#ASMSTART
	v_dot2_f32_f16 v6, v10, v14, v6
	;;#ASMEND
	;;#ASMSTART
	v_dot2_f32_f16 v6, v11, v15, v6
	;;#ASMEND
	;;#ASMSTART
	v_dot2_f32_f16 v6, v12, v16, v6
	;;#ASMEND
	;;#ASMSTART
	v_dot2_f32_f16 v6, v13, v17, v6
	;;#ASMEND
	s_wait_dscnt 0x2
	;;#ASMSTART
	v_dot2_f32_f16 v7, v10, v18, v7
	;;#ASMEND
	;;#ASMSTART
	v_dot2_f32_f16 v7, v11, v19, v7
	;;#ASMEND
	;;#ASMSTART
	v_dot2_f32_f16 v7, v12, v20, v7
	;;#ASMEND
	;;#ASMSTART
	v_dot2_f32_f16 v7, v13, v21, v7
	;;#ASMEND
	s_wait_dscnt 0x1
	;;#ASMSTART
	v_dot2_f32_f16 v8, v10, v22, v8
	;;#ASMEND
	;;#ASMSTART
	v_dot2_f32_f16 v8, v11, v23, v8
	;;#ASMEND
	;;#ASMSTART
	v_dot2_f32_f16 v8, v12, v24, v8
	;;#ASMEND
	;;#ASMSTART
	v_dot2_f32_f16 v8, v13, v25, v8
	;;#ASMEND
	s_wait_dscnt 0x0
	;;#ASMSTART
	v_dot2_f32_f16 v9, v10, v26, v9
	;;#ASMEND
	;;#ASMSTART
	v_dot2_f32_f16 v9, v11, v27, v9
	;;#ASMEND
	;;#ASMSTART
	v_dot2_f32_f16 v9, v12, v28, v9
	;;#ASMEND
	;;#ASMSTART
	v_dot2_f32_f16 v9, v13, v29, v9
	;;#ASMEND
	ds_load_b128 v[10:13], v102 offset:6160
	ds_load_b128 v[14:17], v103 offset:16
	ds_load_b128 v[18:21], v103 offset:208
	ds_load_b128 v[22:25], v103 offset:400
	ds_load_b128 v[26:29], v103 offset:592
	s_wait_dscnt 0x3
	;;#ASMSTART
	v_dot2_f32_f16 v6, v10, v14, v6
	;;#ASMEND
	;;#ASMSTART
	v_dot2_f32_f16 v6, v11, v15, v6
	;;#ASMEND
	;;#ASMSTART
	v_dot2_f32_f16 v6, v12, v16, v6
	;;#ASMEND
	;;#ASMSTART
	v_dot2_f32_f16 v6, v13, v17, v6
	;;#ASMEND
	s_wait_dscnt 0x2
	;;#ASMSTART
	v_dot2_f32_f16 v7, v10, v18, v7
	;;#ASMEND
	;;#ASMSTART
	v_dot2_f32_f16 v7, v11, v19, v7
	;;#ASMEND
	;;#ASMSTART
	v_dot2_f32_f16 v7, v12, v20, v7
	;;#ASMEND
	;;#ASMSTART
	v_dot2_f32_f16 v7, v13, v21, v7
	;;#ASMEND
	s_wait_dscnt 0x1
	;;#ASMSTART
	v_dot2_f32_f16 v8, v10, v22, v8
	;;#ASMEND
	;;#ASMSTART
	v_dot2_f32_f16 v8, v11, v23, v8
	;;#ASMEND
	;;#ASMSTART
	v_dot2_f32_f16 v8, v12, v24, v8
	;;#ASMEND
	;;#ASMSTART
	v_dot2_f32_f16 v8, v13, v25, v8
	;;#ASMEND
	s_wait_dscnt 0x0
	;;#ASMSTART
	v_dot2_f32_f16 v9, v10, v26, v9
	;;#ASMEND
	;;#ASMSTART
	v_dot2_f32_f16 v9, v11, v27, v9
	;;#ASMEND
	;;#ASMSTART
	v_dot2_f32_f16 v9, v12, v28, v9
	;;#ASMEND
	;;#ASMSTART
	v_dot2_f32_f16 v9, v13, v29, v9
	;;#ASMEND
	ds_load_b128 v[10:13], v102 offset:6176
	ds_load_b128 v[14:17], v103 offset:32
	ds_load_b128 v[18:21], v103 offset:224
	ds_load_b128 v[22:25], v103 offset:416
	ds_load_b128 v[26:29], v103 offset:608
	;; [unrolled: 57-line block ×5, first 2 shown]
	s_wait_dscnt 0x3
	;;#ASMSTART
	v_dot2_f32_f16 v6, v10, v14, v6
	;;#ASMEND
	;;#ASMSTART
	v_dot2_f32_f16 v6, v11, v15, v6
	;;#ASMEND
	;;#ASMSTART
	v_dot2_f32_f16 v6, v12, v16, v6
	;;#ASMEND
	;;#ASMSTART
	v_dot2_f32_f16 v6, v13, v17, v6
	;;#ASMEND
	s_wait_dscnt 0x2
	;;#ASMSTART
	v_dot2_f32_f16 v7, v10, v18, v7
	;;#ASMEND
	;;#ASMSTART
	v_dot2_f32_f16 v7, v11, v19, v7
	;;#ASMEND
	;;#ASMSTART
	v_dot2_f32_f16 v7, v12, v20, v7
	;;#ASMEND
	;;#ASMSTART
	v_dot2_f32_f16 v7, v13, v21, v7
	;;#ASMEND
	;; [unrolled: 13-line block ×4, first 2 shown]
	s_barrier_signal -1
	s_barrier_wait -1
	s_and_saveexec_b32 s6, vcc_lo
	s_cbranch_execz .LBB5_17
; %bb.16:                               ;   in Loop: Header=BB5_11 Depth=1
	v_add_nc_u64_e32 v[0:1], v[0:1], v[78:79]
	global_load_b128 v[10:13], v[0:1], off offset:160
	s_wait_loadcnt 0x0
	ds_store_b128 v104, v[10:13]
.LBB5_17:                               ;   in Loop: Header=BB5_11 Depth=1
	s_or_b32 exec_lo, exec_lo, s6
	s_and_saveexec_b32 s6, s3
	s_cbranch_execz .LBB5_19
; %bb.18:                               ;   in Loop: Header=BB5_11 Depth=1
	v_mov_b32_e32 v87, v79
	s_delay_alu instid0(VALU_DEP_1)
	v_add_nc_u64_e32 v[0:1], v[2:3], v[86:87]
	global_load_b128 v[0:3], v[0:1], off offset:96
	s_wait_loadcnt 0x0
	ds_store_b128 v105, v[0:3]
.LBB5_19:                               ;   in Loop: Header=BB5_11 Depth=1
	s_or_b32 exec_lo, exec_lo, s6
	s_wait_dscnt 0x0
	s_barrier_signal -1
	s_barrier_wait -1
	ds_load_b128 v[0:3], v102 offset:6144
	ds_load_b128 v[10:13], v103 offset:96
	;; [unrolled: 1-line block ×5, first 2 shown]
	v_dual_add_nc_u32 v26, s14, v106 :: v_dual_bitop2_b32 v114, 16, v69 bitop3:0x14
	s_wait_dscnt 0x3
	;;#ASMSTART
	v_dot2_f32_f16 v6, v0, v10, v6
	;;#ASMEND
	;;#ASMSTART
	v_dot2_f32_f16 v6, v1, v11, v6
	;;#ASMEND
	;;#ASMSTART
	v_dot2_f32_f16 v6, v2, v12, v6
	;;#ASMEND
	;;#ASMSTART
	v_dot2_f32_f16 v6, v3, v13, v6
	;;#ASMEND
	s_wait_dscnt 0x2
	;;#ASMSTART
	v_dot2_f32_f16 v7, v0, v14, v7
	;;#ASMEND
	;;#ASMSTART
	v_dot2_f32_f16 v7, v1, v15, v7
	;;#ASMEND
	;;#ASMSTART
	v_dot2_f32_f16 v7, v2, v16, v7
	;;#ASMEND
	;;#ASMSTART
	v_dot2_f32_f16 v7, v3, v17, v7
	;;#ASMEND
	;; [unrolled: 13-line block ×4, first 2 shown]
	ds_load_b128 v[0:3], v102 offset:6160
	ds_load_b128 v[10:13], v103 offset:112
	ds_load_b128 v[14:17], v103 offset:304
	ds_load_b128 v[18:21], v103 offset:496
	ds_load_b128 v[22:25], v103 offset:688
	v_cmp_gt_i32_e64 s6, 32, v114
	s_wait_dscnt 0x3
	;;#ASMSTART
	v_dot2_f32_f16 v6, v0, v10, v6
	;;#ASMEND
	;;#ASMSTART
	v_dot2_f32_f16 v6, v1, v11, v6
	;;#ASMEND
	;;#ASMSTART
	v_dot2_f32_f16 v6, v2, v12, v6
	;;#ASMEND
	;;#ASMSTART
	v_dot2_f32_f16 v6, v3, v13, v6
	;;#ASMEND
	s_wait_dscnt 0x2
	;;#ASMSTART
	v_dot2_f32_f16 v7, v0, v14, v7
	;;#ASMEND
	;;#ASMSTART
	v_dot2_f32_f16 v7, v1, v15, v7
	;;#ASMEND
	;;#ASMSTART
	v_dot2_f32_f16 v7, v2, v16, v7
	;;#ASMEND
	;;#ASMSTART
	v_dot2_f32_f16 v7, v3, v17, v7
	;;#ASMEND
	s_wait_dscnt 0x1
	;;#ASMSTART
	v_dot2_f32_f16 v8, v0, v18, v8
	;;#ASMEND
	;;#ASMSTART
	v_dot2_f32_f16 v8, v1, v19, v8
	;;#ASMEND
	;;#ASMSTART
	v_dot2_f32_f16 v8, v2, v20, v8
	;;#ASMEND
	;;#ASMSTART
	v_dot2_f32_f16 v8, v3, v21, v8
	;;#ASMEND
	s_wait_dscnt 0x0
	;;#ASMSTART
	v_dot2_f32_f16 v9, v0, v22, v9
	;;#ASMEND
	;;#ASMSTART
	v_dot2_f32_f16 v9, v1, v23, v9
	;;#ASMEND
	;;#ASMSTART
	v_dot2_f32_f16 v9, v2, v24, v9
	;;#ASMEND
	;;#ASMSTART
	v_dot2_f32_f16 v9, v3, v25, v9
	;;#ASMEND
	ds_load_b128 v[0:3], v102 offset:6176
	ds_load_b128 v[10:13], v103 offset:128
	ds_load_b128 v[14:17], v103 offset:320
	ds_load_b128 v[18:21], v103 offset:512
	ds_load_b128 v[22:25], v103 offset:704
	s_wait_dscnt 0x3
	;;#ASMSTART
	v_dot2_f32_f16 v6, v0, v10, v6
	;;#ASMEND
	;;#ASMSTART
	v_dot2_f32_f16 v6, v1, v11, v6
	;;#ASMEND
	;;#ASMSTART
	v_dot2_f32_f16 v6, v2, v12, v6
	;;#ASMEND
	;;#ASMSTART
	v_dot2_f32_f16 v6, v3, v13, v6
	;;#ASMEND
	s_wait_dscnt 0x2
	;;#ASMSTART
	v_dot2_f32_f16 v7, v0, v14, v7
	;;#ASMEND
	;;#ASMSTART
	v_dot2_f32_f16 v7, v1, v15, v7
	;;#ASMEND
	;;#ASMSTART
	v_dot2_f32_f16 v7, v2, v16, v7
	;;#ASMEND
	;;#ASMSTART
	v_dot2_f32_f16 v7, v3, v17, v7
	;;#ASMEND
	s_wait_dscnt 0x1
	;;#ASMSTART
	v_dot2_f32_f16 v8, v0, v18, v8
	;;#ASMEND
	;;#ASMSTART
	v_dot2_f32_f16 v8, v1, v19, v8
	;;#ASMEND
	;;#ASMSTART
	v_dot2_f32_f16 v8, v2, v20, v8
	;;#ASMEND
	;;#ASMSTART
	v_dot2_f32_f16 v8, v3, v21, v8
	;;#ASMEND
	s_wait_dscnt 0x0
	;;#ASMSTART
	v_dot2_f32_f16 v9, v0, v22, v9
	;;#ASMEND
	;;#ASMSTART
	v_dot2_f32_f16 v9, v1, v23, v9
	;;#ASMEND
	;;#ASMSTART
	v_dot2_f32_f16 v9, v2, v24, v9
	;;#ASMEND
	;;#ASMSTART
	v_dot2_f32_f16 v9, v3, v25, v9
	;;#ASMEND
	ds_load_b128 v[0:3], v102 offset:6192
	ds_load_b128 v[10:13], v103 offset:144
	ds_load_b128 v[14:17], v103 offset:336
	ds_load_b128 v[18:21], v103 offset:528
	ds_load_b128 v[22:25], v103 offset:720
	;; [unrolled: 57-line block ×4, first 2 shown]
	s_wait_dscnt 0x3
	;;#ASMSTART
	v_dot2_f32_f16 v6, v0, v10, v6
	;;#ASMEND
	;;#ASMSTART
	v_dot2_f32_f16 v6, v1, v11, v6
	;;#ASMEND
	;;#ASMSTART
	v_dot2_f32_f16 v6, v2, v12, v6
	;;#ASMEND
	;;#ASMSTART
	v_dot2_f32_f16 v6, v3, v13, v6
	;;#ASMEND
	s_wait_dscnt 0x2
	;;#ASMSTART
	v_dot2_f32_f16 v7, v0, v14, v7
	;;#ASMEND
	;;#ASMSTART
	v_dot2_f32_f16 v7, v1, v15, v7
	;;#ASMEND
	;;#ASMSTART
	v_dot2_f32_f16 v7, v2, v16, v7
	;;#ASMEND
	;;#ASMSTART
	v_dot2_f32_f16 v7, v3, v17, v7
	;;#ASMEND
	;; [unrolled: 13-line block ×4, first 2 shown]
	global_load_u16 v0, v26, s[34:35] scale_offset
	v_dual_max_num_f32 v1, v4, v4 :: v_dual_max_num_f32 v2, v5, v5
	v_dual_max_num_f32 v3, v119, v119 :: v_dual_max_num_f32 v10, v120, v120
	s_wait_loadcnt 0x0
	s_barrier_signal -1
	s_barrier_wait -1
	v_dual_cndmask_b32 v11, v69, v114, s6 :: v_dual_bitop2_b32 v115, 8, v69 bitop3:0x14
	v_xor_b32_e32 v116, 4, v69
	s_delay_alu instid0(VALU_DEP_2) | instskip(SKIP_1) | instid1(VALU_DEP_1)
	v_cmp_gt_i32_e64 s6, 32, v115
	v_cvt_f32_f16_e32 v0, v0
	v_dual_add_f32 v6, v6, v0 :: v_dual_add_f32 v7, v7, v0
	v_dual_add_f32 v8, v8, v0 :: v_dual_add_f32 v9, v9, v0
	s_delay_alu instid0(VALU_DEP_2) | instskip(NEXT) | instid1(VALU_DEP_2)
	v_add_f32_e32 v0, 0x40051340, v6
	v_dual_add_f32 v12, 0x40051340, v7 :: v_dual_add_f32 v13, 0x40051340, v8
	s_delay_alu instid0(VALU_DEP_3) | instskip(NEXT) | instid1(VALU_DEP_3)
	v_dual_add_f32 v14, 0x40051340, v9 :: v_dual_lshlrev_b32 v11, 2, v11
	v_max_num_f32_e32 v0, v1, v0
	s_delay_alu instid0(VALU_DEP_3) | instskip(NEXT) | instid1(VALU_DEP_3)
	v_dual_max_num_f32 v1, v2, v12 :: v_dual_max_num_f32 v2, v3, v13
	v_dual_max_num_f32 v3, v10, v14 :: v_dual_cndmask_b32 v14, v69, v115, s6
	ds_bpermute_b32 v10, v11, v0
	ds_bpermute_b32 v12, v11, v1
	;; [unrolled: 1-line block ×4, first 2 shown]
	v_lshlrev_b32_e32 v14, 2, v14
	v_cmp_gt_i32_e64 s6, 32, v116
	s_wait_dscnt 0x2
	v_dual_max_num_f32 v10, v10, v10 :: v_dual_max_num_f32 v12, v12, v12
	s_wait_dscnt 0x0
	v_dual_max_num_f32 v13, v13, v13 :: v_dual_max_num_f32 v11, v11, v11
	s_delay_alu instid0(VALU_DEP_2) | instskip(NEXT) | instid1(VALU_DEP_2)
	v_dual_max_num_f32 v0, v0, v10 :: v_dual_max_num_f32 v1, v1, v12
	v_dual_max_num_f32 v2, v2, v13 :: v_dual_max_num_f32 v3, v3, v11
	ds_bpermute_b32 v10, v14, v0
	ds_bpermute_b32 v11, v14, v1
	;; [unrolled: 1-line block ×4, first 2 shown]
	s_wait_dscnt 0x3
	v_dual_cndmask_b32 v14, v69, v116, s6 :: v_dual_max_num_f32 v10, v10, v10
	s_wait_dscnt 0x2
	s_delay_alu instid0(VALU_DEP_1) | instskip(SKIP_2) | instid1(VALU_DEP_2)
	v_dual_max_num_f32 v11, v11, v11 :: v_dual_lshlrev_b32 v14, 2, v14
	s_wait_dscnt 0x0
	v_dual_max_num_f32 v12, v12, v12 :: v_dual_max_num_f32 v13, v13, v13
	v_dual_max_num_f32 v0, v0, v10 :: v_dual_max_num_f32 v1, v1, v11
	s_delay_alu instid0(VALU_DEP_2)
	v_dual_max_num_f32 v2, v2, v12 :: v_dual_max_num_f32 v3, v3, v13
	ds_bpermute_b32 v10, v14, v0
	v_xor_b32_e32 v117, 2, v69
	ds_bpermute_b32 v11, v14, v1
	ds_bpermute_b32 v12, v14, v2
	;; [unrolled: 1-line block ×3, first 2 shown]
	s_wait_dscnt 0x3
	v_max_num_f32_e32 v10, v10, v10
	v_cmp_gt_i32_e64 s6, 32, v117
	s_wait_dscnt 0x1
	v_dual_max_num_f32 v11, v11, v11 :: v_dual_max_num_f32 v12, v12, v12
	s_wait_dscnt 0x0
	v_dual_max_num_f32 v13, v13, v13 :: v_dual_max_num_f32 v0, v0, v10
	v_cndmask_b32_e64 v14, v69, v117, s6
	s_delay_alu instid0(VALU_DEP_3) | instskip(NEXT) | instid1(VALU_DEP_2)
	v_dual_max_num_f32 v1, v1, v11 :: v_dual_max_num_f32 v2, v2, v12
	v_lshlrev_b32_e32 v14, 2, v14
	ds_bpermute_b32 v10, v14, v0
	v_xor_b32_e32 v118, 1, v69
	ds_bpermute_b32 v11, v14, v1
	ds_bpermute_b32 v12, v14, v2
	s_wait_dscnt 0x2
	v_max_num_f32_e32 v10, v10, v10
	v_cmp_gt_i32_e64 s6, 32, v118
	v_max_num_f32_e32 v3, v3, v13
	s_wait_dscnt 0x1
	s_delay_alu instid0(VALU_DEP_3) | instskip(SKIP_3) | instid1(VALU_DEP_1)
	v_dual_max_num_f32 v11, v11, v11 :: v_dual_max_num_f32 v0, v0, v10
	ds_bpermute_b32 v13, v14, v3
	s_wait_dscnt 0x1
	v_dual_cndmask_b32 v14, v69, v118, s6 :: v_dual_max_num_f32 v12, v12, v12
	v_dual_max_num_f32 v1, v1, v11 :: v_dual_lshlrev_b32 v14, 2, v14
	ds_bpermute_b32 v10, v14, v0
	ds_bpermute_b32 v11, v14, v1
	s_wait_dscnt 0x2
	v_dual_max_num_f32 v13, v13, v13 :: v_dual_max_num_f32 v2, v2, v12
	s_delay_alu instid0(VALU_DEP_1) | instskip(SKIP_4) | instid1(VALU_DEP_1)
	v_max_num_f32_e32 v3, v3, v13
	ds_bpermute_b32 v12, v14, v2
	ds_bpermute_b32 v13, v14, v3
	s_wait_dscnt 0x2
	v_dual_max_num_f32 v10, v10, v10 :: v_dual_max_num_f32 v11, v11, v11
	v_dual_max_num_f32 v0, v0, v10 :: v_dual_max_num_f32 v1, v1, v11
	s_delay_alu instid0(VALU_DEP_1) | instskip(SKIP_2) | instid1(VALU_DEP_2)
	v_dual_sub_f32 v6, v6, v0 :: v_dual_sub_f32 v7, v7, v1
	s_wait_dscnt 0x1
	v_max_num_f32_e32 v12, v12, v12
	v_dual_mul_f32 v10, 0x3fb8aa3b, v6 :: v_dual_mul_f32 v11, 0x3fb8aa3b, v7
	v_cmp_ngt_f32_e64 s6, 0xc2ce8ed0, v6
	s_wait_dscnt 0x0
	s_delay_alu instid0(VALU_DEP_3) | instskip(NEXT) | instid1(VALU_DEP_3)
	v_dual_max_num_f32 v13, v13, v13 :: v_dual_max_num_f32 v2, v2, v12
	v_fma_f32 v14, 0x3fb8aa3b, v6, -v10
	v_rndne_f32_e32 v15, v10
	v_fma_f32 v16, 0x3fb8aa3b, v7, -v11
	s_delay_alu instid0(VALU_DEP_4) | instskip(SKIP_1) | instid1(VALU_DEP_2)
	v_dual_max_num_f32 v3, v3, v13 :: v_dual_sub_f32 v8, v8, v2
	v_rndne_f32_e32 v17, v11
	v_dual_fmac_f32 v14, 0x32a5705f, v6 :: v_dual_sub_f32 v9, v9, v3
	s_delay_alu instid0(VALU_DEP_2) | instskip(NEXT) | instid1(VALU_DEP_2)
	v_dual_mul_f32 v12, 0x3fb8aa3b, v8 :: v_dual_sub_f32 v11, v11, v17
	v_mul_f32_e32 v13, 0x3fb8aa3b, v9
	s_delay_alu instid0(VALU_DEP_2) | instskip(SKIP_1) | instid1(VALU_DEP_3)
	v_rndne_f32_e32 v19, v12
	v_fma_f32 v18, 0x3fb8aa3b, v8, -v12
	v_fma_f32 v20, 0x3fb8aa3b, v9, -v13
	v_rndne_f32_e32 v21, v13
	v_sub_f32_e32 v10, v10, v15
	v_cvt_i32_f32_e32 v15, v15
	v_fmac_f32_e32 v18, 0x32a5705f, v8
	v_fmac_f32_e32 v20, 0x32a5705f, v9
	v_dual_sub_f32 v13, v13, v21 :: v_dual_fmac_f32 v16, 0x32a5705f, v7
	v_dual_sub_f32 v12, v12, v19 :: v_dual_add_f32 v10, v10, v14
	v_cvt_i32_f32_e32 v14, v17
	s_delay_alu instid0(VALU_DEP_3) | instskip(NEXT) | instid1(VALU_DEP_4)
	v_add_f32_e32 v13, v13, v20
	v_add_f32_e32 v11, v11, v16
	v_cvt_i32_f32_e32 v16, v19
	v_exp_f32_e32 v10, v10
	v_cvt_i32_f32_e32 v17, v21
	v_exp_f32_e32 v13, v13
	v_exp_f32_e32 v11, v11
	s_delay_alu instid0(TRANS32_DEP_3) | instskip(NEXT) | instid1(TRANS32_DEP_2)
	v_ldexp_f32 v10, v10, v15
	v_ldexp_f32 v13, v13, v17
	s_delay_alu instid0(TRANS32_DEP_1) | instskip(NEXT) | instid1(VALU_DEP_3)
	v_ldexp_f32 v11, v11, v14
	v_cndmask_b32_e64 v10, 0, v10, s6
	v_cmp_ngt_f32_e64 s6, 0xc2ce8ed0, v7
	s_delay_alu instid0(VALU_DEP_1) | instskip(NEXT) | instid1(VALU_DEP_1)
	v_dual_add_f32 v12, v12, v18 :: v_dual_cndmask_b32 v11, 0, v11, s6
	v_exp_f32_e32 v12, v12
	v_cmp_ngt_f32_e64 s6, 0xc2ce8ed0, v8
	s_delay_alu instid0(TRANS32_DEP_1) | instskip(NEXT) | instid1(VALU_DEP_1)
	v_ldexp_f32 v12, v12, v16
	v_cndmask_b32_e64 v12, 0, v12, s6
	v_cmp_ngt_f32_e64 s6, 0xc2ce8ed0, v9
	s_delay_alu instid0(VALU_DEP_1) | instskip(SKIP_1) | instid1(VALU_DEP_1)
	v_cndmask_b32_e64 v13, 0, v13, s6
	v_cmp_nlt_f32_e64 s6, 0x42b17218, v6
	v_cndmask_b32_e64 v88, 0x7f800000, v10, s6
	v_cmp_nlt_f32_e64 s6, 0x42b17218, v8
	v_add_nc_u32_e32 v8, v107, v96
	s_delay_alu instid0(VALU_DEP_2) | instskip(SKIP_1) | instid1(VALU_DEP_1)
	v_cndmask_b32_e64 v90, 0x7f800000, v12, s6
	v_cmp_nlt_f32_e64 s6, 0x42b17218, v9
	v_cndmask_b32_e64 v91, 0x7f800000, v13, s6
	v_cmp_nlt_f32_e64 s6, 0x42b17218, v7
	s_delay_alu instid0(VALU_DEP_2) | instskip(NEXT) | instid1(VALU_DEP_2)
	v_cvt_pk_f16_f32 v7, v90, v91
	v_cndmask_b32_e64 v89, 0x7f800000, v11, s6
	s_mul_u64 s[6:7], s[14:15], s[18:19]
	s_delay_alu instid0(SALU_CYCLE_1) | instskip(NEXT) | instid1(VALU_DEP_1)
	s_lshl_b64 s[6:7], s[6:7], 2
	v_cvt_pk_f16_f32 v6, v88, v89
	s_add_nc_u64 s[6:7], s[38:39], s[6:7]
	ds_store_b64 v8, v[6:7]
	s_wait_xcnt 0x0
	s_and_saveexec_b32 s8, s4
	s_cbranch_execz .LBB5_21
; %bb.20:                               ;   in Loop: Header=BB5_11 Depth=1
	v_lshl_add_u64 v[6:7], v[80:81], 2, s[6:7]
	v_mov_b32_e32 v87, v79
	s_delay_alu instid0(VALU_DEP_1)
	v_add_nc_u64_e32 v[6:7], v[6:7], v[86:87]
	global_load_b128 v[6:9], v[6:7], off offset:128
	s_wait_loadcnt 0x0
	ds_store_b128 v109, v[6:9]
.LBB5_21:                               ;   in Loop: Header=BB5_11 Depth=1
	s_or_b32 exec_lo, exec_lo, s8
	v_lshlrev_b32_e32 v92, 2, v82
	s_and_saveexec_b32 s8, s5
	s_cbranch_execz .LBB5_23
; %bb.22:                               ;   in Loop: Header=BB5_11 Depth=1
	v_lshl_add_u64 v[6:7], v[84:85], 2, s[6:7]
	v_mov_b32_e32 v93, v79
	s_delay_alu instid0(VALU_DEP_1)
	v_add_nc_u64_e32 v[6:7], v[6:7], v[92:93]
	global_load_b128 v[6:9], v[6:7], off
	s_wait_loadcnt 0x0
	ds_store_b128 v110, v[6:9]
.LBB5_23:                               ;   in Loop: Header=BB5_11 Depth=1
	s_or_b32 exec_lo, exec_lo, s8
	v_dual_sub_f32 v126, v119, v2 :: v_dual_add_nc_u32 v123, 0x1800, v96
	v_dual_sub_f32 v119, v120, v3 :: v_dual_add_nc_u32 v122, 0x1c00, v96
	v_add_nc_u32_e32 v121, 0x2000, v96
	v_dual_sub_f32 v125, v4, v0 :: v_dual_sub_f32 v124, v5, v1
	s_wait_dscnt 0x0
	s_barrier_signal -1
	s_barrier_wait -1
	ds_load_2addr_b64 v[32:35], v123 offset1:24
	ds_load_b128 v[64:67], v107
	ds_load_b128 v[60:63], v107 offset:16
	ds_load_b128 v[56:59], v107 offset:32
	;; [unrolled: 1-line block ×3, first 2 shown]
	ds_load_2addr_b64 v[28:31], v123 offset0:48 offset1:72
	ds_load_2addr_b64 v[24:27], v123 offset0:96 offset1:120
	;; [unrolled: 1-line block ×5, first 2 shown]
	ds_load_b128 v[48:51], v107 offset:64
	ds_load_b128 v[44:47], v107 offset:80
	ds_load_2addr_b64 v[8:11], v121 offset0:32 offset1:56
	ds_load_2addr_b64 v[4:7], v121 offset0:80 offset1:104
	ds_load_b128 v[40:43], v107 offset:96
	ds_load_b128 v[36:39], v107 offset:112
	s_or_b32 s42, s14, 16
	v_cmp_ngt_f32_e64 s10, 0xc2ce8ed0, v125
	s_ashr_i32 s43, s42, 31
	v_cmp_nlt_f32_e64 s6, 0x42b17218, v125
	s_mul_u64 s[42:43], s[42:43], s[18:19]
	v_cmp_ngt_f32_e64 s12, 0xc2ce8ed0, v124
	v_cmp_nlt_f32_e64 s7, 0x42b17218, v124
	v_cmp_ngt_f32_e64 s13, 0xc2ce8ed0, v126
	v_cmp_nlt_f32_e64 s8, 0x42b17218, v126
	;; [unrolled: 2-line block ×3, first 2 shown]
	s_lshl_b64 s[42:43], s[42:43], 2
	s_wait_dscnt 0x0
	s_add_nc_u64 s[42:43], s[38:39], s[42:43]
	s_barrier_signal -1
	s_barrier_wait -1
	s_and_saveexec_b32 s15, s4
	s_cbranch_execz .LBB5_25
; %bb.24:                               ;   in Loop: Header=BB5_11 Depth=1
	v_lshl_add_u64 v[128:129], v[80:81], 2, s[42:43]
	v_mov_b32_e32 v87, v79
	s_delay_alu instid0(VALU_DEP_1)
	v_add_nc_u64_e32 v[128:129], v[128:129], v[86:87]
	global_load_b128 v[128:131], v[128:129], off offset:128
	s_wait_loadcnt 0x0
	ds_store_b128 v109, v[128:131]
.LBB5_25:                               ;   in Loop: Header=BB5_11 Depth=1
	s_or_b32 exec_lo, exec_lo, s15
	s_and_saveexec_b32 s15, s5
	s_cbranch_execz .LBB5_27
; %bb.26:                               ;   in Loop: Header=BB5_11 Depth=1
	v_lshl_add_u64 v[128:129], v[84:85], 2, s[42:43]
	v_mov_b32_e32 v93, v79
	s_delay_alu instid0(VALU_DEP_1)
	v_add_nc_u64_e32 v[92:93], v[128:129], v[92:93]
	global_load_b128 v[128:131], v[92:93], off
	s_wait_loadcnt 0x0
	ds_store_b128 v110, v[128:131]
.LBB5_27:                               ;   in Loop: Header=BB5_11 Depth=1
	s_or_b32 exec_lo, exec_lo, s15
	v_dual_mul_f32 v87, 0x3fb8aa3b, v125 :: v_dual_mul_f32 v92, 0x3fb8aa3b, v124
	v_dual_mul_f32 v93, 0x3fb8aa3b, v126 :: v_dual_mul_f32 v120, 0x3fb8aa3b, v119
	v_and_b32_e32 v133, 0xffff, v62
	s_delay_alu instid0(VALU_DEP_3)
	v_fma_f32 v127, 0x3fb8aa3b, v125, -v87
	v_rndne_f32_e32 v128, v87
	v_fma_f32 v129, 0x3fb8aa3b, v124, -v92
	v_rndne_f32_e32 v130, v92
	v_fma_f32 v132, 0x3fb8aa3b, v119, -v120
	v_fmac_f32_e32 v127, 0x32a5705f, v125
	v_rndne_f32_e32 v125, v93
	v_sub_f32_e32 v87, v87, v128
	v_fma_f32 v131, 0x3fb8aa3b, v126, -v93
	v_dual_fmac_f32 v129, 0x32a5705f, v124 :: v_dual_fmac_f32 v132, 0x32a5705f, v119
	s_delay_alu instid0(VALU_DEP_4) | instskip(NEXT) | instid1(VALU_DEP_4)
	v_dual_sub_f32 v92, v92, v130 :: v_dual_sub_f32 v93, v93, v125
	v_add_f32_e32 v87, v87, v127
	v_rndne_f32_e32 v124, v120
	s_delay_alu instid0(VALU_DEP_3) | instskip(SKIP_1) | instid1(VALU_DEP_4)
	v_dual_fmac_f32 v131, 0x32a5705f, v126 :: v_dual_add_f32 v92, v92, v129
	v_and_b32_e32 v127, 0xffff, v64
	v_exp_f32_e32 v87, v87
	v_lshrrev_b32_e32 v64, 16, v64
	s_delay_alu instid0(VALU_DEP_3)
	v_dual_sub_f32 v119, v120, v124 :: v_dual_add_f32 v93, v93, v131
	v_cvt_i32_f32_e32 v120, v128
	v_exp_f32_e32 v92, v92
	v_cvt_i32_f32_e32 v126, v130
	v_cvt_i32_f32_e32 v125, v125
	v_exp_f32_e32 v93, v93
	v_ldexp_f32 v87, v87, v120
	v_add_f32_e32 v119, v119, v132
	v_cvt_i32_f32_e32 v120, v124
	v_ldexp_f32 v92, v92, v126
	v_and_b32_e32 v128, 0xffff, v65
	v_cndmask_b32_e64 v87, 0, v87, s10
	v_exp_f32_e32 v119, v119
	v_ldexp_f32 v93, v93, v125
	v_cndmask_b32_e64 v124, 0, v92, s12
	v_mul_u32_u24_e32 v127, 0x10001, v127
	v_cndmask_b32_e64 v92, 0x7f800000, v87, s6
	v_mul_u32_u24_e32 v64, 0x10001, v64
	v_lshrrev_b32_e32 v65, 16, v65
	v_ldexp_f32 v119, v119, v120
	v_cndmask_b32_e64 v120, 0, v93, s13
	v_cndmask_b32_e64 v93, 0x7f800000, v124, s7
	v_mul_u32_u24_e32 v128, 0x10001, v128
	v_and_b32_e32 v129, 0xffff, v66
	v_cndmask_b32_e64 v87, 0, v119, s11
	v_cndmask_b32_e64 v124, 0x7f800000, v120, s8
	v_cvt_f16_f32_e32 v119, v92
	v_cvt_f16_f32_e32 v120, v93
	v_lshrrev_b32_e32 v66, 16, v66
	v_cndmask_b32_e64 v125, 0x7f800000, v87, s9
	v_cvt_f16_f32_e32 v87, v124
	v_and_b32_e32 v119, 0xffff, v119
	v_and_b32_e32 v120, 0xffff, v120
	;; [unrolled: 1-line block ×3, first 2 shown]
	v_cvt_f16_f32_e32 v126, v125
	v_and_b32_e32 v87, 0xffff, v87
	v_mul_u32_u24_e32 v119, 0x10001, v119
	v_mul_u32_u24_e32 v120, 0x10001, v120
	;; [unrolled: 1-line block ×3, first 2 shown]
	v_and_b32_e32 v126, 0xffff, v126
	v_mul_u32_u24_e32 v87, 0x10001, v87
	v_lshrrev_b32_e32 v67, 16, v67
	v_pk_mul_f16 v113, v113, v119
	v_pk_mul_f16 v111, v111, v120
	v_mul_u32_u24_e32 v126, 0x10001, v126
	v_pk_mul_f16 v101, v101, v87
	v_pk_mul_f16 v159, v32, v127
	;; [unrolled: 1-line block ×6, first 2 shown]
	v_mul_u32_u24_e32 v129, 0x10001, v129
	v_mul_u32_u24_e32 v66, 0x10001, v66
	v_mul_u32_u24_e32 v130, 0x10001, v130
	v_and_b32_e32 v131, 0xffff, v60
	v_lshrrev_b32_e32 v60, 16, v60
	v_and_b32_e32 v132, 0xffff, v61
	v_mul_u32_u24_e32 v67, 0x10001, v67
	v_lshrrev_b32_e32 v61, 16, v61
	v_pk_fma_f16 v112, v112, v119, v159
	v_pk_fma_f16 v108, v108, v120, v160
	;; [unrolled: 1-line block ×8, first 2 shown]
	v_mul_u32_u24_e32 v131, 0x10001, v131
	v_mul_u32_u24_e32 v60, 0x10001, v60
	;; [unrolled: 1-line block ×3, first 2 shown]
	v_lshrrev_b32_e32 v62, 16, v62
	v_and_b32_e32 v134, 0xffff, v63
	v_mul_u32_u24_e32 v61, 0x10001, v61
	v_lshrrev_b32_e32 v63, 16, v63
	v_pk_fma_f16 v65, v34, v129, v112
	v_pk_fma_f16 v99, v34, v66, v108
	v_pk_fma_f16 v87, v34, v130, v87
	v_pk_fma_f16 v32, v34, v67, v32
	v_pk_fma_f16 v34, v35, v129, v98
	v_pk_fma_f16 v64, v35, v66, v64
	v_pk_fma_f16 v66, v35, v130, v100
	v_pk_fma_f16 v33, v35, v67, v33
	v_mul_u32_u24_e32 v133, 0x10001, v133
	v_mul_u32_u24_e32 v62, 0x10001, v62
	v_mul_u32_u24_e32 v134, 0x10001, v134
	v_and_b32_e32 v135, 0xffff, v56
	v_lshrrev_b32_e32 v56, 16, v56
	v_and_b32_e32 v136, 0xffff, v57
	v_mul_u32_u24_e32 v63, 0x10001, v63
	v_lshrrev_b32_e32 v57, 16, v57
	v_pk_fma_f16 v35, v28, v131, v65
	v_pk_fma_f16 v65, v28, v60, v99
	v_pk_fma_f16 v67, v28, v132, v87
	v_pk_fma_f16 v28, v28, v61, v32
	v_pk_fma_f16 v32, v29, v131, v34
	v_pk_fma_f16 v34, v29, v60, v64
	v_pk_fma_f16 v60, v29, v132, v66
	v_pk_fma_f16 v29, v29, v61, v33
	v_mul_u32_u24_e32 v135, 0x10001, v135
	v_mul_u32_u24_e32 v56, 0x10001, v56
	v_mul_u32_u24_e32 v136, 0x10001, v136
	v_and_b32_e32 v137, 0xffff, v58
	;; [unrolled: 16-line block ×11, first 2 shown]
	v_lshrrev_b32_e32 v36, 16, v36
	v_mul_u32_u24_e32 v43, 0x10001, v43
	v_pk_fma_f16 v15, v8, v151, v17
	v_pk_fma_f16 v17, v8, v40, v19
	;; [unrolled: 1-line block ×8, first 2 shown]
	v_and_b32_e32 v156, 0xffff, v37
	v_lshrrev_b32_e32 v37, 16, v37
	v_mul_u32_u24_e32 v155, 0x10001, v155
	v_mul_u32_u24_e32 v36, 0x10001, v36
	v_and_b32_e32 v157, 0xffff, v38
	v_lshrrev_b32_e32 v38, 16, v38
	v_pk_fma_f16 v13, v10, v153, v15
	v_pk_fma_f16 v15, v10, v42, v17
	;; [unrolled: 1-line block ×8, first 2 shown]
	s_wait_dscnt 0x0
	s_barrier_signal -1
	s_barrier_wait -1
	ds_load_b128 v[8:11], v107 offset:128
	v_mul_u32_u24_e32 v156, 0x10001, v156
	v_and_b32_e32 v158, 0xffff, v39
	v_lshrrev_b32_e32 v39, 16, v39
	v_mul_u32_u24_e32 v37, 0x10001, v37
	v_mul_u32_u24_e32 v157, 0x10001, v157
	;; [unrolled: 1-line block ×3, first 2 shown]
	v_pk_fma_f16 v13, v4, v155, v13
	v_pk_fma_f16 v15, v4, v36, v15
	;; [unrolled: 1-line block ×8, first 2 shown]
	ds_load_2addr_b64 v[12:15], v123 offset1:24
	v_mul_u32_u24_e32 v158, 0x10001, v158
	v_mul_u32_u24_e32 v39, 0x10001, v39
	v_pk_fma_f16 v16, v5, v156, v16
	v_pk_fma_f16 v5, v5, v37, v19
	;; [unrolled: 1-line block ×8, first 2 shown]
	ds_load_b128 v[4:7], v107 offset:144
	s_wait_dscnt 0x2
	v_and_b32_e32 v16, 0xffff, v8
	v_lshrrev_b32_e32 v8, 16, v8
	v_and_b32_e32 v17, 0xffff, v9
	v_lshrrev_b32_e32 v9, 16, v9
	v_pk_fma_f32 v[70:71], v[70:71], v[124:125], v[90:91]
	v_mul_u32_u24_e32 v32, 0x10001, v16
	v_mul_u32_u24_e32 v8, 0x10001, v8
	;; [unrolled: 1-line block ×4, first 2 shown]
	v_lshrrev_b32_e32 v9, 16, v10
	s_wait_dscnt 0x1
	v_pk_fma_f16 v24, v12, v32, v24
	v_pk_fma_f16 v25, v12, v8, v25
	v_pk_fma_f16 v26, v12, v33, v26
	v_pk_fma_f16 v12, v12, v34, v27
	v_pk_fma_f16 v27, v13, v32, v28
	v_pk_fma_f16 v28, v13, v8, v29
	v_and_b32_e32 v8, 0xffff, v10
	ds_load_b128 v[16:19], v107 offset:160
	ds_load_b128 v[20:23], v107 offset:176
	v_pk_fma_f16 v29, v13, v33, v30
	v_and_b32_e32 v30, 0xffff, v11
	v_lshrrev_b32_e32 v32, 16, v11
	v_mul_u32_u24_e32 v33, 0x10001, v8
	v_mul_u32_u24_e32 v35, 0x10001, v9
	ds_load_2addr_b64 v[8:11], v123 offset0:48 offset1:72
	v_mul_u32_u24_e32 v30, 0x10001, v30
	v_mul_u32_u24_e32 v32, 0x10001, v32
	v_pk_fma_f16 v13, v13, v34, v31
	v_pk_fma_f16 v24, v14, v33, v24
	;; [unrolled: 1-line block ×7, first 2 shown]
	s_wait_dscnt 0x3
	v_and_b32_e32 v28, 0xffff, v4
	v_lshrrev_b32_e32 v4, 16, v4
	v_and_b32_e32 v31, 0xffff, v5
	v_lshrrev_b32_e32 v5, 16, v5
	v_pk_fma_f16 v29, v15, v30, v29
	v_mul_u32_u24_e32 v28, 0x10001, v28
	v_mul_u32_u24_e32 v4, 0x10001, v4
	;; [unrolled: 1-line block ×4, first 2 shown]
	v_pk_fma_f16 v13, v15, v32, v13
	s_wait_dscnt 0x0
	v_pk_fma_f16 v15, v8, v28, v24
	v_pk_fma_f16 v24, v8, v4, v25
	;; [unrolled: 1-line block ×6, first 2 shown]
	v_and_b32_e32 v4, 0xffff, v6
	v_dual_lshrrev_b32 v5, 16, v6 :: v_dual_lshrrev_b32 v28, 16, v7
	v_pk_fma_f16 v26, v9, v30, v29
	v_and_b32_e32 v27, 0xffff, v7
	s_delay_alu instid0(VALU_DEP_4) | instskip(NEXT) | instid1(VALU_DEP_4)
	v_mul_u32_u24_e32 v29, 0x10001, v4
	v_mul_u32_u24_e32 v30, 0x10001, v5
	ds_load_2addr_b64 v[4:7], v123 offset0:96 offset1:120
	v_mul_u32_u24_e32 v28, 0x10001, v28
	v_mul_u32_u24_e32 v27, 0x10001, v27
	v_pk_fma_f16 v9, v9, v31, v13
	v_pk_fma_f16 v13, v10, v29, v15
	v_pk_fma_f16 v15, v10, v30, v24
	v_pk_fma_f16 v8, v10, v28, v8
	v_pk_fma_f16 v24, v10, v27, v25
	v_pk_fma_f16 v10, v11, v29, v12
	v_pk_fma_f16 v12, v11, v30, v14
	v_and_b32_e32 v14, 0xffff, v16
	v_lshrrev_b32_e32 v16, 16, v16
	v_and_b32_e32 v25, 0xffff, v17
	v_lshrrev_b32_e32 v17, 16, v17
	v_pk_fma_f16 v26, v11, v27, v26
	v_mul_u32_u24_e32 v14, 0x10001, v14
	v_mul_u32_u24_e32 v16, 0x10001, v16
	;; [unrolled: 1-line block ×4, first 2 shown]
	v_pk_fma_f16 v27, v11, v28, v9
	s_wait_dscnt 0x0
	v_pk_fma_f16 v13, v4, v14, v13
	v_pk_fma_f16 v15, v4, v16, v15
	;; [unrolled: 1-line block ×4, first 2 shown]
	v_and_b32_e32 v8, 0xffff, v18
	v_lshrrev_b32_e32 v9, 16, v18
	v_pk_fma_f16 v14, v5, v14, v10
	v_pk_fma_f16 v12, v5, v16, v12
	;; [unrolled: 1-line block ×3, first 2 shown]
	v_and_b32_e32 v18, 0xffff, v19
	v_lshrrev_b32_e32 v19, 16, v19
	v_mul_u32_u24_e32 v25, 0x10001, v8
	v_mul_u32_u24_e32 v26, 0x10001, v9
	ds_load_2addr_b64 v[8:11], v123 offset0:144 offset1:168
	v_mul_u32_u24_e32 v18, 0x10001, v18
	v_mul_u32_u24_e32 v19, 0x10001, v19
	v_pk_fma_f16 v5, v5, v17, v27
	v_pk_fma_f16 v13, v6, v25, v13
	;; [unrolled: 1-line block ×6, first 2 shown]
	v_and_b32_e32 v14, 0xffff, v20
	v_lshrrev_b32_e32 v20, 16, v20
	v_and_b32_e32 v24, 0xffff, v21
	v_lshrrev_b32_e32 v21, 16, v21
	v_pk_fma_f16 v16, v7, v18, v16
	v_mul_u32_u24_e32 v14, 0x10001, v14
	v_mul_u32_u24_e32 v18, 0x10001, v20
	;; [unrolled: 1-line block ×4, first 2 shown]
	v_pk_fma_f16 v12, v7, v26, v12
	v_pk_fma_f16 v19, v7, v19, v5
	s_wait_dscnt 0x0
	v_pk_fma_f16 v24, v8, v14, v13
	v_pk_fma_f16 v25, v8, v18, v15
	;; [unrolled: 1-line block ×5, first 2 shown]
	ds_load_b128 v[4:7], v107 offset:192
	v_pk_fma_f16 v18, v9, v18, v12
	v_and_b32_e32 v12, 0xffff, v22
	v_lshrrev_b32_e32 v13, 16, v22
	v_and_b32_e32 v14, 0xffff, v23
	v_pk_fma_f16 v20, v9, v20, v16
	v_lshrrev_b32_e32 v16, 16, v23
	v_mul_u32_u24_e32 v22, 0x10001, v12
	v_mul_u32_u24_e32 v23, 0x10001, v13
	;; [unrolled: 1-line block ×3, first 2 shown]
	ds_load_2addr_b64 v[12:15], v123 offset0:192 offset1:216
	v_mul_u32_u24_e32 v28, 0x10001, v16
	v_pk_fma_f16 v9, v9, v21, v19
	v_pk_fma_f16 v21, v10, v22, v24
	;; [unrolled: 1-line block ×7, first 2 shown]
	ds_load_b128 v[16:19], v107 offset:208
	s_wait_dscnt 0x2
	v_and_b32_e32 v23, 0xffff, v4
	v_lshrrev_b32_e32 v4, 16, v4
	v_and_b32_e32 v26, 0xffff, v5
	v_lshrrev_b32_e32 v5, 16, v5
	v_pk_fma_f16 v20, v11, v27, v20
	v_mul_u32_u24_e32 v23, 0x10001, v23
	v_mul_u32_u24_e32 v4, 0x10001, v4
	;; [unrolled: 1-line block ×4, first 2 shown]
	v_pk_fma_f16 v9, v11, v28, v9
	s_wait_dscnt 0x1
	v_pk_fma_f16 v11, v12, v23, v21
	v_pk_fma_f16 v21, v12, v4, v24
	;; [unrolled: 1-line block ×5, first 2 shown]
	v_and_b32_e32 v4, 0xffff, v6
	v_lshrrev_b32_e32 v5, 16, v6
	v_pk_fma_f16 v10, v13, v23, v10
	v_pk_fma_f16 v20, v13, v26, v20
	v_and_b32_e32 v22, 0xffff, v7
	v_lshrrev_b32_e32 v23, 16, v7
	v_mul_u32_u24_e32 v25, 0x10001, v4
	v_mul_u32_u24_e32 v26, 0x10001, v5
	ds_load_2addr_b64 v[4:7], v122 offset0:112 offset1:136
	v_mul_u32_u24_e32 v22, 0x10001, v22
	v_mul_u32_u24_e32 v23, 0x10001, v23
	v_pk_fma_f16 v9, v13, v27, v9
	v_pk_fma_f16 v11, v14, v25, v11
	;; [unrolled: 1-line block ×5, first 2 shown]
	s_wait_dscnt 0x1
	v_and_b32_e32 v14, 0xffff, v16
	v_lshrrev_b32_e32 v16, 16, v16
	v_and_b32_e32 v24, 0xffff, v17
	v_lshrrev_b32_e32 v17, 16, v17
	v_pk_fma_f16 v10, v15, v25, v10
	v_pk_fma_f16 v20, v15, v22, v20
	v_mul_u32_u24_e32 v14, 0x10001, v14
	v_mul_u32_u24_e32 v16, 0x10001, v16
	;; [unrolled: 1-line block ×4, first 2 shown]
	v_pk_fma_f16 v12, v15, v26, v12
	v_pk_fma_f16 v23, v15, v23, v9
	s_wait_dscnt 0x0
	v_pk_fma_f16 v24, v4, v14, v11
	v_pk_fma_f16 v25, v4, v16, v13
	v_pk_fma_f16 v21, v4, v22, v21
	v_pk_fma_f16 v4, v4, v17, v8
	v_pk_fma_f16 v26, v5, v14, v10
	ds_load_b128 v[8:11], v107 offset:224
	v_pk_fma_f16 v16, v5, v16, v12
	v_and_b32_e32 v12, 0xffff, v18
	v_dual_lshrrev_b32 v13, 16, v18 :: v_dual_lshrrev_b32 v18, 16, v19
	v_and_b32_e32 v14, 0xffff, v19
	v_pk_fma_f16 v20, v5, v22, v20
	s_delay_alu instid0(VALU_DEP_4) | instskip(NEXT) | instid1(VALU_DEP_4)
	v_mul_u32_u24_e32 v19, 0x10001, v12
	v_mul_u32_u24_e32 v22, 0x10001, v13
	;; [unrolled: 1-line block ×4, first 2 shown]
	ds_load_2addr_b64 v[12:15], v121 offset0:32 offset1:56
	v_pk_fma_f16 v5, v5, v17, v23
	v_pk_fma_f16 v23, v6, v19, v24
	;; [unrolled: 1-line block ×7, first 2 shown]
	ds_load_b128 v[16:19], v107 offset:240
	s_wait_dscnt 0x2
	v_and_b32_e32 v25, 0xffff, v8
	v_lshrrev_b32_e32 v8, 16, v8
	v_and_b32_e32 v26, 0xffff, v9
	v_lshrrev_b32_e32 v9, 16, v9
	v_pk_fma_f16 v20, v7, v27, v20
	v_mul_u32_u24_e32 v25, 0x10001, v25
	v_mul_u32_u24_e32 v8, 0x10001, v8
	;; [unrolled: 1-line block ×4, first 2 shown]
	v_pk_fma_f16 v27, v7, v28, v5
	v_lshrrev_b32_e32 v5, 16, v10
	s_wait_dscnt 0x1
	v_pk_fma_f16 v23, v12, v25, v23
	v_pk_fma_f16 v24, v12, v8, v24
	;; [unrolled: 1-line block ×4, first 2 shown]
	v_and_b32_e32 v4, 0xffff, v10
	v_pk_fma_f16 v25, v13, v25, v6
	v_pk_fma_f16 v8, v13, v8, v22
	;; [unrolled: 1-line block ×3, first 2 shown]
	v_and_b32_e32 v20, 0xffff, v11
	v_lshrrev_b32_e32 v11, 16, v11
	v_mul_u32_u24_e32 v22, 0x10001, v4
	v_mul_u32_u24_e32 v26, 0x10001, v5
	ds_load_2addr_b64 v[4:7], v121 offset0:80 offset1:104
	v_mul_u32_u24_e32 v20, 0x10001, v20
	v_mul_u32_u24_e32 v11, 0x10001, v11
	s_wait_dscnt 0x0
	s_barrier_signal -1
	s_barrier_wait -1
	s_load_b32 s6, s[40:41], 0x4
	v_pk_fma_f16 v9, v13, v9, v27
	v_pk_fma_f16 v13, v14, v22, v23
	;; [unrolled: 1-line block ×6, first 2 shown]
	v_and_b32_e32 v22, 0xffff, v16
	v_lshrrev_b32_e32 v16, 16, v16
	v_and_b32_e32 v24, 0xffff, v17
	v_lshrrev_b32_e32 v17, 16, v17
	v_pk_fma_f16 v8, v15, v26, v8
	v_pk_fma_f16 v10, v15, v20, v10
	v_mul_u32_u24_e32 v20, 0x10001, v22
	v_mul_u32_u24_e32 v16, 0x10001, v16
	;; [unrolled: 1-line block ×4, first 2 shown]
	v_pk_fma_f16 v9, v15, v11, v9
	v_pk_fma_f16 v11, v4, v20, v13
	;; [unrolled: 1-line block ×7, first 2 shown]
	v_and_b32_e32 v14, 0xffff, v18
	v_lshrrev_b32_e32 v16, 16, v18
	v_and_b32_e32 v18, 0xffff, v19
	v_lshrrev_b32_e32 v19, 16, v19
	v_pk_fma_f16 v10, v5, v22, v10
	v_mul_u32_u24_e32 v14, 0x10001, v14
	v_mul_u32_u24_e32 v16, 0x10001, v16
	;; [unrolled: 1-line block ×4, first 2 shown]
	v_pk_fma_f16 v5, v5, v17, v9
	s_wait_kmcnt 0x0
	s_lshl_b32 s6, s6, 5
	v_pk_fma_f32 v[72:73], v[72:73], v[92:93], v[88:89]
	v_pk_fma_f16 v112, v6, v14, v11
	v_pk_fma_f16 v108, v6, v16, v13
	;; [unrolled: 1-line block ×8, first 2 shown]
	s_add_co_i32 s14, s6, s14
	s_delay_alu instid0(SALU_CYCLE_1)
	s_cmp_ge_i32 s14, s30
	s_cbranch_scc1 .LBB5_29
; %bb.28:                               ;   in Loop: Header=BB5_11 Depth=1
	v_dual_mov_b32 v4, v0 :: v_dual_mov_b32 v5, v1
	v_dual_mov_b32 v119, v2 :: v_dual_mov_b32 v120, v3
	s_branch .LBB5_11
.LBB5_29:
	v_mov_b32_e32 v4, v69
.LBB5_30:
	v_cmp_lt_i32_e32 vcc_lo, v114, v97
	s_cmp_lg_u64 s[16:17], 0
	s_cselect_b32 s3, -1, 0
	s_cmp_eq_u32 s33, 0
	v_cndmask_b32_e32 v5, v4, v114, vcc_lo
	v_cmp_lt_i32_e32 vcc_lo, v115, v97
	s_cselect_b32 s4, -1, 0
	s_delay_alu instid0(SALU_CYCLE_1) | instskip(NEXT) | instid1(VALU_DEP_2)
	s_and_b32 s3, s4, s3
	v_lshlrev_b32_e32 v5, 2, v5
	ds_bpermute_b32 v6, v5, v72
	ds_bpermute_b32 v7, v5, v73
	;; [unrolled: 1-line block ×4, first 2 shown]
	v_cndmask_b32_e32 v5, v4, v115, vcc_lo
	v_cmp_lt_i32_e32 vcc_lo, v116, v97
	s_delay_alu instid0(VALU_DEP_2)
	v_lshlrev_b32_e32 v5, 2, v5
	s_wait_dscnt 0x2
	v_pk_add_f32 v[6:7], v[72:73], v[6:7]
	s_wait_dscnt 0x0
	v_pk_add_f32 v[8:9], v[70:71], v[8:9]
	ds_bpermute_b32 v10, v5, v6
	ds_bpermute_b32 v11, v5, v7
	;; [unrolled: 1-line block ×4, first 2 shown]
	v_cndmask_b32_e32 v5, v4, v116, vcc_lo
	v_cmp_lt_i32_e32 vcc_lo, v117, v97
	s_delay_alu instid0(VALU_DEP_2)
	v_lshlrev_b32_e32 v5, 2, v5
	s_wait_dscnt 0x2
	v_pk_add_f32 v[6:7], v[6:7], v[10:11]
	s_wait_dscnt 0x0
	v_pk_add_f32 v[8:9], v[8:9], v[12:13]
	ds_bpermute_b32 v10, v5, v6
	ds_bpermute_b32 v11, v5, v7
	;; [unrolled: 1-line block ×4, first 2 shown]
	v_cndmask_b32_e32 v5, v4, v117, vcc_lo
	v_cmp_lt_i32_e32 vcc_lo, v118, v97
	s_delay_alu instid0(VALU_DEP_2) | instskip(SKIP_1) | instid1(VALU_DEP_1)
	v_dual_cndmask_b32 v4, v4, v118 :: v_dual_lshlrev_b32 v5, 2, v5
	s_and_b32 vcc_lo, exec_lo, s3
	v_lshlrev_b32_e32 v14, 2, v4
	s_wait_dscnt 0x2
	v_pk_add_f32 v[6:7], v[6:7], v[10:11]
	s_wait_dscnt 0x0
	v_pk_add_f32 v[8:9], v[8:9], v[12:13]
	ds_bpermute_b32 v10, v5, v6
	ds_bpermute_b32 v11, v5, v7
	;; [unrolled: 1-line block ×4, first 2 shown]
	s_wait_dscnt 0x2
	v_pk_add_f32 v[4:5], v[6:7], v[10:11]
	s_wait_dscnt 0x0
	v_pk_add_f32 v[8:9], v[8:9], v[12:13]
	ds_bpermute_b32 v6, v14, v4
	ds_bpermute_b32 v7, v14, v5
	ds_bpermute_b32 v10, v14, v8
	ds_bpermute_b32 v11, v14, v9
	s_wait_dscnt 0x2
	v_pk_add_f32 v[6:7], v[4:5], v[6:7]
	s_wait_dscnt 0x0
	v_pk_add_f32 v[4:5], v[8:9], v[10:11]
	s_cbranch_vccz .LBB5_32
; %bb.31:
	v_dual_max_num_f32 v13, v1, v1 :: v_dual_add_nc_u32 v8, s31, v68
	v_dual_max_num_f32 v12, v0, v0 :: v_dual_max_num_f32 v16, v3, v3
	s_delay_alu instid0(VALU_DEP_2) | instskip(NEXT) | instid1(VALU_DEP_1)
	v_dual_max_num_f32 v14, v2, v2 :: v_dual_ashrrev_i32 v9, 31, v8
	v_lshl_add_u64 v[8:9], v[8:9], 2, s[16:17]
	global_load_b128 v[8:11], v[8:9], off
	s_wait_loadcnt 0x0
	v_dual_max_num_f32 v15, v8, v8 :: v_dual_max_num_f32 v17, v9, v9
	v_dual_max_num_f32 v18, v10, v10 :: v_dual_max_num_f32 v19, v11, v11
	s_delay_alu instid0(VALU_DEP_2) | instskip(NEXT) | instid1(VALU_DEP_2)
	v_dual_max_num_f32 v12, v12, v15 :: v_dual_max_num_f32 v13, v13, v17
	v_dual_max_num_f32 v14, v14, v18 :: v_dual_max_num_f32 v15, v16, v19
	s_delay_alu instid0(VALU_DEP_2) | instskip(SKIP_1) | instid1(VALU_DEP_3)
	v_dual_sub_f32 v0, v0, v12 :: v_dual_sub_f32 v1, v1, v13
	v_dual_sub_f32 v8, v8, v12 :: v_dual_sub_f32 v9, v9, v13
	;; [unrolled: 1-line block ×3, first 2 shown]
	s_delay_alu instid0(VALU_DEP_3) | instskip(SKIP_1) | instid1(VALU_DEP_4)
	v_mul_f32_e32 v2, 0x3fb8aa3b, v0
	v_dual_sub_f32 v10, v10, v14 :: v_dual_sub_f32 v11, v11, v15
	v_dual_mul_f32 v3, 0x3fb8aa3b, v8 :: v_dual_mul_f32 v18, 0x3fb8aa3b, v1
	s_delay_alu instid0(VALU_DEP_4) | instskip(NEXT) | instid1(VALU_DEP_3)
	v_dual_mul_f32 v19, 0x3fb8aa3b, v9 :: v_dual_mul_f32 v20, 0x3fb8aa3b, v16
	v_mul_f32_e32 v21, 0x3fb8aa3b, v10
	v_fma_f32 v24, 0x3fb8aa3b, v0, -v2
	v_rndne_f32_e32 v25, v2
	v_fma_f32 v26, 0x3fb8aa3b, v8, -v3
	v_rndne_f32_e32 v27, v3
	v_rndne_f32_e32 v31, v19
	;; [unrolled: 1-line block ×3, first 2 shown]
	v_fmac_f32_e32 v24, 0x32a5705f, v0
	v_sub_f32_e32 v2, v2, v25
	v_rndne_f32_e32 v29, v18
	v_fma_f32 v30, 0x3fb8aa3b, v9, -v19
	v_fma_f32 v32, 0x3fb8aa3b, v16, -v20
	v_rndne_f32_e32 v35, v21
	v_dual_fmac_f32 v26, 0x32a5705f, v8 :: v_dual_sub_f32 v3, v3, v27
	v_dual_sub_f32 v19, v19, v31 :: v_dual_sub_f32 v20, v20, v33
	v_add_f32_e32 v2, v2, v24
	v_fma_f32 v28, 0x3fb8aa3b, v1, -v18
	v_fma_f32 v34, 0x3fb8aa3b, v10, -v21
	v_dual_sub_f32 v21, v21, v35 :: v_dual_sub_f32 v18, v18, v29
	v_add_f32_e32 v3, v3, v26
	v_exp_f32_e32 v2, v2
	v_dual_mul_f32 v22, 0x3fb8aa3b, v17 :: v_dual_mul_f32 v23, 0x3fb8aa3b, v11
	v_cvt_i32_f32_e32 v25, v25
	s_delay_alu instid0(VALU_DEP_3)
	v_exp_f32_e32 v3, v3
	v_cvt_i32_f32_e32 v27, v27
	v_cmp_ngt_f32_e32 vcc_lo, 0xc2ce8ed0, v0
	v_rndne_f32_e32 v39, v23
	v_fmac_f32_e32 v28, 0x32a5705f, v1
	v_ldexp_f32 v2, v2, v25
	v_fma_f32 v38, 0x3fb8aa3b, v11, -v23
	v_ldexp_f32 v3, v3, v27
	s_delay_alu instid0(VALU_DEP_4) | instskip(NEXT) | instid1(VALU_DEP_4)
	v_dual_sub_f32 v23, v23, v39 :: v_dual_add_f32 v18, v18, v28
	v_cndmask_b32_e32 v2, 0, v2, vcc_lo
	v_cmp_ngt_f32_e32 vcc_lo, 0xc2ce8ed0, v8
	v_fmac_f32_e32 v34, 0x32a5705f, v10
	v_rndne_f32_e32 v37, v22
	v_exp_f32_e32 v18, v18
	v_cvt_i32_f32_e32 v29, v29
	v_dual_cndmask_b32 v3, 0, v3 :: v_dual_fmac_f32 v30, 0x32a5705f, v9
	v_dual_add_f32 v21, v21, v34 :: v_dual_fmac_f32 v32, 0x32a5705f, v16
	v_fma_f32 v36, 0x3fb8aa3b, v17, -v22
	v_cvt_i32_f32_e32 v31, v31
	s_delay_alu instid0(VALU_DEP_4) | instskip(NEXT) | instid1(VALU_DEP_4)
	v_dual_add_f32 v19, v19, v30 :: v_dual_sub_f32 v22, v22, v37
	v_add_f32_e32 v20, v20, v32
	v_ldexp_f32 v18, v18, v29
	v_cmp_ngt_f32_e32 vcc_lo, 0xc2ce8ed0, v1
	s_delay_alu instid0(VALU_DEP_4)
	v_exp_f32_e32 v19, v19
	v_cvt_i32_f32_e32 v33, v33
	v_exp_f32_e32 v20, v20
	v_exp_f32_e32 v21, v21
	v_cvt_i32_f32_e32 v35, v35
	v_cvt_i32_f32_e32 v39, v39
	;; [unrolled: 1-line block ×3, first 2 shown]
	v_ldexp_f32 v19, v19, v31
	v_cndmask_b32_e32 v18, 0, v18, vcc_lo
	v_cmp_ngt_f32_e32 vcc_lo, 0xc2ce8ed0, v9
	v_ldexp_f32 v20, v20, v33
	v_ldexp_f32 v21, v21, v35
	v_cndmask_b32_e32 v19, 0, v19, vcc_lo
	v_cmp_ngt_f32_e32 vcc_lo, 0xc2ce8ed0, v16
	s_delay_alu instid0(VALU_DEP_4) | instskip(SKIP_2) | instid1(VALU_DEP_1)
	v_cndmask_b32_e32 v20, 0, v20, vcc_lo
	v_cmp_ngt_f32_e32 vcc_lo, 0xc2ce8ed0, v10
	v_dual_fmac_f32 v38, 0x32a5705f, v11 :: v_dual_cndmask_b32 v21, 0, v21
	v_dual_fmac_f32 v36, 0x32a5705f, v17 :: v_dual_add_f32 v23, v23, v38
	v_cmp_ngt_f32_e32 vcc_lo, 0xc2ce8ed0, v17
	s_delay_alu instid0(VALU_DEP_2) | instskip(SKIP_1) | instid1(TRANS32_DEP_1)
	v_exp_f32_e32 v23, v23
	v_nop
	v_ldexp_f32 v23, v23, v39
	v_add_f32_e32 v22, v22, v36
	s_delay_alu instid0(VALU_DEP_1) | instskip(SKIP_1) | instid1(TRANS32_DEP_1)
	v_exp_f32_e32 v22, v22
	v_nop
	v_ldexp_f32 v22, v22, v37
	s_delay_alu instid0(VALU_DEP_1)
	v_cndmask_b32_e32 v22, 0, v22, vcc_lo
	v_cmp_ngt_f32_e32 vcc_lo, 0xc2ce8ed0, v11
	v_cndmask_b32_e32 v23, 0, v23, vcc_lo
	v_cmp_nlt_f32_e32 vcc_lo, 0x42b17218, v0
	v_cndmask_b32_e32 v0, 0x7f800000, v2, vcc_lo
	v_cmp_nlt_f32_e32 vcc_lo, 0x42b17218, v8
	;; [unrolled: 2-line block ×5, first 2 shown]
	v_cvt_f16_f32_e32 v16, v0
	s_delay_alu instid0(VALU_DEP_3) | instskip(SKIP_2) | instid1(VALU_DEP_4)
	v_pk_fma_f32 v[6:7], v[6:7], v[0:1], v[2:3]
	v_cndmask_b32_e32 v8, 0x7f800000, v20, vcc_lo
	v_cmp_nlt_f32_e32 vcc_lo, 0x42b17218, v10
	v_and_b32_e32 v16, 0xffff, v16
	s_delay_alu instid0(VALU_DEP_3)
	v_cvt_f16_f32_e32 v18, v8
	v_cndmask_b32_e32 v10, 0x7f800000, v21, vcc_lo
	v_cmp_nlt_f32_e32 vcc_lo, 0x42b17218, v17
	v_cvt_f16_f32_e32 v17, v1
	v_mul_u32_u24_e32 v3, 0x10001, v16
	v_and_b32_e32 v1, 0xffff, v18
	v_cndmask_b32_e32 v9, 0x7f800000, v22, vcc_lo
	s_delay_alu instid0(VALU_DEP_4) | instskip(SKIP_1) | instid1(VALU_DEP_4)
	v_and_b32_e32 v0, 0xffff, v17
	v_cmp_nlt_f32_e32 vcc_lo, 0x42b17218, v11
	v_mul_u32_u24_e32 v1, 0x10001, v1
	v_pk_mul_f16 v112, v112, v3
	v_cvt_f16_f32_e32 v19, v9
	v_mul_u32_u24_e32 v0, 0x10001, v0
	v_cndmask_b32_e32 v11, 0x7f800000, v23, vcc_lo
	v_pk_mul_f16 v113, v113, v3
	v_pk_mul_f16 v100, v100, v1
	v_and_b32_e32 v2, 0xffff, v19
	v_pk_mul_f16 v108, v108, v0
	v_pk_mul_f16 v111, v111, v0
	;; [unrolled: 1-line block ×3, first 2 shown]
	v_pk_fma_f32 v[4:5], v[4:5], v[8:9], v[10:11]
	v_mul_u32_u24_e32 v2, 0x10001, v2
	s_delay_alu instid0(VALU_DEP_1)
	v_pk_mul_f16 v98, v98, v2
	v_pk_mul_f16 v99, v99, v2
	v_mov_b64_e32 v[0:1], v[12:13]
	v_mov_b64_e32 v[2:3], v[14:15]
.LBB5_32:
	s_mov_b32 s3, exec_lo
	v_cmpx_gt_i32_e64 s26, v95
	s_cbranch_execz .LBB5_51
; %bb.33:
	s_load_b32 s0, s[0:1], 0xd4
	v_mov_b32_e32 v8, 1.0
	s_wait_kmcnt 0x0
	s_cmp_lg_u32 s0, 1
	s_cselect_b32 s1, -1, 0
	s_cmp_eq_u32 s0, 1
	s_cselect_b32 s3, -1, 0
	s_and_b32 vcc_lo, exec_lo, s1
	s_cbranch_vccnz .LBB5_35
; %bb.34:
	v_div_scale_f32 v8, null, v6, v6, 1.0
	s_delay_alu instid0(VALU_DEP_1) | instskip(SKIP_1) | instid1(TRANS32_DEP_1)
	v_rcp_f32_e32 v9, v8
	v_nop
	v_fma_f32 v10, -v8, v9, 1.0
	s_delay_alu instid0(VALU_DEP_1) | instskip(SKIP_1) | instid1(VALU_DEP_1)
	v_fmac_f32_e32 v9, v10, v9
	v_div_scale_f32 v10, vcc_lo, 1.0, v6, 1.0
	v_mul_f32_e32 v11, v10, v9
	s_delay_alu instid0(VALU_DEP_1) | instskip(NEXT) | instid1(VALU_DEP_1)
	v_fma_f32 v12, -v8, v11, v10
	v_fmac_f32_e32 v11, v12, v9
	s_delay_alu instid0(VALU_DEP_1) | instskip(NEXT) | instid1(VALU_DEP_1)
	v_fma_f32 v8, -v8, v11, v10
	v_div_fmas_f32 v8, v8, v9, v11
	s_delay_alu instid0(VALU_DEP_1)
	v_div_fixup_f32 v8, v8, v6, 1.0
.LBB5_35:
	v_mad_u32 v9, s28, s26, v95
	v_add_nc_u32_e32 v10, s31, v68
	s_delay_alu instid0(VALU_DEP_1) | instskip(NEXT) | instid1(VALU_DEP_1)
	v_mad_u32 v9, v9, s27, v10
	v_mul_lo_u32 v9, s0, v9
	s_delay_alu instid0(VALU_DEP_1)
	v_add_nc_u32_e32 v10, s33, v9
	s_and_saveexec_b32 s4, s2
	s_cbranch_execz .LBB5_37
; %bb.36:
	s_delay_alu instid0(VALU_DEP_1) | instskip(SKIP_4) | instid1(VALU_DEP_4)
	v_mad_u32 v14, 0x60, v10, v83
	v_dual_lshrrev_b32 v11, 16, v112 :: v_dual_lshrrev_b32 v17, 16, v113
	v_mov_b32_e32 v15, 0
	v_cvt_f32_f16_e32 v12, v112
	v_cvt_f32_f16_e32 v16, v113
	;; [unrolled: 1-line block ×4, first 2 shown]
	s_delay_alu instid0(VALU_DEP_2) | instskip(SKIP_1) | instid1(VALU_DEP_3)
	v_pk_mul_f32 v[12:13], v[8:9], v[12:13] op_sel_hi:[0,1]
	v_lshl_add_u64 v[18:19], v[14:15], 2, s[20:21]
	v_pk_mul_f32 v[14:15], v[8:9], v[16:17] op_sel_hi:[0,1]
	global_store_b128 v[18:19], v[12:15], off
.LBB5_37:
	s_wait_xcnt 0x0
	s_or_b32 exec_lo, exec_lo, s4
	v_cmp_eq_u32_e32 vcc_lo, 0, v94
	s_and_b32 s1, vcc_lo, s1
	s_delay_alu instid0(SALU_CYCLE_1)
	s_and_saveexec_b32 s4, s1
	s_cbranch_execz .LBB5_39
; %bb.38:
	v_dual_mov_b32 v12, v0 :: v_dual_mov_b32 v13, v6
	global_store_b64 v10, v[12:13], s[22:23] scale_offset
.LBB5_39:
	s_wait_xcnt 0x0
	s_or_b32 exec_lo, exec_lo, s4
	v_cndmask_b32_e64 v8, 0, 1, s3
	v_mov_b32_e32 v0, 1.0
	s_and_not1_b32 vcc_lo, exec_lo, s3
	s_cbranch_vccz .LBB5_52
; %bb.40:
	v_add_nc_u32_e32 v9, s0, v9
	s_delay_alu instid0(VALU_DEP_1)
	v_add_nc_u32_e32 v10, s33, v9
	s_and_saveexec_b32 s3, s2
	s_cbranch_execnz .LBB5_53
.LBB5_41:
	s_or_b32 exec_lo, exec_lo, s3
	s_and_saveexec_b32 s3, s1
	s_cbranch_execz .LBB5_43
.LBB5_42:
	v_mov_b32_e32 v6, v1
	global_store_b64 v10, v[6:7], s[22:23] scale_offset
.LBB5_43:
	s_wait_xcnt 0x0
	s_or_b32 exec_lo, exec_lo, s3
	v_cmp_ne_u32_e32 vcc_lo, 1, v8
	v_mov_b32_e32 v0, 1.0
	s_cbranch_vccz .LBB5_54
; %bb.44:
	v_add_nc_u32_e32 v1, s0, v9
	s_delay_alu instid0(VALU_DEP_1)
	v_add_nc_u32_e32 v6, s33, v1
	s_and_saveexec_b32 s3, s2
	s_cbranch_execnz .LBB5_55
.LBB5_45:
	s_or_b32 exec_lo, exec_lo, s3
	s_and_saveexec_b32 s3, s1
	s_cbranch_execz .LBB5_47
.LBB5_46:
	v_dual_mov_b32 v10, v2 :: v_dual_mov_b32 v11, v4
	global_store_b64 v6, v[10:11], s[22:23] scale_offset
.LBB5_47:
	s_wait_xcnt 0x0
	s_or_b32 exec_lo, exec_lo, s3
	v_cmp_ne_u32_e32 vcc_lo, 1, v8
	v_mov_b32_e32 v0, 1.0
	s_cbranch_vccz .LBB5_56
; %bb.48:
	v_add3_u32 v1, s33, s0, v1
	s_and_saveexec_b32 s0, s2
	s_cbranch_execnz .LBB5_57
.LBB5_49:
	s_or_b32 exec_lo, exec_lo, s0
	s_delay_alu instid0(SALU_CYCLE_1)
	s_and_b32 exec_lo, exec_lo, s1
	s_cbranch_execz .LBB5_51
.LBB5_50:
	v_mov_b32_e32 v4, v3
	global_store_b64 v1, v[4:5], s[22:23] scale_offset
.LBB5_51:
	s_sendmsg sendmsg(MSG_DEALLOC_VGPRS)
	s_endpgm
.LBB5_52:
	v_div_scale_f32 v0, null, v7, v7, 1.0
	s_delay_alu instid0(VALU_DEP_1) | instskip(SKIP_1) | instid1(TRANS32_DEP_1)
	v_rcp_f32_e32 v6, v0
	v_nop
	v_fma_f32 v10, -v0, v6, 1.0
	s_delay_alu instid0(VALU_DEP_1) | instskip(SKIP_1) | instid1(VALU_DEP_1)
	v_fmac_f32_e32 v6, v10, v6
	v_div_scale_f32 v10, vcc_lo, 1.0, v7, 1.0
	v_mul_f32_e32 v11, v10, v6
	s_delay_alu instid0(VALU_DEP_1) | instskip(NEXT) | instid1(VALU_DEP_1)
	v_fma_f32 v12, -v0, v11, v10
	v_fmac_f32_e32 v11, v12, v6
	s_delay_alu instid0(VALU_DEP_1) | instskip(NEXT) | instid1(VALU_DEP_1)
	v_fma_f32 v0, -v0, v11, v10
	v_div_fmas_f32 v0, v0, v6, v11
	s_delay_alu instid0(VALU_DEP_1) | instskip(SKIP_1) | instid1(VALU_DEP_1)
	v_div_fixup_f32 v0, v0, v7, 1.0
	v_add_nc_u32_e32 v9, s0, v9
	v_add_nc_u32_e32 v10, s33, v9
	s_and_saveexec_b32 s3, s2
	s_cbranch_execz .LBB5_41
.LBB5_53:
	s_delay_alu instid0(VALU_DEP_1) | instskip(SKIP_4) | instid1(VALU_DEP_4)
	v_mad_u32 v14, 0x60, v10, v83
	v_dual_lshrrev_b32 v6, 16, v108 :: v_dual_lshrrev_b32 v11, 16, v111
	v_mov_b32_e32 v15, 0
	v_cvt_f32_f16_e32 v12, v108
	v_cvt_f32_f16_e32 v16, v111
	v_cvt_f32_f16_e32 v13, v6
	v_cvt_f32_f16_e32 v17, v11
	s_delay_alu instid0(VALU_DEP_2) | instskip(SKIP_1) | instid1(VALU_DEP_3)
	v_pk_mul_f32 v[12:13], v[0:1], v[12:13] op_sel_hi:[0,1]
	v_lshl_add_u64 v[18:19], v[14:15], 2, s[20:21]
	v_pk_mul_f32 v[14:15], v[0:1], v[16:17] op_sel_hi:[0,1]
	global_store_b128 v[18:19], v[12:15], off
	s_wait_xcnt 0x0
	s_or_b32 exec_lo, exec_lo, s3
	s_and_saveexec_b32 s3, s1
	s_cbranch_execnz .LBB5_42
	s_branch .LBB5_43
.LBB5_54:
	v_div_scale_f32 v0, null, v4, v4, 1.0
	s_delay_alu instid0(VALU_DEP_1) | instskip(SKIP_1) | instid1(TRANS32_DEP_1)
	v_rcp_f32_e32 v1, v0
	v_nop
	v_fma_f32 v6, -v0, v1, 1.0
	s_delay_alu instid0(VALU_DEP_1) | instskip(SKIP_1) | instid1(VALU_DEP_1)
	v_fmac_f32_e32 v1, v6, v1
	v_div_scale_f32 v6, vcc_lo, 1.0, v4, 1.0
	v_mul_f32_e32 v7, v6, v1
	s_delay_alu instid0(VALU_DEP_1) | instskip(NEXT) | instid1(VALU_DEP_1)
	v_fma_f32 v10, -v0, v7, v6
	v_fmac_f32_e32 v7, v10, v1
	s_delay_alu instid0(VALU_DEP_1) | instskip(NEXT) | instid1(VALU_DEP_1)
	v_fma_f32 v0, -v0, v7, v6
	v_div_fmas_f32 v0, v0, v1, v7
	s_delay_alu instid0(VALU_DEP_1) | instskip(SKIP_1) | instid1(VALU_DEP_1)
	v_div_fixup_f32 v0, v0, v4, 1.0
	v_add_nc_u32_e32 v1, s0, v9
	v_add_nc_u32_e32 v6, s33, v1
	s_and_saveexec_b32 s3, s2
	s_cbranch_execz .LBB5_45
.LBB5_55:
	s_delay_alu instid0(VALU_DEP_1) | instskip(SKIP_4) | instid1(VALU_DEP_4)
	v_mad_u32 v12, 0x60, v6, v83
	v_dual_lshrrev_b32 v7, 16, v100 :: v_dual_lshrrev_b32 v9, 16, v101
	v_mov_b32_e32 v13, 0
	v_cvt_f32_f16_e32 v10, v100
	v_cvt_f32_f16_e32 v14, v101
	;; [unrolled: 1-line block ×4, first 2 shown]
	s_delay_alu instid0(VALU_DEP_2) | instskip(SKIP_1) | instid1(VALU_DEP_3)
	v_pk_mul_f32 v[10:11], v[0:1], v[10:11] op_sel_hi:[0,1]
	v_lshl_add_u64 v[16:17], v[12:13], 2, s[20:21]
	v_pk_mul_f32 v[12:13], v[0:1], v[14:15] op_sel_hi:[0,1]
	global_store_b128 v[16:17], v[10:13], off
	s_wait_xcnt 0x0
	s_or_b32 exec_lo, exec_lo, s3
	s_and_saveexec_b32 s3, s1
	s_cbranch_execnz .LBB5_46
	s_branch .LBB5_47
.LBB5_56:
	v_div_scale_f32 v0, null, v5, v5, 1.0
	s_delay_alu instid0(VALU_DEP_1) | instskip(SKIP_1) | instid1(TRANS32_DEP_1)
	v_rcp_f32_e32 v2, v0
	v_nop
	v_fma_f32 v4, -v0, v2, 1.0
	s_delay_alu instid0(VALU_DEP_1) | instskip(SKIP_1) | instid1(VALU_DEP_1)
	v_fmac_f32_e32 v2, v4, v2
	v_div_scale_f32 v4, vcc_lo, 1.0, v5, 1.0
	v_mul_f32_e32 v6, v4, v2
	s_delay_alu instid0(VALU_DEP_1) | instskip(NEXT) | instid1(VALU_DEP_1)
	v_fma_f32 v7, -v0, v6, v4
	v_fmac_f32_e32 v6, v7, v2
	s_delay_alu instid0(VALU_DEP_1) | instskip(NEXT) | instid1(VALU_DEP_1)
	v_fma_f32 v0, -v0, v6, v4
	v_div_fmas_f32 v0, v0, v2, v6
	s_delay_alu instid0(VALU_DEP_1)
	v_div_fixup_f32 v0, v0, v5, 1.0
	v_add3_u32 v1, s33, s0, v1
	s_and_saveexec_b32 s0, s2
	s_cbranch_execz .LBB5_49
.LBB5_57:
	s_delay_alu instid0(VALU_DEP_1) | instskip(SKIP_4) | instid1(VALU_DEP_4)
	v_mad_u32 v8, 0x60, v1, v83
	v_dual_lshrrev_b32 v2, 16, v98 :: v_dual_lshrrev_b32 v4, 16, v99
	v_mov_b32_e32 v9, 0
	v_cvt_f32_f16_e32 v6, v98
	v_cvt_f32_f16_e32 v10, v99
	;; [unrolled: 1-line block ×4, first 2 shown]
	s_delay_alu instid0(VALU_DEP_2) | instskip(SKIP_1) | instid1(VALU_DEP_3)
	v_pk_mul_f32 v[6:7], v[0:1], v[6:7] op_sel_hi:[0,1]
	v_lshl_add_u64 v[12:13], v[8:9], 2, s[20:21]
	v_pk_mul_f32 v[8:9], v[0:1], v[10:11] op_sel_hi:[0,1]
	global_store_b128 v[12:13], v[6:9], off
	s_wait_xcnt 0x0
	s_or_b32 exec_lo, exec_lo, s0
	s_delay_alu instid0(SALU_CYCLE_1)
	s_and_b32 exec_lo, exec_lo, s1
	s_cbranch_execnz .LBB5_50
	s_branch .LBB5_51
	.section	.rodata,"a",@progbits
	.p2align	6, 0x0
	.amdhsa_kernel _ZL15flash_attn_tileILi96ELi96ELi4ELi8ELb0EEvPKcS1_S1_S1_S1_PKiPfP15HIP_vector_typeIfLj2EEffffjfiS5_IjLj3EEiiiiiiiiiiiliiliiiiil
		.amdhsa_group_segment_fixed_size 11904
		.amdhsa_private_segment_fixed_size 0
		.amdhsa_kernarg_size 464
		.amdhsa_user_sgpr_count 2
		.amdhsa_user_sgpr_dispatch_ptr 0
		.amdhsa_user_sgpr_queue_ptr 0
		.amdhsa_user_sgpr_kernarg_segment_ptr 1
		.amdhsa_user_sgpr_dispatch_id 0
		.amdhsa_user_sgpr_kernarg_preload_length 0
		.amdhsa_user_sgpr_kernarg_preload_offset 0
		.amdhsa_user_sgpr_private_segment_size 0
		.amdhsa_wavefront_size32 1
		.amdhsa_uses_dynamic_stack 0
		.amdhsa_enable_private_segment 0
		.amdhsa_system_sgpr_workgroup_id_x 1
		.amdhsa_system_sgpr_workgroup_id_y 1
		.amdhsa_system_sgpr_workgroup_id_z 1
		.amdhsa_system_sgpr_workgroup_info 0
		.amdhsa_system_vgpr_workitem_id 1
		.amdhsa_next_free_vgpr 162
		.amdhsa_next_free_sgpr 44
		.amdhsa_named_barrier_count 0
		.amdhsa_reserve_vcc 1
		.amdhsa_float_round_mode_32 0
		.amdhsa_float_round_mode_16_64 0
		.amdhsa_float_denorm_mode_32 3
		.amdhsa_float_denorm_mode_16_64 3
		.amdhsa_fp16_overflow 0
		.amdhsa_memory_ordered 1
		.amdhsa_forward_progress 1
		.amdhsa_inst_pref_size 95
		.amdhsa_round_robin_scheduling 0
		.amdhsa_exception_fp_ieee_invalid_op 0
		.amdhsa_exception_fp_denorm_src 0
		.amdhsa_exception_fp_ieee_div_zero 0
		.amdhsa_exception_fp_ieee_overflow 0
		.amdhsa_exception_fp_ieee_underflow 0
		.amdhsa_exception_fp_ieee_inexact 0
		.amdhsa_exception_int_div_zero 0
	.end_amdhsa_kernel
	.section	.text._ZL15flash_attn_tileILi96ELi96ELi4ELi8ELb0EEvPKcS1_S1_S1_S1_PKiPfP15HIP_vector_typeIfLj2EEffffjfiS5_IjLj3EEiiiiiiiiiiiliiliiiiil,"axG",@progbits,_ZL15flash_attn_tileILi96ELi96ELi4ELi8ELb0EEvPKcS1_S1_S1_S1_PKiPfP15HIP_vector_typeIfLj2EEffffjfiS5_IjLj3EEiiiiiiiiiiiliiliiiiil,comdat
.Lfunc_end5:
	.size	_ZL15flash_attn_tileILi96ELi96ELi4ELi8ELb0EEvPKcS1_S1_S1_S1_PKiPfP15HIP_vector_typeIfLj2EEffffjfiS5_IjLj3EEiiiiiiiiiiiliiliiiiil, .Lfunc_end5-_ZL15flash_attn_tileILi96ELi96ELi4ELi8ELb0EEvPKcS1_S1_S1_S1_PKiPfP15HIP_vector_typeIfLj2EEffffjfiS5_IjLj3EEiiiiiiiiiiiliiliiiiil
                                        ; -- End function
	.set _ZL15flash_attn_tileILi96ELi96ELi4ELi8ELb0EEvPKcS1_S1_S1_S1_PKiPfP15HIP_vector_typeIfLj2EEffffjfiS5_IjLj3EEiiiiiiiiiiiliiliiiiil.num_vgpr, 162
	.set _ZL15flash_attn_tileILi96ELi96ELi4ELi8ELb0EEvPKcS1_S1_S1_S1_PKiPfP15HIP_vector_typeIfLj2EEffffjfiS5_IjLj3EEiiiiiiiiiiiliiliiiiil.num_agpr, 0
	.set _ZL15flash_attn_tileILi96ELi96ELi4ELi8ELb0EEvPKcS1_S1_S1_S1_PKiPfP15HIP_vector_typeIfLj2EEffffjfiS5_IjLj3EEiiiiiiiiiiiliiliiiiil.numbered_sgpr, 44
	.set _ZL15flash_attn_tileILi96ELi96ELi4ELi8ELb0EEvPKcS1_S1_S1_S1_PKiPfP15HIP_vector_typeIfLj2EEffffjfiS5_IjLj3EEiiiiiiiiiiiliiliiiiil.num_named_barrier, 0
	.set _ZL15flash_attn_tileILi96ELi96ELi4ELi8ELb0EEvPKcS1_S1_S1_S1_PKiPfP15HIP_vector_typeIfLj2EEffffjfiS5_IjLj3EEiiiiiiiiiiiliiliiiiil.private_seg_size, 0
	.set _ZL15flash_attn_tileILi96ELi96ELi4ELi8ELb0EEvPKcS1_S1_S1_S1_PKiPfP15HIP_vector_typeIfLj2EEffffjfiS5_IjLj3EEiiiiiiiiiiiliiliiiiil.uses_vcc, 1
	.set _ZL15flash_attn_tileILi96ELi96ELi4ELi8ELb0EEvPKcS1_S1_S1_S1_PKiPfP15HIP_vector_typeIfLj2EEffffjfiS5_IjLj3EEiiiiiiiiiiiliiliiiiil.uses_flat_scratch, 0
	.set _ZL15flash_attn_tileILi96ELi96ELi4ELi8ELb0EEvPKcS1_S1_S1_S1_PKiPfP15HIP_vector_typeIfLj2EEffffjfiS5_IjLj3EEiiiiiiiiiiiliiliiiiil.has_dyn_sized_stack, 0
	.set _ZL15flash_attn_tileILi96ELi96ELi4ELi8ELb0EEvPKcS1_S1_S1_S1_PKiPfP15HIP_vector_typeIfLj2EEffffjfiS5_IjLj3EEiiiiiiiiiiiliiliiiiil.has_recursion, 0
	.set _ZL15flash_attn_tileILi96ELi96ELi4ELi8ELb0EEvPKcS1_S1_S1_S1_PKiPfP15HIP_vector_typeIfLj2EEffffjfiS5_IjLj3EEiiiiiiiiiiiliiliiiiil.has_indirect_call, 0
	.section	.AMDGPU.csdata,"",@progbits
; Kernel info:
; codeLenInByte = 12076
; TotalNumSgprs: 46
; NumVgprs: 162
; ScratchSize: 0
; MemoryBound: 0
; FloatMode: 240
; IeeeMode: 1
; LDSByteSize: 11904 bytes/workgroup (compile time only)
; SGPRBlocks: 0
; VGPRBlocks: 10
; NumSGPRsForWavesPerEU: 46
; NumVGPRsForWavesPerEU: 162
; NamedBarCnt: 0
; Occupancy: 5
; WaveLimiterHint : 1
; COMPUTE_PGM_RSRC2:SCRATCH_EN: 0
; COMPUTE_PGM_RSRC2:USER_SGPR: 2
; COMPUTE_PGM_RSRC2:TRAP_HANDLER: 0
; COMPUTE_PGM_RSRC2:TGID_X_EN: 1
; COMPUTE_PGM_RSRC2:TGID_Y_EN: 1
; COMPUTE_PGM_RSRC2:TGID_Z_EN: 1
; COMPUTE_PGM_RSRC2:TIDIG_COMP_CNT: 1
	.section	.text._ZL25flash_attn_mask_to_KV_maxILi4EEvPK7__half2Piiii,"axG",@progbits,_ZL25flash_attn_mask_to_KV_maxILi4EEvPK7__half2Piiii,comdat
	.globl	_ZL25flash_attn_mask_to_KV_maxILi4EEvPK7__half2Piiii ; -- Begin function _ZL25flash_attn_mask_to_KV_maxILi4EEvPK7__half2Piiii
	.p2align	8
	.type	_ZL25flash_attn_mask_to_KV_maxILi4EEvPK7__half2Piiii,@function
_ZL25flash_attn_mask_to_KV_maxILi4EEvPK7__half2Piiii: ; @_ZL25flash_attn_mask_to_KV_maxILi4EEvPK7__half2Piiii
; %bb.0:
	s_load_b128 s[4:7], s[0:1], 0x0
	s_mov_b32 s2, exec_lo
	v_cmpx_gt_u32_e32 32, v0
; %bb.1:
	v_dual_mov_b32 v2, 1 :: v_dual_lshlrev_b32 v1, 2, v0
	ds_store_b32 v1, v2
; %bb.2:
	s_or_b32 exec_lo, exec_lo, s2
	s_clause 0x1
	s_load_b96 s[8:10], s[0:1], 0x10
	s_load_b32 s11, s[0:1], 0x20
	s_wait_xcnt 0x0
	s_bfe_u32 s1, ttmp6, 0x4000c
	s_bfe_u32 s2, ttmp6, 0x40010
	s_add_co_i32 s1, s1, 1
	s_add_co_i32 s2, s2, 1
	s_and_b32 s0, ttmp6, 15
	s_bfe_u32 s3, ttmp6, 0x40004
	s_mul_i32 s1, ttmp9, s1
	s_mul_i32 s2, ttmp7, s2
	s_getreg_b32 s12, hwreg(HW_REG_IB_STS2, 6, 4)
	s_add_co_i32 s0, s0, s1
	s_add_co_i32 s3, s3, s2
	s_cmp_eq_u32 s12, 0
	v_dual_lshrrev_b32 v1, 3, v0 :: v_dual_bitop2_b32 v2, 31, v0 bitop3:0x40
	s_cselect_b32 s1, ttmp9, s0
	s_cselect_b32 s12, ttmp7, s3
	s_wait_dscnt 0x0
	s_barrier_signal -1
	s_wait_kmcnt 0x0
	s_mul_i32 s0, s1, s9
	s_mul_i32 s2, s10, s12
	s_lshl_b32 s0, s0, 2
	s_barrier_wait -1
	s_add_co_i32 s2, s2, s0
	v_cmp_eq_u32_e64 s0, 0, v2
	s_ashr_i32 s3, s2, 31
	v_lshlrev_b32_e32 v2, 2, v2
	s_lshl_b64 s[2:3], s[2:3], 2
	s_delay_alu instid0(SALU_CYCLE_1)
	s_add_nc_u64 s[2:3], s[4:5], s[2:3]
	s_lshl_b32 s5, s8, 8
	s_branch .LBB6_4
.LBB6_3:                                ;   in Loop: Header=BB6_4 Depth=1
	s_or_b32 exec_lo, exec_lo, s8
	s_wait_dscnt 0x0
	s_barrier_signal -1
	s_barrier_wait -1
	ds_load_b32 v3, v2
	s_wait_dscnt 0x0
	s_barrier_signal -1
	s_barrier_wait -1
	v_cmp_ne_u32_e32 vcc_lo, 0, v3
	s_cmp_lg_u32 vcc_lo, exec_lo
	s_cselect_b32 s8, -1, 0
	s_delay_alu instid0(SALU_CYCLE_1)
	s_and_b32 vcc_lo, exec_lo, s8
	s_cbranch_vccnz .LBB6_20
.LBB6_4:                                ; =>This Inner Loop Header: Depth=1
	s_mov_b32 s4, s5
	s_addk_co_i32 s5, 0xff00
	s_delay_alu instid0(SALU_CYCLE_1)
	s_cmp_lt_i32 s5, 0
	s_cbranch_scc1 .LBB6_19
; %bb.5:                                ;   in Loop: Header=BB6_4 Depth=1
	s_lshr_b32 s8, s5, 1
	s_delay_alu instid0(SALU_CYCLE_1) | instskip(SKIP_4) | instid1(VALU_DEP_2)
	v_add_nc_u32_e32 v3, s8, v0
	global_load_b32 v4, v3, s[2:3] scale_offset
	s_wait_loadcnt 0x0
	v_lshrrev_b32_e32 v5, 16, v4
	v_cmp_class_f16_e64 s8, v4, 0x204
	v_cmp_class_f16_e64 s10, v5, 0x204
	s_and_b32 s13, s8, s10
	s_mov_b32 s10, 0
	s_and_saveexec_b32 s8, s13
	s_cbranch_execz .LBB6_17
; %bb.6:                                ;   in Loop: Header=BB6_4 Depth=1
	v_add_nc_u32_e32 v3, s9, v3
	s_mov_b32 s13, 0
	global_load_b32 v4, v3, s[2:3] scale_offset
	s_wait_loadcnt 0x0
	v_cmp_class_f16_e64 s14, v4, 0x204
	s_and_saveexec_b32 s10, s14
	s_cbranch_execz .LBB6_16
; %bb.7:                                ;   in Loop: Header=BB6_4 Depth=1
	v_lshrrev_b32_e32 v4, 16, v4
	s_mov_b32 s14, 0
	s_delay_alu instid0(VALU_DEP_1)
	v_cmp_class_f16_e64 s15, v4, 0x204
	s_and_saveexec_b32 s13, s15
	s_cbranch_execz .LBB6_15
; %bb.8:                                ;   in Loop: Header=BB6_4 Depth=1
	v_add_nc_u32_e32 v3, s9, v3
	s_mov_b32 s15, 0
	global_load_b32 v4, v3, s[2:3] scale_offset
	s_wait_loadcnt 0x0
	v_cmp_class_f16_e64 s16, v4, 0x204
	s_and_saveexec_b32 s14, s16
	s_cbranch_execz .LBB6_14
; %bb.9:                                ;   in Loop: Header=BB6_4 Depth=1
	v_lshrrev_b32_e32 v4, 16, v4
	s_mov_b32 s16, 0
	s_delay_alu instid0(VALU_DEP_1)
	v_cmp_class_f16_e64 s17, v4, 0x204
	s_and_saveexec_b32 s15, s17
	s_cbranch_execz .LBB6_13
; %bb.10:                               ;   in Loop: Header=BB6_4 Depth=1
	v_add_nc_u32_e32 v3, s9, v3
	global_load_b32 v3, v3, s[2:3] scale_offset
	s_wait_loadcnt 0x0
	v_cmp_class_f16_e64 s18, v3, 0x204
	s_and_saveexec_b32 s17, s18
; %bb.11:                               ;   in Loop: Header=BB6_4 Depth=1
	v_lshrrev_b32_e32 v3, 16, v3
	s_delay_alu instid0(VALU_DEP_1)
	v_cmp_class_f16_e64 s16, v3, 0x204
	s_and_b32 s16, s16, exec_lo
; %bb.12:                               ;   in Loop: Header=BB6_4 Depth=1
	s_or_b32 exec_lo, exec_lo, s17
	s_delay_alu instid0(SALU_CYCLE_1)
	s_and_b32 s16, s16, exec_lo
.LBB6_13:                               ;   in Loop: Header=BB6_4 Depth=1
	s_or_b32 exec_lo, exec_lo, s15
	s_delay_alu instid0(SALU_CYCLE_1)
	s_and_b32 s15, s16, exec_lo
.LBB6_14:                               ;   in Loop: Header=BB6_4 Depth=1
	s_or_b32 exec_lo, exec_lo, s14
	s_delay_alu instid0(SALU_CYCLE_1)
	s_and_b32 s14, s15, exec_lo
.LBB6_15:                               ;   in Loop: Header=BB6_4 Depth=1
	s_or_b32 exec_lo, exec_lo, s13
	s_delay_alu instid0(SALU_CYCLE_1)
	s_and_b32 s13, s14, exec_lo
.LBB6_16:                               ;   in Loop: Header=BB6_4 Depth=1
	s_or_b32 exec_lo, exec_lo, s10
	s_delay_alu instid0(SALU_CYCLE_1)
	s_and_b32 s10, s13, exec_lo
.LBB6_17:                               ;   in Loop: Header=BB6_4 Depth=1
	s_or_b32 exec_lo, exec_lo, s8
	v_cndmask_b32_e64 v3, 0, 1, s10
	s_mov_b32 s13, exec_lo
	s_delay_alu instid0(VALU_DEP_1)
	v_cmp_ne_u32_e32 vcc_lo, 0, v3
	s_and_saveexec_b32 s8, s0
	s_cbranch_execz .LBB6_3
; %bb.18:                               ;   in Loop: Header=BB6_4 Depth=1
	s_cmp_eq_u32 vcc_lo, s13
	s_cselect_b32 s10, -1, 0
	s_delay_alu instid0(SALU_CYCLE_1)
	v_cndmask_b32_e64 v3, 0, 1, s10
	ds_store_b32 v1, v3
	s_branch .LBB6_3
.LBB6_19:                               ;   in Loop: Header=BB6_4 Depth=1
	s_cbranch_execz .LBB6_4
.LBB6_20:
	s_mov_b32 s0, exec_lo
	v_cmpx_eq_u32_e32 0, v0
	s_cbranch_execz .LBB6_22
; %bb.21:
	s_mul_i32 s0, s11, s12
	v_mov_b32_e32 v1, s4
	s_add_co_i32 s0, s0, s1
	s_delay_alu instid0(SALU_CYCLE_1)
	v_mov_b32_e32 v0, s0
	global_store_b32 v0, v1, s[6:7] scale_offset
.LBB6_22:
	s_endpgm
	.section	.rodata,"a",@progbits
	.p2align	6, 0x0
	.amdhsa_kernel _ZL25flash_attn_mask_to_KV_maxILi4EEvPK7__half2Piiii
		.amdhsa_group_segment_fixed_size 128
		.amdhsa_private_segment_fixed_size 0
		.amdhsa_kernarg_size 288
		.amdhsa_user_sgpr_count 2
		.amdhsa_user_sgpr_dispatch_ptr 0
		.amdhsa_user_sgpr_queue_ptr 0
		.amdhsa_user_sgpr_kernarg_segment_ptr 1
		.amdhsa_user_sgpr_dispatch_id 0
		.amdhsa_user_sgpr_kernarg_preload_length 0
		.amdhsa_user_sgpr_kernarg_preload_offset 0
		.amdhsa_user_sgpr_private_segment_size 0
		.amdhsa_wavefront_size32 1
		.amdhsa_uses_dynamic_stack 0
		.amdhsa_enable_private_segment 0
		.amdhsa_system_sgpr_workgroup_id_x 1
		.amdhsa_system_sgpr_workgroup_id_y 1
		.amdhsa_system_sgpr_workgroup_id_z 0
		.amdhsa_system_sgpr_workgroup_info 0
		.amdhsa_system_vgpr_workitem_id 0
		.amdhsa_next_free_vgpr 6
		.amdhsa_next_free_sgpr 19
		.amdhsa_named_barrier_count 0
		.amdhsa_reserve_vcc 1
		.amdhsa_float_round_mode_32 0
		.amdhsa_float_round_mode_16_64 0
		.amdhsa_float_denorm_mode_32 3
		.amdhsa_float_denorm_mode_16_64 3
		.amdhsa_fp16_overflow 0
		.amdhsa_memory_ordered 1
		.amdhsa_forward_progress 1
		.amdhsa_inst_pref_size 6
		.amdhsa_round_robin_scheduling 0
		.amdhsa_exception_fp_ieee_invalid_op 0
		.amdhsa_exception_fp_denorm_src 0
		.amdhsa_exception_fp_ieee_div_zero 0
		.amdhsa_exception_fp_ieee_overflow 0
		.amdhsa_exception_fp_ieee_underflow 0
		.amdhsa_exception_fp_ieee_inexact 0
		.amdhsa_exception_int_div_zero 0
	.end_amdhsa_kernel
	.section	.text._ZL25flash_attn_mask_to_KV_maxILi4EEvPK7__half2Piiii,"axG",@progbits,_ZL25flash_attn_mask_to_KV_maxILi4EEvPK7__half2Piiii,comdat
.Lfunc_end6:
	.size	_ZL25flash_attn_mask_to_KV_maxILi4EEvPK7__half2Piiii, .Lfunc_end6-_ZL25flash_attn_mask_to_KV_maxILi4EEvPK7__half2Piiii
                                        ; -- End function
	.set _ZL25flash_attn_mask_to_KV_maxILi4EEvPK7__half2Piiii.num_vgpr, 6
	.set _ZL25flash_attn_mask_to_KV_maxILi4EEvPK7__half2Piiii.num_agpr, 0
	.set _ZL25flash_attn_mask_to_KV_maxILi4EEvPK7__half2Piiii.numbered_sgpr, 19
	.set _ZL25flash_attn_mask_to_KV_maxILi4EEvPK7__half2Piiii.num_named_barrier, 0
	.set _ZL25flash_attn_mask_to_KV_maxILi4EEvPK7__half2Piiii.private_seg_size, 0
	.set _ZL25flash_attn_mask_to_KV_maxILi4EEvPK7__half2Piiii.uses_vcc, 1
	.set _ZL25flash_attn_mask_to_KV_maxILi4EEvPK7__half2Piiii.uses_flat_scratch, 0
	.set _ZL25flash_attn_mask_to_KV_maxILi4EEvPK7__half2Piiii.has_dyn_sized_stack, 0
	.set _ZL25flash_attn_mask_to_KV_maxILi4EEvPK7__half2Piiii.has_recursion, 0
	.set _ZL25flash_attn_mask_to_KV_maxILi4EEvPK7__half2Piiii.has_indirect_call, 0
	.section	.AMDGPU.csdata,"",@progbits
; Kernel info:
; codeLenInByte = 748
; TotalNumSgprs: 21
; NumVgprs: 6
; ScratchSize: 0
; MemoryBound: 0
; FloatMode: 240
; IeeeMode: 1
; LDSByteSize: 128 bytes/workgroup (compile time only)
; SGPRBlocks: 0
; VGPRBlocks: 0
; NumSGPRsForWavesPerEU: 21
; NumVGPRsForWavesPerEU: 6
; NamedBarCnt: 0
; Occupancy: 16
; WaveLimiterHint : 0
; COMPUTE_PGM_RSRC2:SCRATCH_EN: 0
; COMPUTE_PGM_RSRC2:USER_SGPR: 2
; COMPUTE_PGM_RSRC2:TRAP_HANDLER: 0
; COMPUTE_PGM_RSRC2:TGID_X_EN: 1
; COMPUTE_PGM_RSRC2:TGID_Y_EN: 1
; COMPUTE_PGM_RSRC2:TGID_Z_EN: 0
; COMPUTE_PGM_RSRC2:TIDIG_COMP_CNT: 0
	.section	.text._ZL33flash_attn_stream_k_fixup_uniformILi96ELi4ELi8EEvPfPK15HIP_vector_typeIfLj2EEiiiiiiS1_IjLj3EES5_S5_,"axG",@progbits,_ZL33flash_attn_stream_k_fixup_uniformILi96ELi4ELi8EEvPfPK15HIP_vector_typeIfLj2EEiiiiiiS1_IjLj3EES5_S5_,comdat
	.globl	_ZL33flash_attn_stream_k_fixup_uniformILi96ELi4ELi8EEvPfPK15HIP_vector_typeIfLj2EEiiiiiiS1_IjLj3EES5_S5_ ; -- Begin function _ZL33flash_attn_stream_k_fixup_uniformILi96ELi4ELi8EEvPfPK15HIP_vector_typeIfLj2EEiiiiiiS1_IjLj3EES5_S5_
	.p2align	8
	.type	_ZL33flash_attn_stream_k_fixup_uniformILi96ELi4ELi8EEvPfPK15HIP_vector_typeIfLj2EEiiiiiiS1_IjLj3EES5_S5_,@function
_ZL33flash_attn_stream_k_fixup_uniformILi96ELi4ELi8EEvPfPK15HIP_vector_typeIfLj2EEiiiiiiS1_IjLj3EES5_S5_: ; @_ZL33flash_attn_stream_k_fixup_uniformILi96ELi4ELi8EEvPfPK15HIP_vector_typeIfLj2EEiiiiiiS1_IjLj3EES5_S5_
; %bb.0:
	s_load_b256 s[4:11], s[0:1], 0x1c
	s_bfe_u32 s2, ttmp6, 0x40014
	s_lshr_b32 s3, ttmp7, 16
	s_add_co_i32 s2, s2, 1
	s_bfe_u32 s13, ttmp6, 0x40010
	s_mul_i32 s2, s3, s2
	s_bfe_u32 s12, ttmp6, 0x40008
	s_and_b32 s15, ttmp7, 0xffff
	s_add_co_i32 s13, s13, 1
	s_bfe_u32 s14, ttmp6, 0x4000c
	s_add_co_i32 s2, s12, s2
	s_mul_i32 s12, s15, s13
	s_bfe_u32 s13, ttmp6, 0x40004
	s_add_co_i32 s14, s14, 1
	s_add_co_i32 s13, s13, s12
	s_and_b32 s12, ttmp6, 15
	s_mul_i32 s14, ttmp9, s14
	s_getreg_b32 s20, hwreg(HW_REG_IB_STS2, 6, 4)
	s_add_co_i32 s12, s12, s14
	s_load_b128 s[16:19], s[0:1], 0x3c
	s_cmp_eq_u32 s20, 0
	s_cselect_b32 s14, ttmp9, s12
	s_cselect_b32 s12, s15, s13
	s_wait_kmcnt 0x0
	s_mul_hi_u32 s7, s7, s14
	s_cselect_b32 s13, s3, s2
	s_add_co_i32 s2, s14, s7
	s_delay_alu instid0(SALU_CYCLE_1) | instskip(NEXT) | instid1(SALU_CYCLE_1)
	s_lshr_b32 s7, s2, s8
	s_mul_i32 s2, s7, s9
	s_delay_alu instid0(SALU_CYCLE_1) | instskip(NEXT) | instid1(SALU_CYCLE_1)
	s_sub_co_i32 s8, s14, s2
	s_mul_hi_u32 s2, s8, s10
	s_delay_alu instid0(SALU_CYCLE_1) | instskip(SKIP_2) | instid1(SALU_CYCLE_1)
	s_add_co_i32 s9, s8, s2
	s_load_b64 s[2:3], s[0:1], 0x10
	s_lshr_b32 s15, s9, s11
	s_mul_i32 s9, s15, s16
	s_delay_alu instid0(SALU_CYCLE_1) | instskip(NEXT) | instid1(SALU_CYCLE_1)
	s_sub_co_i32 s8, s8, s9
	s_mul_hi_u32 s9, s8, s17
	s_delay_alu instid0(SALU_CYCLE_1) | instskip(NEXT) | instid1(SALU_CYCLE_1)
	s_add_co_i32 s9, s8, s9
	s_lshr_b32 s9, s9, s18
	s_delay_alu instid0(SALU_CYCLE_1) | instskip(SKIP_2) | instid1(SALU_CYCLE_1)
	s_mul_i32 s10, s9, s19
	s_lshl_b32 s17, s9, 3
	s_sub_co_i32 s16, s8, s10
	s_lshl_b32 s8, s16, 2
	s_delay_alu instid0(SALU_CYCLE_1) | instskip(SKIP_4) | instid1(SALU_CYCLE_1)
	s_add_co_i32 s8, s8, s12
	s_wait_kmcnt 0x0
	s_cmp_lt_i32 s8, s2
	s_cselect_b32 s8, -1, 0
	s_add_co_i32 s17, s17, s13
	s_cmp_lt_i32 s17, s5
	s_cselect_b32 s9, -1, 0
	s_delay_alu instid0(SALU_CYCLE_1) | instskip(NEXT) | instid1(SALU_CYCLE_1)
	s_and_b32 s8, s8, s9
	s_and_not1_b32 vcc_lo, exec_lo, s8
	s_cbranch_vccnz .LBB7_6
; %bb.1:
	s_load_b128 s[8:11], s[0:1], 0x0
	s_wait_xcnt 0x0
	s_mul_i32 s0, s7, s2
	s_mul_i32 s15, s15, s5
	s_add_co_i32 s0, s0, s12
	s_add_co_i32 s1, s17, s15
	s_mul_i32 s0, s0, s3
	s_mul_i32 s2, s3, s16
	s_add_co_i32 s0, s1, s0
	s_mulk_i32 s2, 0x180
	s_mulk_i32 s0, 0x60
	s_mul_i32 s7, s6, s14
	v_add3_u32 v4, s0, s2, v0
	s_lshl_b32 s5, s12, 3
	s_add_co_i32 s15, s7, s6
	s_add_co_i32 s0, s5, s13
	s_lshl_b32 s1, s15, 5
	v_ashrrev_i32_e32 v5, 31, v4
	s_add_co_i32 s0, s0, s1
	s_add_co_i32 s2, s15, -2
	s_sub_co_i32 s0, s0, 32
	s_wait_kmcnt 0x0
	global_load_b32 v3, v4, s[8:9] scale_offset
	s_ashr_i32 s1, s0, 31
	s_delay_alu instid0(SALU_CYCLE_1)
	s_lshl_b64 s[0:1], s[0:1], 3
	s_cmp_lt_i32 s2, s7
	s_add_nc_u64 s[0:1], s[10:11], s[0:1]
	s_load_b32 s16, s[0:1], 0x4
	s_cbranch_scc1 .LBB7_4
; %bb.2:
	s_wait_xcnt 0x0
	s_load_b32 s0, s[0:1], 0x0
	s_add_co_i32 s14, s14, 1
	s_mulk_i32 s12, 0x300
	s_wait_xcnt 0x0
	s_mul_i32 s1, s6, s14
	s_lshl_b32 s2, s4, 7
	s_lshl_b32 s6, s1, 5
	s_mulk_i32 s1, 0xc00
	s_add_co_i32 s6, s13, s6
	s_mulk_i32 s13, 0x60
	s_lshl_b32 s4, s4, 5
	s_add_co_i32 s12, s13, s12
	s_ashr_i32 s3, s2, 31
	s_add_co_i32 s12, s12, s1
	s_add_co_i32 s1, s6, s4
	v_add3_u32 v0, s12, v0, 0xffffe800
	s_wait_kmcnt 0x0
	v_mov_b32_e32 v2, s16
	s_lshl_b64 s[2:3], s[2:3], 2
	s_add_co_i32 s4, s1, s5
	s_add_nc_u64 s[2:3], s[10:11], s[2:3]
	s_add_co_i32 s1, s15, -1
	s_sub_co_i32 s4, s4, 64
.LBB7_3:                                ; =>This Inner Loop Header: Depth=1
	global_load_b32 v7, v0, s[2:3] scale_offset
	s_ashr_i32 s5, s4, 31
	v_max_num_f32_e64 v1, s0, s0
	s_lshl_b64 s[12:13], s[4:5], 3
	s_delay_alu instid0(SALU_CYCLE_1) | instskip(SKIP_1) | instid1(VALU_DEP_1)
	s_add_nc_u64 s[12:13], s[10:11], s[12:13]
	s_load_b64 s[12:13], s[12:13], 0x0
	v_readfirstlane_b32 s5, v1
	v_add_nc_u32_e32 v0, 0xfffff400, v0
	s_wait_kmcnt 0x0
	v_max_num_f32_e64 v1, s12, s12
	s_delay_alu instid0(VALU_DEP_1) | instskip(SKIP_1) | instid1(SALU_CYCLE_3)
	v_readfirstlane_b32 s6, v1
	s_max_num_f32 s5, s5, s6
	s_sub_f32 s0, s0, s5
	s_sub_f32 s6, s12, s5
	s_delay_alu instid0(SALU_CYCLE_2) | instskip(NEXT) | instid1(SALU_CYCLE_2)
	s_mul_f32 s12, s0, 0x3fb8aa3b
	s_mul_f32 s14, s6, 0x3fb8aa3b
	s_delay_alu instid0(SALU_CYCLE_2)
	s_xor_b32 s15, s12, 0x80000000
	s_rndne_f32 s16, s12
	s_fmamk_f32 s15, s0, 0x3fb8aa3b, s15
	s_cmp_nlt_f32 s0, 0xc2ce8ed0
	s_rndne_f32 s17, s14
	s_sub_f32 s12, s12, s16
	s_fmamk_f32 s15, s0, 0x32a5705f, s15
	s_cselect_b32 vcc_lo, -1, 0
	s_cmp_ngt_f32 s0, 0x42b17218
	s_delay_alu instid0(SALU_CYCLE_1) | instskip(SKIP_2) | instid1(SALU_CYCLE_1)
	s_add_f32 s12, s12, s15
	s_cvt_i32_f32 s15, s16
	s_sub_f32 s16, s14, s17
	v_s_exp_f32 s12, s12
	v_nop
	s_delay_alu instid0(TRANS32_DEP_1) | instskip(SKIP_1) | instid1(VALU_DEP_1)
	v_ldexp_f32 v1, s12, s15
	s_cvt_i32_f32 s12, s17
	v_cndmask_b32_e32 v1, 0, v1, vcc_lo
	s_cselect_b32 vcc_lo, -1, 0
	s_cmp_ge_f32 s0, 0xc1a00000
	s_delay_alu instid0(VALU_DEP_1)
	v_cndmask_b32_e32 v1, 0x7f800000, v1, vcc_lo
	s_cselect_b32 vcc_lo, -1, 0
	s_xor_b32 s0, s14, 0x80000000
	s_cmp_nlt_f32 s6, 0xc2ce8ed0
	s_fmamk_f32 s0, s6, 0x3fb8aa3b, s0
	v_cndmask_b32_e32 v10, 0, v1, vcc_lo
	s_delay_alu instid0(SALU_CYCLE_2) | instskip(NEXT) | instid1(SALU_CYCLE_3)
	s_fmamk_f32 s0, s6, 0x32a5705f, s0
	s_add_f32 s0, s16, s0
	s_delay_alu instid0(SALU_CYCLE_3) | instskip(SKIP_1) | instid1(TRANS32_DEP_1)
	v_s_exp_f32 s0, s0
	v_nop
	v_ldexp_f32 v6, s0, s12
	s_cselect_b32 s0, -1, 0
	s_cmp_ngt_f32 s6, 0x42b17218
	s_delay_alu instid0(VALU_DEP_1) | instskip(SKIP_2) | instid1(VALU_DEP_1)
	v_cndmask_b32_e64 v6, 0, v6, s0
	s_cselect_b32 s0, -1, 0
	s_cmp_ge_f32 s6, 0xc1a00000
	v_cndmask_b32_e64 v8, 0x7f800000, v6, s0
	s_cselect_b32 s0, -1, 0
	v_mov_b32_e32 v6, s13
	s_add_co_i32 s1, s1, -1
	s_sub_co_i32 s4, s4, 32
	v_cndmask_b32_e64 v8, 0, v8, s0
	s_cmp_le_i32 s1, s7
	s_mov_b32 s0, s5
	s_wait_loadcnt 0x0
	s_delay_alu instid0(VALU_DEP_1) | instskip(NEXT) | instid1(VALU_DEP_1)
	v_pk_mul_f32 v[6:7], v[6:7], v[8:9] op_sel_hi:[1,0]
	v_pk_fma_f32 v[2:3], v[2:3], v[10:11], v[6:7] op_sel_hi:[1,0,1]
	s_cbranch_scc0 .LBB7_3
	s_branch .LBB7_5
.LBB7_4:
	s_wait_kmcnt 0x0
	v_mov_b32_e32 v2, s16
.LBB7_5:
	v_lshl_add_u64 v[0:1], v[4:5], 2, s[8:9]
	s_wait_loadcnt 0x0
	s_delay_alu instid0(VALU_DEP_2) | instskip(NEXT) | instid1(VALU_DEP_1)
	v_div_scale_f32 v4, null, v2, v2, v3
	v_rcp_f32_e32 v5, v4
	v_nop
	s_delay_alu instid0(TRANS32_DEP_1) | instskip(NEXT) | instid1(VALU_DEP_1)
	v_fma_f32 v6, -v4, v5, 1.0
	v_fmac_f32_e32 v5, v6, v5
	v_div_scale_f32 v6, vcc_lo, v3, v2, v3
	s_delay_alu instid0(VALU_DEP_1) | instskip(NEXT) | instid1(VALU_DEP_1)
	v_mul_f32_e32 v7, v6, v5
	v_fma_f32 v8, -v4, v7, v6
	s_delay_alu instid0(VALU_DEP_1) | instskip(NEXT) | instid1(VALU_DEP_1)
	v_fmac_f32_e32 v7, v8, v5
	v_fma_f32 v4, -v4, v7, v6
	s_delay_alu instid0(VALU_DEP_1) | instskip(NEXT) | instid1(VALU_DEP_1)
	v_div_fmas_f32 v4, v4, v5, v7
	v_div_fixup_f32 v2, v4, v2, v3
	global_store_b32 v[0:1], v2, off
.LBB7_6:
	s_endpgm
	.section	.rodata,"a",@progbits
	.p2align	6, 0x0
	.amdhsa_kernel _ZL33flash_attn_stream_k_fixup_uniformILi96ELi4ELi8EEvPfPK15HIP_vector_typeIfLj2EEiiiiiiS1_IjLj3EES5_S5_
		.amdhsa_group_segment_fixed_size 0
		.amdhsa_private_segment_fixed_size 0
		.amdhsa_kernarg_size 76
		.amdhsa_user_sgpr_count 2
		.amdhsa_user_sgpr_dispatch_ptr 0
		.amdhsa_user_sgpr_queue_ptr 0
		.amdhsa_user_sgpr_kernarg_segment_ptr 1
		.amdhsa_user_sgpr_dispatch_id 0
		.amdhsa_user_sgpr_kernarg_preload_length 0
		.amdhsa_user_sgpr_kernarg_preload_offset 0
		.amdhsa_user_sgpr_private_segment_size 0
		.amdhsa_wavefront_size32 1
		.amdhsa_uses_dynamic_stack 0
		.amdhsa_enable_private_segment 0
		.amdhsa_system_sgpr_workgroup_id_x 1
		.amdhsa_system_sgpr_workgroup_id_y 1
		.amdhsa_system_sgpr_workgroup_id_z 1
		.amdhsa_system_sgpr_workgroup_info 0
		.amdhsa_system_vgpr_workitem_id 0
		.amdhsa_next_free_vgpr 12
		.amdhsa_next_free_sgpr 21
		.amdhsa_named_barrier_count 0
		.amdhsa_reserve_vcc 1
		.amdhsa_float_round_mode_32 0
		.amdhsa_float_round_mode_16_64 0
		.amdhsa_float_denorm_mode_32 3
		.amdhsa_float_denorm_mode_16_64 3
		.amdhsa_fp16_overflow 0
		.amdhsa_memory_ordered 1
		.amdhsa_forward_progress 1
		.amdhsa_inst_pref_size 9
		.amdhsa_round_robin_scheduling 0
		.amdhsa_exception_fp_ieee_invalid_op 0
		.amdhsa_exception_fp_denorm_src 0
		.amdhsa_exception_fp_ieee_div_zero 0
		.amdhsa_exception_fp_ieee_overflow 0
		.amdhsa_exception_fp_ieee_underflow 0
		.amdhsa_exception_fp_ieee_inexact 0
		.amdhsa_exception_int_div_zero 0
	.end_amdhsa_kernel
	.section	.text._ZL33flash_attn_stream_k_fixup_uniformILi96ELi4ELi8EEvPfPK15HIP_vector_typeIfLj2EEiiiiiiS1_IjLj3EES5_S5_,"axG",@progbits,_ZL33flash_attn_stream_k_fixup_uniformILi96ELi4ELi8EEvPfPK15HIP_vector_typeIfLj2EEiiiiiiS1_IjLj3EES5_S5_,comdat
.Lfunc_end7:
	.size	_ZL33flash_attn_stream_k_fixup_uniformILi96ELi4ELi8EEvPfPK15HIP_vector_typeIfLj2EEiiiiiiS1_IjLj3EES5_S5_, .Lfunc_end7-_ZL33flash_attn_stream_k_fixup_uniformILi96ELi4ELi8EEvPfPK15HIP_vector_typeIfLj2EEiiiiiiS1_IjLj3EES5_S5_
                                        ; -- End function
	.set _ZL33flash_attn_stream_k_fixup_uniformILi96ELi4ELi8EEvPfPK15HIP_vector_typeIfLj2EEiiiiiiS1_IjLj3EES5_S5_.num_vgpr, 12
	.set _ZL33flash_attn_stream_k_fixup_uniformILi96ELi4ELi8EEvPfPK15HIP_vector_typeIfLj2EEiiiiiiS1_IjLj3EES5_S5_.num_agpr, 0
	.set _ZL33flash_attn_stream_k_fixup_uniformILi96ELi4ELi8EEvPfPK15HIP_vector_typeIfLj2EEiiiiiiS1_IjLj3EES5_S5_.numbered_sgpr, 21
	.set _ZL33flash_attn_stream_k_fixup_uniformILi96ELi4ELi8EEvPfPK15HIP_vector_typeIfLj2EEiiiiiiS1_IjLj3EES5_S5_.num_named_barrier, 0
	.set _ZL33flash_attn_stream_k_fixup_uniformILi96ELi4ELi8EEvPfPK15HIP_vector_typeIfLj2EEiiiiiiS1_IjLj3EES5_S5_.private_seg_size, 0
	.set _ZL33flash_attn_stream_k_fixup_uniformILi96ELi4ELi8EEvPfPK15HIP_vector_typeIfLj2EEiiiiiiS1_IjLj3EES5_S5_.uses_vcc, 1
	.set _ZL33flash_attn_stream_k_fixup_uniformILi96ELi4ELi8EEvPfPK15HIP_vector_typeIfLj2EEiiiiiiS1_IjLj3EES5_S5_.uses_flat_scratch, 0
	.set _ZL33flash_attn_stream_k_fixup_uniformILi96ELi4ELi8EEvPfPK15HIP_vector_typeIfLj2EEiiiiiiS1_IjLj3EES5_S5_.has_dyn_sized_stack, 0
	.set _ZL33flash_attn_stream_k_fixup_uniformILi96ELi4ELi8EEvPfPK15HIP_vector_typeIfLj2EEiiiiiiS1_IjLj3EES5_S5_.has_recursion, 0
	.set _ZL33flash_attn_stream_k_fixup_uniformILi96ELi4ELi8EEvPfPK15HIP_vector_typeIfLj2EEiiiiiiS1_IjLj3EES5_S5_.has_indirect_call, 0
	.section	.AMDGPU.csdata,"",@progbits
; Kernel info:
; codeLenInByte = 1084
; TotalNumSgprs: 23
; NumVgprs: 12
; ScratchSize: 0
; MemoryBound: 0
; FloatMode: 240
; IeeeMode: 1
; LDSByteSize: 0 bytes/workgroup (compile time only)
; SGPRBlocks: 0
; VGPRBlocks: 0
; NumSGPRsForWavesPerEU: 23
; NumVGPRsForWavesPerEU: 12
; NamedBarCnt: 0
; Occupancy: 16
; WaveLimiterHint : 0
; COMPUTE_PGM_RSRC2:SCRATCH_EN: 0
; COMPUTE_PGM_RSRC2:USER_SGPR: 2
; COMPUTE_PGM_RSRC2:TRAP_HANDLER: 0
; COMPUTE_PGM_RSRC2:TGID_X_EN: 1
; COMPUTE_PGM_RSRC2:TGID_Y_EN: 1
; COMPUTE_PGM_RSRC2:TGID_Z_EN: 1
; COMPUTE_PGM_RSRC2:TIDIG_COMP_CNT: 0
	.section	.text._ZL33flash_attn_stream_k_fixup_generalILi96ELi4ELi8EEvPfPK15HIP_vector_typeIfLj2EEiiiiS1_IjLj3EES5_S5_S5_,"axG",@progbits,_ZL33flash_attn_stream_k_fixup_generalILi96ELi4ELi8EEvPfPK15HIP_vector_typeIfLj2EEiiiiS1_IjLj3EES5_S5_S5_,comdat
	.globl	_ZL33flash_attn_stream_k_fixup_generalILi96ELi4ELi8EEvPfPK15HIP_vector_typeIfLj2EEiiiiS1_IjLj3EES5_S5_S5_ ; -- Begin function _ZL33flash_attn_stream_k_fixup_generalILi96ELi4ELi8EEvPfPK15HIP_vector_typeIfLj2EEiiiiS1_IjLj3EES5_S5_S5_
	.p2align	8
	.type	_ZL33flash_attn_stream_k_fixup_generalILi96ELi4ELi8EEvPfPK15HIP_vector_typeIfLj2EEiiiiS1_IjLj3EES5_S5_S5_,@function
_ZL33flash_attn_stream_k_fixup_generalILi96ELi4ELi8EEvPfPK15HIP_vector_typeIfLj2EEiiiiS1_IjLj3EES5_S5_S5_: ; @_ZL33flash_attn_stream_k_fixup_generalILi96ELi4ELi8EEvPfPK15HIP_vector_typeIfLj2EEiiiiS1_IjLj3EES5_S5_S5_
; %bb.0:
	s_clause 0x1
	s_load_b128 s[4:7], s[0:1], 0x10
	s_load_b32 s16, s[0:1], 0x50
	s_bfe_u32 s2, ttmp6, 0x4000c
	s_and_b32 s3, ttmp6, 15
	s_add_co_i32 s2, s2, 1
	s_getreg_b32 s15, hwreg(HW_REG_IB_STS2, 6, 4)
	s_mul_i32 s2, ttmp9, s2
	s_mov_b32 s17, 0
	s_add_co_i32 s3, s3, s2
	s_cmp_eq_u32 s15, 0
	s_cselect_b32 s2, ttmp9, s3
	s_delay_alu instid0(SALU_CYCLE_1) | instskip(SKIP_3) | instid1(SALU_CYCLE_1)
	s_ashr_i32 s3, s2, 31
	s_wait_kmcnt 0x0
	s_ashr_i32 s19, s7, 31
	s_mov_b32 s18, s7
	s_mul_u64 s[8:9], s[18:19], s[2:3]
	s_delay_alu instid0(SALU_CYCLE_1) | instskip(NEXT) | instid1(SALU_CYCLE_1)
	s_and_b64 s[10:11], s[8:9], 0xffffffff00000000
	s_cmp_lg_u64 s[10:11], 0
	s_cbranch_scc0 .LBB8_21
; %bb.1:
	s_add_nc_u64 s[10:11], s[16:17], 0
	s_mov_b32 s23, s17
	s_xor_b64 s[10:11], s[10:11], 0
	s_mov_b32 s27, s17
	s_cvt_f32_u32 s3, s10
	s_cvt_f32_u32 s7, s11
	s_sub_nc_u64 s[20:21], 0, s[10:11]
	s_delay_alu instid0(SALU_CYCLE_2) | instskip(NEXT) | instid1(SALU_CYCLE_3)
	s_fmamk_f32 s3, s7, 0x4f800000, s3
	v_s_rcp_f32 s3, s3
	s_delay_alu instid0(TRANS32_DEP_1) | instskip(NEXT) | instid1(SALU_CYCLE_3)
	s_mul_f32 s3, s3, 0x5f7ffffc
	s_mul_f32 s7, s3, 0x2f800000
	s_delay_alu instid0(SALU_CYCLE_3) | instskip(NEXT) | instid1(SALU_CYCLE_3)
	s_trunc_f32 s7, s7
	s_fmamk_f32 s3, s7, 0xcf800000, s3
	s_cvt_u32_f32 s13, s7
	s_delay_alu instid0(SALU_CYCLE_2) | instskip(NEXT) | instid1(SALU_CYCLE_3)
	s_cvt_u32_f32 s12, s3
	s_mul_u64 s[24:25], s[20:21], s[12:13]
	s_delay_alu instid0(SALU_CYCLE_1)
	s_mul_hi_u32 s29, s12, s25
	s_mul_i32 s28, s12, s25
	s_mul_hi_u32 s22, s12, s24
	s_mul_i32 s7, s13, s24
	s_add_nc_u64 s[22:23], s[22:23], s[28:29]
	s_mul_hi_u32 s3, s13, s24
	s_mul_hi_u32 s14, s13, s25
	s_add_co_u32 s7, s22, s7
	s_add_co_ci_u32 s26, s23, s3
	s_mul_i32 s24, s13, s25
	s_add_co_ci_u32 s25, s14, 0
	s_delay_alu instid0(SALU_CYCLE_1) | instskip(SKIP_3) | instid1(SALU_CYCLE_1)
	s_add_nc_u64 s[22:23], s[26:27], s[24:25]
	s_mov_b32 s25, s17
	s_add_co_u32 s12, s12, s22
	s_cselect_b32 s3, -1, 0
	s_cmp_lg_u32 s3, 0
	s_add_co_ci_u32 s13, s13, s23
	s_mov_b32 s23, s17
	s_mul_u64 s[20:21], s[20:21], s[12:13]
	s_delay_alu instid0(SALU_CYCLE_1)
	s_mul_hi_u32 s27, s12, s21
	s_mul_i32 s26, s12, s21
	s_mul_hi_u32 s22, s12, s20
	s_mul_i32 s7, s13, s20
	s_add_nc_u64 s[22:23], s[22:23], s[26:27]
	s_mul_hi_u32 s3, s13, s20
	s_mul_hi_u32 s14, s13, s21
	s_add_co_u32 s7, s22, s7
	s_add_co_ci_u32 s24, s23, s3
	s_mul_i32 s20, s13, s21
	s_add_co_ci_u32 s21, s14, 0
	s_mov_b32 s23, s17
	s_add_nc_u64 s[20:21], s[24:25], s[20:21]
	s_delay_alu instid0(SALU_CYCLE_1) | instskip(SKIP_1) | instid1(SALU_CYCLE_1)
	s_add_co_u32 s3, s12, s20
	s_cselect_b32 s7, -1, 0
	s_cmp_lg_u32 s7, 0
	s_add_co_ci_u32 s7, s13, s21
	s_ashr_i32 s12, s9, 31
	s_delay_alu instid0(SALU_CYCLE_1) | instskip(NEXT) | instid1(SALU_CYCLE_1)
	s_mov_b32 s13, s12
	s_add_nc_u64 s[20:21], s[8:9], s[12:13]
	s_delay_alu instid0(SALU_CYCLE_1) | instskip(NEXT) | instid1(SALU_CYCLE_1)
	s_xor_b64 s[20:21], s[20:21], s[12:13]
	s_mul_hi_u32 s27, s20, s7
	s_mul_i32 s26, s20, s7
	s_mul_hi_u32 s22, s20, s3
	s_mul_hi_u32 s14, s21, s3
	s_mul_i32 s3, s21, s3
	s_add_nc_u64 s[22:23], s[22:23], s[26:27]
	s_mul_hi_u32 s9, s21, s7
	s_add_co_u32 s3, s22, s3
	s_add_co_ci_u32 s24, s23, s14
	s_mul_i32 s26, s21, s7
	s_add_co_ci_u32 s27, s9, 0
	s_delay_alu instid0(SALU_CYCLE_1) | instskip(NEXT) | instid1(SALU_CYCLE_1)
	s_add_nc_u64 s[22:23], s[24:25], s[26:27]
	s_and_b64 s[24:25], s[22:23], 0xffffffff00000000
	s_delay_alu instid0(SALU_CYCLE_1) | instskip(NEXT) | instid1(SALU_CYCLE_1)
	s_or_b32 s24, s24, s22
	s_mul_u64 s[22:23], s[10:11], s[24:25]
	s_add_nc_u64 s[26:27], s[24:25], 1
	s_sub_co_u32 s3, s20, s22
	s_cselect_b32 s7, -1, 0
	s_sub_co_i32 s9, s21, s23
	s_cmp_lg_u32 s7, 0
	s_add_nc_u64 s[28:29], s[24:25], 2
	s_sub_co_ci_u32 s9, s9, s11
	s_sub_co_u32 s14, s3, s10
	s_cselect_b32 s20, -1, 0
	s_delay_alu instid0(SALU_CYCLE_1) | instskip(SKIP_1) | instid1(SALU_CYCLE_1)
	s_cmp_lg_u32 s20, 0
	s_sub_co_ci_u32 s9, s9, 0
	s_cmp_ge_u32 s9, s11
	s_cselect_b32 s20, -1, 0
	s_cmp_ge_u32 s14, s10
	s_cselect_b32 s14, -1, 0
	s_cmp_eq_u32 s9, s11
	s_cselect_b32 s9, s14, s20
	s_delay_alu instid0(SALU_CYCLE_1) | instskip(SKIP_4) | instid1(SALU_CYCLE_1)
	s_cmp_lg_u32 s9, 0
	s_cselect_b32 s9, s28, s26
	s_cselect_b32 s14, s29, s27
	s_cmp_lg_u32 s7, 0
	s_sub_co_ci_u32 s7, s21, s23
	s_cmp_ge_u32 s7, s11
	s_cselect_b32 s20, -1, 0
	s_cmp_ge_u32 s3, s10
	s_cselect_b32 s3, -1, 0
	s_cmp_eq_u32 s7, s11
	s_cselect_b32 s3, s3, s20
	s_delay_alu instid0(SALU_CYCLE_1) | instskip(SKIP_4) | instid1(SALU_CYCLE_1)
	s_cmp_lg_u32 s3, 0
	s_mov_b32 s3, s17
	s_cselect_b32 s11, s14, s25
	s_cselect_b32 s10, s9, s24
	s_xor_b64 s[12:13], s[12:13], 0
	s_xor_b64 s[10:11], s[10:11], s[12:13]
	s_delay_alu instid0(SALU_CYCLE_1)
	s_sub_nc_u64 s[20:21], s[10:11], s[12:13]
	s_and_not1_b32 vcc_lo, exec_lo, s3
	s_cbranch_vccnz .LBB8_3
.LBB8_2:
	v_cvt_f32_u32_e32 v1, s16
	s_sub_co_i32 s7, 0, s16
	s_mov_b32 s21, 0
	s_delay_alu instid0(VALU_DEP_1) | instskip(SKIP_1) | instid1(TRANS32_DEP_1)
	v_rcp_iflag_f32_e32 v1, v1
	v_nop
	v_mul_f32_e32 v1, 0x4f7ffffe, v1
	s_delay_alu instid0(VALU_DEP_1) | instskip(NEXT) | instid1(VALU_DEP_1)
	v_cvt_u32_f32_e32 v1, v1
	v_readfirstlane_b32 s3, v1
	s_mul_i32 s7, s7, s3
	s_delay_alu instid0(SALU_CYCLE_1) | instskip(NEXT) | instid1(SALU_CYCLE_1)
	s_mul_hi_u32 s7, s3, s7
	s_add_co_i32 s3, s3, s7
	s_delay_alu instid0(SALU_CYCLE_1) | instskip(NEXT) | instid1(SALU_CYCLE_1)
	s_mul_hi_u32 s3, s8, s3
	s_mul_i32 s7, s3, s16
	s_delay_alu instid0(SALU_CYCLE_1)
	s_sub_co_i32 s7, s8, s7
	s_add_co_i32 s8, s3, 1
	s_sub_co_i32 s9, s7, s16
	s_cmp_ge_u32 s7, s16
	s_cselect_b32 s3, s8, s3
	s_cselect_b32 s7, s9, s7
	s_add_co_i32 s8, s3, 1
	s_cmp_ge_u32 s7, s16
	s_cselect_b32 s20, s8, s3
.LBB8_3:
	s_add_co_i32 s8, s2, 1
	s_delay_alu instid0(SALU_CYCLE_1) | instskip(NEXT) | instid1(SALU_CYCLE_1)
	s_ashr_i32 s9, s8, 31
	s_mul_u64 s[8:9], s[18:19], s[8:9]
	s_delay_alu instid0(SALU_CYCLE_1) | instskip(NEXT) | instid1(SALU_CYCLE_1)
	s_and_b64 s[10:11], s[8:9], 0xffffffff00000000
	s_cmp_lg_u64 s[10:11], 0
	s_cbranch_scc0 .LBB8_22
; %bb.4:
	s_add_nc_u64 s[10:11], s[16:17], 0
	s_delay_alu instid0(SALU_CYCLE_1) | instskip(SKIP_4) | instid1(SALU_CYCLE_2)
	s_xor_b64 s[12:13], s[10:11], 0
	s_mov_b32 s11, 0
	s_cvt_f32_u32 s3, s12
	s_cvt_f32_u32 s7, s13
	s_sub_nc_u64 s[24:25], 0, s[12:13]
	s_fmamk_f32 s3, s7, 0x4f800000, s3
	s_delay_alu instid0(SALU_CYCLE_3) | instskip(NEXT) | instid1(TRANS32_DEP_1)
	v_s_rcp_f32 s3, s3
	s_mul_f32 s3, s3, 0x5f7ffffc
	s_delay_alu instid0(SALU_CYCLE_3) | instskip(NEXT) | instid1(SALU_CYCLE_3)
	s_mul_f32 s7, s3, 0x2f800000
	s_trunc_f32 s7, s7
	s_delay_alu instid0(SALU_CYCLE_3) | instskip(SKIP_1) | instid1(SALU_CYCLE_2)
	s_fmamk_f32 s3, s7, 0xcf800000, s3
	s_cvt_u32_f32 s23, s7
	s_cvt_u32_f32 s22, s3
	s_delay_alu instid0(SALU_CYCLE_3) | instskip(NEXT) | instid1(SALU_CYCLE_1)
	s_mul_u64 s[26:27], s[24:25], s[22:23]
	s_mul_hi_u32 s29, s22, s27
	s_mul_i32 s28, s22, s27
	s_mul_hi_u32 s10, s22, s26
	s_mul_i32 s7, s23, s26
	s_add_nc_u64 s[28:29], s[10:11], s[28:29]
	s_mul_hi_u32 s3, s23, s26
	s_mul_hi_u32 s14, s23, s27
	s_add_co_u32 s7, s28, s7
	s_add_co_ci_u32 s10, s29, s3
	s_mul_i32 s26, s23, s27
	s_add_co_ci_u32 s27, s14, 0
	s_delay_alu instid0(SALU_CYCLE_1) | instskip(NEXT) | instid1(SALU_CYCLE_1)
	s_add_nc_u64 s[26:27], s[10:11], s[26:27]
	s_add_co_u32 s22, s22, s26
	s_cselect_b32 s3, -1, 0
	s_delay_alu instid0(SALU_CYCLE_1) | instskip(SKIP_1) | instid1(SALU_CYCLE_1)
	s_cmp_lg_u32 s3, 0
	s_add_co_ci_u32 s23, s23, s27
	s_mul_u64 s[24:25], s[24:25], s[22:23]
	s_delay_alu instid0(SALU_CYCLE_1)
	s_mul_hi_u32 s27, s22, s25
	s_mul_i32 s26, s22, s25
	s_mul_hi_u32 s10, s22, s24
	s_mul_i32 s7, s23, s24
	s_add_nc_u64 s[26:27], s[10:11], s[26:27]
	s_mul_hi_u32 s3, s23, s24
	s_mul_hi_u32 s14, s23, s25
	s_add_co_u32 s7, s26, s7
	s_add_co_ci_u32 s10, s27, s3
	s_mul_i32 s24, s23, s25
	s_add_co_ci_u32 s25, s14, 0
	s_delay_alu instid0(SALU_CYCLE_1) | instskip(NEXT) | instid1(SALU_CYCLE_1)
	s_add_nc_u64 s[24:25], s[10:11], s[24:25]
	s_add_co_u32 s3, s22, s24
	s_cselect_b32 s7, -1, 0
	s_delay_alu instid0(SALU_CYCLE_1) | instskip(SKIP_2) | instid1(SALU_CYCLE_1)
	s_cmp_lg_u32 s7, 0
	s_add_co_ci_u32 s7, s23, s25
	s_ashr_i32 s22, s9, 31
	s_mov_b32 s23, s22
	s_delay_alu instid0(SALU_CYCLE_1) | instskip(NEXT) | instid1(SALU_CYCLE_1)
	s_add_nc_u64 s[24:25], s[8:9], s[22:23]
	s_xor_b64 s[24:25], s[24:25], s[22:23]
	s_delay_alu instid0(SALU_CYCLE_1)
	s_mul_hi_u32 s27, s24, s7
	s_mul_i32 s26, s24, s7
	s_mul_hi_u32 s10, s24, s3
	s_mul_hi_u32 s14, s25, s3
	s_mul_i32 s3, s25, s3
	s_add_nc_u64 s[26:27], s[10:11], s[26:27]
	s_mul_hi_u32 s9, s25, s7
	s_add_co_u32 s3, s26, s3
	s_add_co_ci_u32 s10, s27, s14
	s_mul_i32 s28, s25, s7
	s_add_co_ci_u32 s29, s9, 0
	s_delay_alu instid0(SALU_CYCLE_1) | instskip(NEXT) | instid1(SALU_CYCLE_1)
	s_add_nc_u64 s[26:27], s[10:11], s[28:29]
	s_and_b64 s[28:29], s[26:27], 0xffffffff00000000
	s_delay_alu instid0(SALU_CYCLE_1) | instskip(NEXT) | instid1(SALU_CYCLE_1)
	s_or_b32 s28, s28, s26
	s_mul_u64 s[26:27], s[12:13], s[28:29]
	s_add_nc_u64 s[30:31], s[28:29], 1
	s_sub_co_u32 s3, s24, s26
	s_cselect_b32 s7, -1, 0
	s_sub_co_i32 s9, s25, s27
	s_cmp_lg_u32 s7, 0
	s_add_nc_u64 s[34:35], s[28:29], 2
	s_sub_co_ci_u32 s9, s9, s13
	s_sub_co_u32 s10, s3, s12
	s_cselect_b32 s14, -1, 0
	s_delay_alu instid0(SALU_CYCLE_1) | instskip(SKIP_1) | instid1(SALU_CYCLE_1)
	s_cmp_lg_u32 s14, 0
	s_sub_co_ci_u32 s9, s9, 0
	s_cmp_ge_u32 s9, s13
	s_cselect_b32 s14, -1, 0
	s_cmp_ge_u32 s10, s12
	s_cselect_b32 s10, -1, 0
	s_cmp_eq_u32 s9, s13
	s_cselect_b32 s9, s10, s14
	s_delay_alu instid0(SALU_CYCLE_1) | instskip(SKIP_4) | instid1(SALU_CYCLE_1)
	s_cmp_lg_u32 s9, 0
	s_cselect_b32 s9, s34, s30
	s_cselect_b32 s10, s35, s31
	s_cmp_lg_u32 s7, 0
	s_sub_co_ci_u32 s7, s25, s27
	s_cmp_ge_u32 s7, s13
	s_cselect_b32 s14, -1, 0
	s_cmp_ge_u32 s3, s12
	s_cselect_b32 s3, -1, 0
	s_cmp_eq_u32 s7, s13
	s_cselect_b32 s3, s3, s14
	s_delay_alu instid0(SALU_CYCLE_1) | instskip(SKIP_3) | instid1(SALU_CYCLE_1)
	s_cmp_lg_u32 s3, 0
	s_cselect_b32 s13, s10, s29
	s_cselect_b32 s12, s9, s28
	s_xor_b64 s[22:23], s[22:23], 0
	s_xor_b64 s[12:13], s[12:13], s[22:23]
	s_delay_alu instid0(SALU_CYCLE_1)
	s_sub_nc_u64 s[24:25], s[12:13], s[22:23]
	s_load_b96 s[12:14], s[0:1], 0x44
	s_cbranch_execnz .LBB8_6
.LBB8_5:
	v_cvt_f32_u32_e32 v1, s16
	s_sub_co_i32 s7, 0, s16
	s_delay_alu instid0(VALU_DEP_1) | instskip(SKIP_1) | instid1(TRANS32_DEP_1)
	v_rcp_iflag_f32_e32 v1, v1
	v_nop
	v_mul_f32_e32 v1, 0x4f7ffffe, v1
	s_delay_alu instid0(VALU_DEP_1) | instskip(NEXT) | instid1(VALU_DEP_1)
	v_cvt_u32_f32_e32 v1, v1
	v_readfirstlane_b32 s3, v1
	s_mul_i32 s7, s7, s3
	s_delay_alu instid0(SALU_CYCLE_1) | instskip(NEXT) | instid1(SALU_CYCLE_1)
	s_mul_hi_u32 s7, s3, s7
	s_add_co_i32 s3, s3, s7
	s_delay_alu instid0(SALU_CYCLE_1) | instskip(NEXT) | instid1(SALU_CYCLE_1)
	s_mul_hi_u32 s3, s8, s3
	s_mul_i32 s7, s3, s16
	s_delay_alu instid0(SALU_CYCLE_1)
	s_sub_co_i32 s7, s8, s7
	s_add_co_i32 s8, s3, 1
	s_sub_co_i32 s9, s7, s16
	s_cmp_ge_u32 s7, s16
	s_cselect_b32 s3, s8, s3
	s_cselect_b32 s7, s9, s7
	s_add_co_i32 s8, s3, 1
	s_cmp_ge_u32 s7, s16
	s_cselect_b32 s24, s8, s3
.LBB8_6:
	s_delay_alu instid0(SALU_CYCLE_1)
	s_cmp_eq_u32 s20, s24
	s_mov_b64 s[8:9], 0xffffffff
	s_cselect_b32 s3, -1, 0
	s_and_b64 s[8:9], s[20:21], s[8:9]
	s_mov_b32 s23, 0
	s_wait_kmcnt 0x0
	s_mov_b32 s22, s12
	s_mov_b32 s25, s23
	s_mul_u64 s[10:11], s[8:9], s[22:23]
	s_delay_alu instid0(SALU_CYCLE_1) | instskip(SKIP_2) | instid1(SALU_CYCLE_1)
	s_add_co_i32 s7, s11, s20
	s_mul_u64 s[10:11], s[24:25], s[22:23]
	s_lshr_b32 s12, s7, s13
	s_mul_i32 s7, s12, s14
	s_delay_alu instid0(SALU_CYCLE_1) | instskip(SKIP_2) | instid1(SALU_CYCLE_1)
	s_cmp_eq_u32 s7, s20
	s_cselect_b32 s7, -1, 0
	s_add_co_i32 s10, s11, s24
	s_lshr_b32 s10, s10, s13
	s_delay_alu instid0(SALU_CYCLE_1)
	s_cmp_eq_u32 s12, s10
	s_mul_i32 s10, s10, s14
	s_cselect_b32 s11, -1, 0
	s_cmp_lg_u32 s10, s24
	s_cselect_b32 s10, -1, 0
	s_or_b32 s3, s3, s7
	s_and_b32 s10, s11, s10
	s_delay_alu instid0(SALU_CYCLE_1) | instskip(NEXT) | instid1(SALU_CYCLE_1)
	s_or_b32 s3, s3, s10
	s_and_b32 vcc_lo, exec_lo, s3
	s_cbranch_vccnz .LBB8_24
; %bb.7:
	s_load_b256 s[24:31], s[0:1], 0x20
	s_bfe_u32 s7, ttmp6, 0x40014
	s_bfe_u32 s33, ttmp6, 0x40010
	s_lshr_b32 s3, ttmp7, 16
	s_add_co_i32 s7, s7, 1
	s_and_b32 s21, ttmp7, 0xffff
	s_add_co_i32 s33, s33, 1
	s_bfe_u32 s10, ttmp6, 0x40008
	s_mul_i32 s7, s3, s7
	s_bfe_u32 s34, ttmp6, 0x40004
	s_mul_i32 s33, s21, s33
	s_mov_b32 s11, s23
	s_add_co_i32 s35, s10, s7
	s_add_co_i32 s34, s34, s33
	s_cmp_eq_u32 s15, 0
	s_cselect_b32 s7, s21, s34
	s_cselect_b32 s3, s3, s35
	s_wait_kmcnt 0x0
	s_mov_b32 s10, s24
	s_delay_alu instid0(SALU_CYCLE_1) | instskip(NEXT) | instid1(SALU_CYCLE_1)
	s_mul_u64 s[8:9], s[8:9], s[10:11]
	s_add_co_i32 s8, s9, s20
	s_delay_alu instid0(SALU_CYCLE_1) | instskip(SKIP_2) | instid1(SALU_CYCLE_1)
	s_lshr_b32 s15, s8, s25
	s_load_b32 s8, s[0:1], 0x40
	s_mul_i32 s9, s15, s26
	s_sub_co_i32 s9, s20, s9
	s_delay_alu instid0(SALU_CYCLE_1) | instskip(NEXT) | instid1(SALU_CYCLE_1)
	s_mul_hi_u32 s10, s9, s27
	s_add_co_i32 s10, s9, s10
	s_delay_alu instid0(SALU_CYCLE_1) | instskip(NEXT) | instid1(SALU_CYCLE_1)
	s_lshr_b32 s21, s10, s28
	s_mul_i32 s10, s21, s29
	s_delay_alu instid0(SALU_CYCLE_1) | instskip(NEXT) | instid1(SALU_CYCLE_1)
	s_sub_co_i32 s10, s9, s10
	s_mul_hi_u32 s9, s10, s30
	s_delay_alu instid0(SALU_CYCLE_1) | instskip(NEXT) | instid1(SALU_CYCLE_1)
	s_add_co_i32 s9, s10, s9
	s_lshr_b32 s25, s9, s31
	s_mov_b32 s9, s23
	s_wait_kmcnt 0x0
	s_mul_i32 s8, s25, s8
	s_lshl_b32 s25, s25, 3
	s_sub_co_i32 s8, s10, s8
	s_delay_alu instid0(SALU_CYCLE_1) | instskip(NEXT) | instid1(SALU_CYCLE_1)
	s_mul_u64 s[10:11], s[8:9], s[22:23]
	s_add_co_i32 s8, s8, s11
	s_delay_alu instid0(SALU_CYCLE_1) | instskip(NEXT) | instid1(SALU_CYCLE_1)
	s_lshr_b32 s24, s8, s13
	s_lshl_b32 s8, s24, 2
	s_delay_alu instid0(SALU_CYCLE_1) | instskip(NEXT) | instid1(SALU_CYCLE_1)
	s_add_co_i32 s8, s8, s7
	s_cmp_lt_i32 s8, s4
	s_cselect_b32 s8, -1, 0
	s_add_co_i32 s25, s25, s3
	s_delay_alu instid0(SALU_CYCLE_1) | instskip(SKIP_1) | instid1(SALU_CYCLE_1)
	s_cmp_lt_i32 s25, s6
	s_cselect_b32 s9, -1, 0
	s_and_b32 s8, s8, s9
	s_delay_alu instid0(SALU_CYCLE_1)
	s_and_not1_b32 vcc_lo, exec_lo, s8
	s_cbranch_vccnz .LBB8_24
; %bb.8:
	s_load_b128 s[8:11], s[0:1], 0x0
	s_wait_xcnt 0x0
	s_mul_i32 s0, s15, s4
	s_mul_i32 s21, s21, s6
	s_add_co_i32 s0, s0, s7
	s_add_co_i32 s1, s25, s21
	s_mul_i32 s0, s0, s5
	s_mul_i32 s4, s5, s24
	s_add_co_i32 s0, s1, s0
	s_mulk_i32 s4, 0x180
	s_mulk_i32 s0, 0x60
	s_lshl_b32 s15, s7, 3
	v_add3_u32 v2, s4, s0, v0
	s_add_nc_u64 s[0:1], s[16:17], 0
	s_add_co_i32 s15, s15, s3
	s_xor_b64 s[6:7], s[0:1], 0
	s_lshl_b32 s0, s2, 5
	s_cvt_f32_u32 s3, s6
	s_cvt_f32_u32 s4, s7
	s_add_co_i32 s0, s15, s0
	v_cvt_f32_u32_e32 v4, s16
	s_wait_kmcnt 0x0
	global_load_b32 v1, v2, s[8:9] scale_offset
	s_fmamk_f32 s3, s4, 0x4f800000, s3
	s_ashr_i32 s1, s0, 31
	s_lshl_b32 s24, s16, 7
	s_lshl_b64 s[0:1], s[0:1], 3
	v_s_rcp_f32 s3, s3
	s_add_nc_u64 s[0:1], s[10:11], s[0:1]
	v_rcp_iflag_f32_e32 v4, v4
	s_load_b64 s[28:29], s[0:1], 0x0
	s_mov_b32 s25, 0
	v_mad_u32 v6, 0x60, s15, v0
	v_ashrrev_i32_e32 v3, 31, v2
	s_wait_xcnt 0x0
	s_lshl_b64 s[0:1], s[24:25], 2
	s_mul_f32 s3, s3, 0x5f7ffffc
	v_mul_f32_e32 v4, 0x4f7ffffe, v4
	s_add_nc_u64 s[26:27], s[10:11], s[0:1]
	v_lshl_add_u64 v[2:3], v[2:3], 2, s[8:9]
	s_mul_f32 s4, s3, 0x2f800000
	s_mov_b64 s[8:9], 0xffffffff
	v_cvt_u32_f32_e32 v7, v4
	s_add_co_i32 s36, s2, -1
	s_trunc_f32 s4, s4
	s_sub_nc_u64 s[34:35], 0, s[6:7]
	s_delay_alu instid0(SALU_CYCLE_2)
	s_fmamk_f32 s0, s4, 0xcf800000, s3
	s_cvt_u32_f32 s31, s4
	s_wait_kmcnt 0x0
	v_mov_b32_e32 v0, s29
	s_cvt_u32_f32 s30, s0
.LBB8_9:                                ; =>This Inner Loop Header: Depth=1
	s_ashr_i32 s37, s36, 31
                                        ; implicit-def: $sgpr40_sgpr41
	s_delay_alu instid0(SALU_CYCLE_1) | instskip(NEXT) | instid1(SALU_CYCLE_1)
	s_mul_u64 s[0:1], s[36:37], s[18:19]
	s_and_b64 s[2:3], s[0:1], 0xffffffff00000000
	s_delay_alu instid0(SALU_CYCLE_1)
	s_cmp_lg_u64 s[2:3], 0
	s_mov_b32 s2, -1
	s_cbranch_scc0 .LBB8_11
; %bb.10:                               ;   in Loop: Header=BB8_9 Depth=1
	s_mul_u64 s[2:3], s[34:35], s[30:31]
	s_delay_alu instid0(SALU_CYCLE_1)
	s_mul_hi_u32 s5, s30, s3
	s_mul_i32 s4, s30, s3
	s_mul_hi_u32 s24, s30, s2
	s_mul_hi_u32 s17, s31, s2
	s_add_nc_u64 s[4:5], s[24:25], s[4:5]
	s_mul_i32 s2, s31, s2
	s_mul_hi_u32 s21, s31, s3
	s_add_co_u32 s2, s4, s2
	s_add_co_ci_u32 s24, s5, s17
	s_add_co_ci_u32 s5, s21, 0
	s_mul_i32 s4, s31, s3
	s_delay_alu instid0(SALU_CYCLE_1) | instskip(NEXT) | instid1(SALU_CYCLE_1)
	s_add_nc_u64 s[2:3], s[24:25], s[4:5]
	s_add_co_u32 s2, s30, s2
	s_cselect_b32 s4, -1, 0
	s_delay_alu instid0(SALU_CYCLE_1) | instskip(SKIP_1) | instid1(SALU_CYCLE_1)
	s_cmp_lg_u32 s4, 0
	s_add_co_ci_u32 s3, s31, s3
	s_mul_u64 s[4:5], s[34:35], s[2:3]
	s_delay_alu instid0(SALU_CYCLE_1)
	s_mul_hi_u32 s39, s2, s5
	s_mul_i32 s38, s2, s5
	s_mul_hi_u32 s24, s2, s4
	s_mul_hi_u32 s17, s3, s4
	s_mul_i32 s4, s3, s4
	s_add_nc_u64 s[38:39], s[24:25], s[38:39]
	s_mul_hi_u32 s21, s3, s5
	s_add_co_u32 s4, s38, s4
	s_add_co_ci_u32 s24, s39, s17
	s_mul_i32 s4, s3, s5
	s_add_co_ci_u32 s5, s21, 0
	s_delay_alu instid0(SALU_CYCLE_1) | instskip(NEXT) | instid1(SALU_CYCLE_1)
	s_add_nc_u64 s[4:5], s[24:25], s[4:5]
	s_add_co_u32 s17, s2, s4
	s_cselect_b32 s2, -1, 0
	s_delay_alu instid0(SALU_CYCLE_1) | instskip(SKIP_2) | instid1(SALU_CYCLE_1)
	s_cmp_lg_u32 s2, 0
	s_add_co_ci_u32 s21, s3, s5
	s_ashr_i32 s2, s1, 31
	s_mov_b32 s3, s2
	s_delay_alu instid0(SALU_CYCLE_1) | instskip(NEXT) | instid1(SALU_CYCLE_1)
	s_add_nc_u64 s[4:5], s[0:1], s[2:3]
	s_xor_b64 s[4:5], s[4:5], s[2:3]
	s_delay_alu instid0(SALU_CYCLE_1)
	s_mul_hi_u32 s39, s4, s21
	s_mul_i32 s38, s4, s21
	s_mul_hi_u32 s24, s4, s17
	s_mul_hi_u32 s29, s5, s17
	s_mul_i32 s17, s5, s17
	s_add_nc_u64 s[38:39], s[24:25], s[38:39]
	s_mul_hi_u32 s1, s5, s21
	s_add_co_u32 s17, s38, s17
	s_add_co_ci_u32 s24, s39, s29
	s_mul_i32 s40, s5, s21
	s_add_co_ci_u32 s41, s1, 0
	s_delay_alu instid0(SALU_CYCLE_1) | instskip(NEXT) | instid1(SALU_CYCLE_1)
	s_add_nc_u64 s[38:39], s[24:25], s[40:41]
	s_and_b64 s[40:41], s[38:39], 0xffffffff00000000
	s_delay_alu instid0(SALU_CYCLE_1) | instskip(NEXT) | instid1(SALU_CYCLE_1)
	s_or_b32 s40, s40, s38
	s_mul_u64 s[38:39], s[6:7], s[40:41]
	s_add_nc_u64 s[42:43], s[40:41], 1
	s_sub_co_u32 s1, s4, s38
	s_cselect_b32 s4, -1, 0
	s_sub_co_i32 s17, s5, s39
	s_cmp_lg_u32 s4, 0
	s_add_nc_u64 s[44:45], s[40:41], 2
	s_sub_co_ci_u32 s17, s17, s7
	s_sub_co_u32 s21, s1, s6
	s_cselect_b32 s24, -1, 0
	s_delay_alu instid0(SALU_CYCLE_1) | instskip(SKIP_1) | instid1(SALU_CYCLE_1)
	s_cmp_lg_u32 s24, 0
	s_sub_co_ci_u32 s17, s17, 0
	s_cmp_ge_u32 s17, s7
	s_cselect_b32 s24, -1, 0
	s_cmp_ge_u32 s21, s6
	s_cselect_b32 s21, -1, 0
	s_cmp_eq_u32 s17, s7
	s_cselect_b32 s17, s21, s24
	s_delay_alu instid0(SALU_CYCLE_1) | instskip(SKIP_4) | instid1(SALU_CYCLE_1)
	s_cmp_lg_u32 s17, 0
	s_cselect_b32 s17, s44, s42
	s_cselect_b32 s21, s45, s43
	s_cmp_lg_u32 s4, 0
	s_sub_co_ci_u32 s4, s5, s39
	s_cmp_ge_u32 s4, s7
	s_cselect_b32 s5, -1, 0
	s_cmp_ge_u32 s1, s6
	s_cselect_b32 s1, -1, 0
	s_cmp_eq_u32 s4, s7
	s_cselect_b32 s1, s1, s5
	s_delay_alu instid0(SALU_CYCLE_1) | instskip(SKIP_3) | instid1(SALU_CYCLE_1)
	s_cmp_lg_u32 s1, 0
	s_cselect_b32 s5, s21, s41
	s_cselect_b32 s4, s17, s40
	s_xor_b64 s[2:3], s[2:3], 0
	s_xor_b64 s[4:5], s[4:5], s[2:3]
	s_delay_alu instid0(SALU_CYCLE_1)
	s_sub_nc_u64 s[40:41], s[4:5], s[2:3]
	s_mov_b32 s2, 0
.LBB8_11:                               ;   in Loop: Header=BB8_9 Depth=1
	s_delay_alu instid0(SALU_CYCLE_1)
	s_and_not1_b32 vcc_lo, exec_lo, s2
	s_cbranch_vccnz .LBB8_13
; %bb.12:                               ;   in Loop: Header=BB8_9 Depth=1
	v_readfirstlane_b32 s1, v7
	s_sub_co_i32 s2, 0, s16
	s_delay_alu instid0(SALU_CYCLE_1) | instskip(NEXT) | instid1(SALU_CYCLE_1)
	s_mul_i32 s2, s2, s1
	s_mul_hi_u32 s2, s1, s2
	s_delay_alu instid0(SALU_CYCLE_1) | instskip(NEXT) | instid1(SALU_CYCLE_1)
	s_add_co_i32 s1, s1, s2
	s_mul_hi_u32 s1, s0, s1
	s_delay_alu instid0(SALU_CYCLE_1) | instskip(NEXT) | instid1(SALU_CYCLE_1)
	s_mul_i32 s2, s1, s16
	s_sub_co_i32 s0, s0, s2
	s_add_co_i32 s2, s1, 1
	s_sub_co_i32 s3, s0, s16
	s_cmp_ge_u32 s0, s16
	s_cselect_b32 s1, s2, s1
	s_cselect_b32 s0, s3, s0
	s_add_co_i32 s2, s1, 1
	s_cmp_ge_u32 s0, s16
	s_cselect_b32 s24, s2, s1
	s_delay_alu instid0(SALU_CYCLE_1)
	s_mov_b64 s[40:41], s[24:25]
.LBB8_13:                               ;   in Loop: Header=BB8_9 Depth=1
	s_delay_alu instid0(SALU_CYCLE_1)
	s_cmp_lg_u32 s20, s40
	s_mov_b32 s0, -1
                                        ; implicit-def: $vgpr4_vgpr5
                                        ; implicit-def: $sgpr24
                                        ; implicit-def: $sgpr17
                                        ; implicit-def: $sgpr21
                                        ; implicit-def: $sgpr29
	s_cbranch_scc0 .LBB8_18
; %bb.14:                               ;   in Loop: Header=BB8_9 Depth=1
	s_add_co_i32 s0, s36, s16
	v_max_num_f32_e64 v4, s28, s28
	s_lshl_b32 s0, s0, 5
	s_mov_b32 s29, s20
	s_add_co_i32 s0, s0, s15
	s_load_b64 s[38:39], s[10:11], s0 offset:0x0 scale_offset
	s_wait_xcnt 0x0
	v_readfirstlane_b32 s0, v4
	s_wait_kmcnt 0x0
	v_max_num_f32_e64 v5, s38, s38
	s_delay_alu instid0(VALU_DEP_1) | instskip(SKIP_1) | instid1(SALU_CYCLE_3)
	v_readfirstlane_b32 s1, v5
	s_max_num_f32 s17, s0, s1
	s_sub_f32 s33, s28, s17
	s_sub_f32 s37, s38, s17
	s_delay_alu instid0(SALU_CYCLE_2)
	s_cmp_nlt_f32 s33, 0xc2ce8ed0
	s_cselect_b32 s1, -1, 0
	s_cmp_ngt_f32 s33, 0x42b17218
	s_cselect_b32 s2, -1, 0
	s_cmp_ge_f32 s33, 0xc1a00000
	s_cselect_b32 s0, -1, 0
	s_cmp_nlt_f32 s37, 0xc2ce8ed0
	s_cselect_b32 s3, -1, 0
	s_cmp_ngt_f32 s37, 0x42b17218
	s_cselect_b32 s4, -1, 0
	s_cmp_ge_f32 s37, 0xc1a00000
	s_cselect_b32 s5, -1, 0
	s_and_b64 s[42:43], s[40:41], s[8:9]
	s_delay_alu instid0(SALU_CYCLE_1) | instskip(NEXT) | instid1(SALU_CYCLE_1)
	s_mul_u64 s[42:43], s[42:43], s[22:23]
	s_add_co_i32 s21, s43, s40
	s_delay_alu instid0(SALU_CYCLE_1) | instskip(NEXT) | instid1(SALU_CYCLE_1)
	s_lshr_b32 s21, s21, s13
	s_mul_i32 s24, s21, s14
	s_delay_alu instid0(SALU_CYCLE_1) | instskip(SKIP_3) | instid1(SALU_CYCLE_1)
	s_cmp_eq_u32 s24, s40
	s_cselect_b32 s24, -1, 0
	s_cmp_lt_u32 s21, s12
	s_cselect_b32 s21, -1, 0
	s_or_b32 s21, s21, s24
	s_mov_b32 s24, -1
	s_and_b32 vcc_lo, exec_lo, s21
	s_mov_b32 s21, s36
	s_cbranch_vccnz .LBB8_16
; %bb.15:                               ;   in Loop: Header=BB8_9 Depth=1
	s_add_co_i32 s21, s36, -1
	s_mov_b32 s24, 0
	s_mov_b32 s29, s40
.LBB8_16:                               ;   in Loop: Header=BB8_9 Depth=1
	v_mad_u32 v4, 0xc00, s36, v6
	s_mul_f32 s40, s33, 0x3fb8aa3b
	s_mul_f32 s38, s37, 0x3fb8aa3b
	s_delay_alu instid0(SALU_CYCLE_2)
	s_xor_b32 s42, s40, 0x80000000
	s_rndne_f32 s44, s40
	s_fmamk_f32 s42, s33, 0x3fb8aa3b, s42
	s_xor_b32 s41, s38, 0x80000000
	s_rndne_f32 s43, s38
	s_sub_f32 s40, s40, s44
	global_load_b32 v5, v4, s[26:27] scale_offset
	s_fmamk_f32 s33, s33, 0x32a5705f, s42
	s_fmamk_f32 s41, s37, 0x3fb8aa3b, s41
	s_sub_f32 s38, s38, s43
	s_delay_alu instid0(SALU_CYCLE_1) | instskip(NEXT) | instid1(SALU_CYCLE_1)
	s_add_f32 s33, s40, s33
	s_fmamk_f32 s37, s37, 0x32a5705f, s41
	s_cvt_i32_f32 s40, s44
	s_delay_alu instid0(SALU_CYCLE_1) | instskip(NEXT) | instid1(SALU_CYCLE_1)
	v_s_exp_f32 s33, s33
	s_add_f32 s37, s38, s37
	s_cvt_i32_f32 s38, s43
	s_delay_alu instid0(SALU_CYCLE_2) | instskip(NEXT) | instid1(TRANS32_DEP_2)
	v_s_exp_f32 s37, s37
	v_ldexp_f32 v8, s33, s40
	s_wait_xcnt 0x0
	s_delay_alu instid0(TRANS32_DEP_1) | instskip(NEXT) | instid1(VALU_DEP_2)
	v_ldexp_f32 v4, s37, s38
	v_cndmask_b32_e64 v8, 0, v8, s1
	s_delay_alu instid0(VALU_DEP_1) | instskip(NEXT) | instid1(VALU_DEP_1)
	v_cndmask_b32_e64 v9, 0x7f800000, v8, s2
	v_dual_cndmask_b32 v4, 0, v4, s3 :: v_dual_cndmask_b32 v10, 0, v9, s0
	s_delay_alu instid0(VALU_DEP_1) | instskip(NEXT) | instid1(VALU_DEP_1)
	v_cndmask_b32_e64 v4, 0x7f800000, v4, s4
	v_dual_cndmask_b32 v8, 0, v4, s5 :: v_dual_mov_b32 v4, s39
	s_wait_loadcnt 0x0
	s_delay_alu instid0(VALU_DEP_1) | instskip(NEXT) | instid1(VALU_DEP_1)
	v_pk_mul_f32 v[4:5], v[4:5], v[8:9] op_sel_hi:[1,0]
	v_pk_fma_f32 v[4:5], v[0:1], v[10:11], v[4:5] op_sel_hi:[1,0,1]
	s_cbranch_execz .LBB8_19
.LBB8_17:                               ;   in Loop: Header=BB8_9 Depth=1
	s_and_not1_b32 vcc_lo, exec_lo, s24
	s_cbranch_vccnz .LBB8_20
	s_branch .LBB8_23
.LBB8_18:                               ;   in Loop: Header=BB8_9 Depth=1
	s_and_not1_b32 vcc_lo, exec_lo, s0
	s_cbranch_vccnz .LBB8_17
.LBB8_19:                               ;   in Loop: Header=BB8_9 Depth=1
	s_wait_loadcnt 0x0
	v_mov_b64_e32 v[4:5], v[0:1]
	s_add_co_i32 s21, s36, -1
	s_mov_b32 s29, s20
	s_mov_b32 s17, s28
	s_cbranch_execz .LBB8_23
.LBB8_20:                               ;   in Loop: Header=BB8_9 Depth=1
	s_wait_loadcnt 0x0
	s_delay_alu instid0(VALU_DEP_1)
	v_mov_b64_e32 v[0:1], v[4:5]
	s_mov_b32 s20, s29
	s_mov_b32 s36, s21
	;; [unrolled: 1-line block ×3, first 2 shown]
	s_branch .LBB8_9
.LBB8_21:
                                        ; implicit-def: $sgpr20_sgpr21
	s_branch .LBB8_2
.LBB8_22:
                                        ; implicit-def: $sgpr24_sgpr25
	s_load_b96 s[12:14], s[0:1], 0x44
	s_branch .LBB8_5
.LBB8_23:
	s_delay_alu instid0(VALU_DEP_1) | instskip(SKIP_1) | instid1(VALU_DEP_1)
	v_div_scale_f32 v0, null, v4, v4, v5
	s_wait_loadcnt 0x0
	v_rcp_f32_e32 v1, v0
	v_nop
	s_delay_alu instid0(TRANS32_DEP_1) | instskip(NEXT) | instid1(VALU_DEP_1)
	v_fma_f32 v6, -v0, v1, 1.0
	v_fmac_f32_e32 v1, v6, v1
	v_div_scale_f32 v6, vcc_lo, v5, v4, v5
	s_delay_alu instid0(VALU_DEP_1) | instskip(NEXT) | instid1(VALU_DEP_1)
	v_mul_f32_e32 v7, v6, v1
	v_fma_f32 v8, -v0, v7, v6
	s_delay_alu instid0(VALU_DEP_1) | instskip(NEXT) | instid1(VALU_DEP_1)
	v_fmac_f32_e32 v7, v8, v1
	v_fma_f32 v0, -v0, v7, v6
	s_delay_alu instid0(VALU_DEP_1) | instskip(NEXT) | instid1(VALU_DEP_1)
	v_div_fmas_f32 v0, v0, v1, v7
	v_div_fixup_f32 v0, v0, v4, v5
	global_store_b32 v[2:3], v0, off
.LBB8_24:
	s_endpgm
	.section	.rodata,"a",@progbits
	.p2align	6, 0x0
	.amdhsa_kernel _ZL33flash_attn_stream_k_fixup_generalILi96ELi4ELi8EEvPfPK15HIP_vector_typeIfLj2EEiiiiS1_IjLj3EES5_S5_S5_
		.amdhsa_group_segment_fixed_size 0
		.amdhsa_private_segment_fixed_size 0
		.amdhsa_kernarg_size 336
		.amdhsa_user_sgpr_count 2
		.amdhsa_user_sgpr_dispatch_ptr 0
		.amdhsa_user_sgpr_queue_ptr 0
		.amdhsa_user_sgpr_kernarg_segment_ptr 1
		.amdhsa_user_sgpr_dispatch_id 0
		.amdhsa_user_sgpr_kernarg_preload_length 0
		.amdhsa_user_sgpr_kernarg_preload_offset 0
		.amdhsa_user_sgpr_private_segment_size 0
		.amdhsa_wavefront_size32 1
		.amdhsa_uses_dynamic_stack 0
		.amdhsa_enable_private_segment 0
		.amdhsa_system_sgpr_workgroup_id_x 1
		.amdhsa_system_sgpr_workgroup_id_y 1
		.amdhsa_system_sgpr_workgroup_id_z 1
		.amdhsa_system_sgpr_workgroup_info 0
		.amdhsa_system_vgpr_workitem_id 0
		.amdhsa_next_free_vgpr 12
		.amdhsa_next_free_sgpr 46
		.amdhsa_named_barrier_count 0
		.amdhsa_reserve_vcc 1
		.amdhsa_float_round_mode_32 0
		.amdhsa_float_round_mode_16_64 0
		.amdhsa_float_denorm_mode_32 3
		.amdhsa_float_denorm_mode_16_64 3
		.amdhsa_fp16_overflow 0
		.amdhsa_memory_ordered 1
		.amdhsa_forward_progress 1
		.amdhsa_inst_pref_size 27
		.amdhsa_round_robin_scheduling 0
		.amdhsa_exception_fp_ieee_invalid_op 0
		.amdhsa_exception_fp_denorm_src 0
		.amdhsa_exception_fp_ieee_div_zero 0
		.amdhsa_exception_fp_ieee_overflow 0
		.amdhsa_exception_fp_ieee_underflow 0
		.amdhsa_exception_fp_ieee_inexact 0
		.amdhsa_exception_int_div_zero 0
	.end_amdhsa_kernel
	.section	.text._ZL33flash_attn_stream_k_fixup_generalILi96ELi4ELi8EEvPfPK15HIP_vector_typeIfLj2EEiiiiS1_IjLj3EES5_S5_S5_,"axG",@progbits,_ZL33flash_attn_stream_k_fixup_generalILi96ELi4ELi8EEvPfPK15HIP_vector_typeIfLj2EEiiiiS1_IjLj3EES5_S5_S5_,comdat
.Lfunc_end8:
	.size	_ZL33flash_attn_stream_k_fixup_generalILi96ELi4ELi8EEvPfPK15HIP_vector_typeIfLj2EEiiiiS1_IjLj3EES5_S5_S5_, .Lfunc_end8-_ZL33flash_attn_stream_k_fixup_generalILi96ELi4ELi8EEvPfPK15HIP_vector_typeIfLj2EEiiiiS1_IjLj3EES5_S5_S5_
                                        ; -- End function
	.set _ZL33flash_attn_stream_k_fixup_generalILi96ELi4ELi8EEvPfPK15HIP_vector_typeIfLj2EEiiiiS1_IjLj3EES5_S5_S5_.num_vgpr, 12
	.set _ZL33flash_attn_stream_k_fixup_generalILi96ELi4ELi8EEvPfPK15HIP_vector_typeIfLj2EEiiiiS1_IjLj3EES5_S5_S5_.num_agpr, 0
	.set _ZL33flash_attn_stream_k_fixup_generalILi96ELi4ELi8EEvPfPK15HIP_vector_typeIfLj2EEiiiiS1_IjLj3EES5_S5_S5_.numbered_sgpr, 46
	.set _ZL33flash_attn_stream_k_fixup_generalILi96ELi4ELi8EEvPfPK15HIP_vector_typeIfLj2EEiiiiS1_IjLj3EES5_S5_S5_.num_named_barrier, 0
	.set _ZL33flash_attn_stream_k_fixup_generalILi96ELi4ELi8EEvPfPK15HIP_vector_typeIfLj2EEiiiiS1_IjLj3EES5_S5_S5_.private_seg_size, 0
	.set _ZL33flash_attn_stream_k_fixup_generalILi96ELi4ELi8EEvPfPK15HIP_vector_typeIfLj2EEiiiiS1_IjLj3EES5_S5_S5_.uses_vcc, 1
	.set _ZL33flash_attn_stream_k_fixup_generalILi96ELi4ELi8EEvPfPK15HIP_vector_typeIfLj2EEiiiiS1_IjLj3EES5_S5_S5_.uses_flat_scratch, 0
	.set _ZL33flash_attn_stream_k_fixup_generalILi96ELi4ELi8EEvPfPK15HIP_vector_typeIfLj2EEiiiiS1_IjLj3EES5_S5_S5_.has_dyn_sized_stack, 0
	.set _ZL33flash_attn_stream_k_fixup_generalILi96ELi4ELi8EEvPfPK15HIP_vector_typeIfLj2EEiiiiS1_IjLj3EES5_S5_S5_.has_recursion, 0
	.set _ZL33flash_attn_stream_k_fixup_generalILi96ELi4ELi8EEvPfPK15HIP_vector_typeIfLj2EEiiiiS1_IjLj3EES5_S5_S5_.has_indirect_call, 0
	.section	.AMDGPU.csdata,"",@progbits
; Kernel info:
; codeLenInByte = 3352
; TotalNumSgprs: 48
; NumVgprs: 12
; ScratchSize: 0
; MemoryBound: 0
; FloatMode: 240
; IeeeMode: 1
; LDSByteSize: 0 bytes/workgroup (compile time only)
; SGPRBlocks: 0
; VGPRBlocks: 0
; NumSGPRsForWavesPerEU: 48
; NumVGPRsForWavesPerEU: 12
; NamedBarCnt: 0
; Occupancy: 16
; WaveLimiterHint : 0
; COMPUTE_PGM_RSRC2:SCRATCH_EN: 0
; COMPUTE_PGM_RSRC2:USER_SGPR: 2
; COMPUTE_PGM_RSRC2:TRAP_HANDLER: 0
; COMPUTE_PGM_RSRC2:TGID_X_EN: 1
; COMPUTE_PGM_RSRC2:TGID_Y_EN: 1
; COMPUTE_PGM_RSRC2:TGID_Z_EN: 1
; COMPUTE_PGM_RSRC2:TIDIG_COMP_CNT: 0
	.section	.text._ZL15flash_attn_tileILi96ELi96ELi2ELi8ELb0EEvPKcS1_S1_S1_S1_PKiPfP15HIP_vector_typeIfLj2EEffffjfiS5_IjLj3EEiiiiiiiiiiiliiliiiiil,"axG",@progbits,_ZL15flash_attn_tileILi96ELi96ELi2ELi8ELb0EEvPKcS1_S1_S1_S1_PKiPfP15HIP_vector_typeIfLj2EEffffjfiS5_IjLj3EEiiiiiiiiiiiliiliiiiil,comdat
	.globl	_ZL15flash_attn_tileILi96ELi96ELi2ELi8ELb0EEvPKcS1_S1_S1_S1_PKiPfP15HIP_vector_typeIfLj2EEffffjfiS5_IjLj3EEiiiiiiiiiiiliiliiiiil ; -- Begin function _ZL15flash_attn_tileILi96ELi96ELi2ELi8ELb0EEvPKcS1_S1_S1_S1_PKiPfP15HIP_vector_typeIfLj2EEffffjfiS5_IjLj3EEiiiiiiiiiiiliiliiiiil
	.p2align	8
	.type	_ZL15flash_attn_tileILi96ELi96ELi2ELi8ELb0EEvPKcS1_S1_S1_S1_PKiPfP15HIP_vector_typeIfLj2EEffffjfiS5_IjLj3EEiiiiiiiiiiiliiliiiiil,@function
_ZL15flash_attn_tileILi96ELi96ELi2ELi8ELb0EEvPKcS1_S1_S1_S1_PKiPfP15HIP_vector_typeIfLj2EEffffjfiS5_IjLj3EEiiiiiiiiiiiliiliiiiil: ; @_ZL15flash_attn_tileILi96ELi96ELi2ELi8ELb0EEvPKcS1_S1_S1_S1_PKiPfP15HIP_vector_typeIfLj2EEffffjfiS5_IjLj3EEiiiiiiiiiiiliiliiiiil
; %bb.0:
	s_clause 0x1
	s_load_b128 s[20:23], s[0:1], 0x5c
	s_load_b64 s[30:31], s[0:1], 0x80
	s_bfe_u32 s5, ttmp6, 0x40014
	s_lshr_b32 s4, ttmp7, 16
	s_add_co_i32 s5, s5, 1
	s_bfe_u32 s6, ttmp6, 0x40008
	s_mul_i32 s5, s4, s5
	s_getreg_b32 s27, hwreg(HW_REG_IB_STS2, 6, 4)
	s_add_co_i32 s6, s6, s5
	s_mov_b32 s37, 0
	s_mov_b64 s[34:35], 0
	s_wait_kmcnt 0x0
	s_ashr_i32 s2, s23, 31
	s_delay_alu instid0(SALU_CYCLE_1) | instskip(NEXT) | instid1(SALU_CYCLE_1)
	s_lshr_b32 s2, s2, 29
	s_add_co_i32 s2, s23, s2
	s_delay_alu instid0(SALU_CYCLE_1) | instskip(NEXT) | instid1(SALU_CYCLE_1)
	s_ashr_i32 s2, s2, 3
	s_cvt_f32_u32 s3, s2
	s_sub_co_i32 s7, 0, s2
	s_delay_alu instid0(SALU_CYCLE_2) | instskip(SKIP_1) | instid1(TRANS32_DEP_1)
	v_rcp_iflag_f32_e32 v1, s3
	v_nop
	v_readfirstlane_b32 s3, v1
	s_mul_f32 s3, s3, 0x4f7ffffe
	s_delay_alu instid0(SALU_CYCLE_3) | instskip(NEXT) | instid1(SALU_CYCLE_3)
	s_cvt_u32_f32 s3, s3
	s_mul_i32 s7, s7, s3
	s_delay_alu instid0(SALU_CYCLE_1) | instskip(NEXT) | instid1(SALU_CYCLE_1)
	s_mul_hi_u32 s7, s3, s7
	s_add_co_i32 s3, s3, s7
	s_cmp_eq_u32 s27, 0
	s_cselect_b32 s4, s4, s6
	s_delay_alu instid0(SALU_CYCLE_1) | instskip(NEXT) | instid1(SALU_CYCLE_1)
	s_mul_hi_u32 s3, s4, s3
	s_mul_i32 s5, s3, s2
	s_add_co_i32 s6, s3, 1
	s_sub_co_i32 s5, s4, s5
	s_delay_alu instid0(SALU_CYCLE_1)
	s_sub_co_i32 s7, s5, s2
	s_cmp_ge_u32 s5, s2
	s_cselect_b32 s3, s6, s3
	s_cselect_b32 s5, s7, s5
	s_add_co_i32 s6, s3, 1
	s_cmp_ge_u32 s5, s2
	s_cselect_b32 s28, s6, s3
	s_abs_i32 s2, s31
	s_abs_i32 s6, s23
	s_cvt_f32_u32 s3, s2
	s_sub_co_i32 s5, 0, s2
	s_lshl_b32 s24, s4, 3
	s_xor_b32 s4, s23, s31
	v_rcp_iflag_f32_e32 v1, s3
	s_ashr_i32 s25, s4, 31
	v_nop
	s_delay_alu instid0(TRANS32_DEP_1) | instskip(SKIP_1) | instid1(SALU_CYCLE_3)
	v_readfirstlane_b32 s3, v1
	s_mul_f32 s3, s3, 0x4f7ffffe
	s_cvt_u32_f32 s3, s3
	s_delay_alu instid0(SALU_CYCLE_3) | instskip(NEXT) | instid1(SALU_CYCLE_1)
	s_mul_i32 s5, s5, s3
	s_mul_hi_u32 s5, s3, s5
	s_delay_alu instid0(SALU_CYCLE_1) | instskip(NEXT) | instid1(SALU_CYCLE_1)
	s_add_co_i32 s3, s3, s5
	s_mul_hi_u32 s3, s6, s3
	s_delay_alu instid0(SALU_CYCLE_1) | instskip(NEXT) | instid1(SALU_CYCLE_1)
	s_mul_i32 s5, s3, s2
	s_sub_co_i32 s4, s6, s5
	s_add_co_i32 s5, s3, 1
	s_sub_co_i32 s6, s4, s2
	s_cmp_ge_u32 s4, s2
	s_cselect_b32 s3, s5, s3
	s_cselect_b32 s4, s6, s4
	s_add_co_i32 s5, s3, 1
	s_cmp_ge_u32 s4, s2
	s_cselect_b32 s2, s5, s3
	s_load_b512 s[4:19], s[0:1], 0x0
	s_xor_b32 s26, s2, s25
	s_load_b64 s[2:3], s[0:1], 0xb8
	s_sub_co_i32 s29, s26, s25
	s_delay_alu instid0(SALU_CYCLE_1) | instskip(NEXT) | instid1(SALU_CYCLE_1)
	s_abs_i32 s38, s29
	s_cvt_f32_u32 s25, s38
	s_delay_alu instid0(SALU_CYCLE_3) | instskip(SKIP_2) | instid1(TRANS32_DEP_1)
	v_rcp_iflag_f32_e32 v1, s25
	s_mul_i32 s25, s28, s23
	v_nop
	v_readfirstlane_b32 s36, v1
	s_wait_kmcnt 0x0
	s_cmp_eq_u64 s[10:11], 0
	s_cbranch_scc1 .LBB9_2
; %bb.1:
	s_abs_i32 s2, s2
	s_abs_i32 s33, s28
	s_cvt_f32_u32 s26, s2
	s_sub_co_i32 s31, 0, s2
	s_load_b64 s[34:35], s[0:1], 0xc8
	s_delay_alu instid0(SALU_CYCLE_1) | instskip(SKIP_1) | instid1(TRANS32_DEP_1)
	v_rcp_iflag_f32_e32 v1, s26
	v_nop
	v_readfirstlane_b32 s26, v1
	s_mul_f32 s26, s26, 0x4f7ffffe
	s_delay_alu instid0(SALU_CYCLE_3) | instskip(NEXT) | instid1(SALU_CYCLE_3)
	s_cvt_u32_f32 s26, s26
	s_mul_i32 s31, s31, s26
	s_delay_alu instid0(SALU_CYCLE_1) | instskip(NEXT) | instid1(SALU_CYCLE_1)
	s_mul_hi_u32 s31, s26, s31
	s_add_co_i32 s26, s26, s31
	s_ashr_i32 s31, s28, 31
	s_mul_hi_u32 s26, s33, s26
	s_delay_alu instid0(SALU_CYCLE_1) | instskip(NEXT) | instid1(SALU_CYCLE_1)
	s_mul_i32 s26, s26, s2
	s_sub_co_i32 s26, s33, s26
	s_delay_alu instid0(SALU_CYCLE_1) | instskip(SKIP_2) | instid1(SALU_CYCLE_1)
	s_sub_co_i32 s33, s26, s2
	s_cmp_ge_u32 s26, s2
	s_cselect_b32 s26, s33, s26
	s_sub_co_i32 s33, s26, s2
	s_cmp_ge_u32 s26, s2
	s_cselect_b32 s2, s33, s26
	s_delay_alu instid0(SALU_CYCLE_1) | instskip(NEXT) | instid1(SALU_CYCLE_1)
	s_xor_b32 s2, s2, s31
	s_sub_co_i32 s40, s2, s31
	s_delay_alu instid0(SALU_CYCLE_1) | instskip(SKIP_2) | instid1(SALU_CYCLE_1)
	s_ashr_i32 s41, s40, 31
	s_wait_kmcnt 0x0
	s_mul_u64 s[34:35], s[34:35], s[40:41]
	s_add_nc_u64 s[34:35], s[10:11], s[34:35]
.LBB9_2:
	s_bfe_u32 s2, ttmp6, 0x4000c
	v_bfe_u32 v2, v0, 10, 10
	v_lshrrev_b32_e32 v1, 10, v0
	s_add_co_i32 s2, s2, 1
	s_and_b32 s10, ttmp6, 15
	s_mul_i32 s2, ttmp9, s2
	s_sub_co_i32 s31, s24, s25
	s_add_co_i32 s10, s10, s2
	v_lshlrev_b32_e32 v3, 1, v2
	v_bfe_u32 v1, v1, 2, 8
	s_cmp_eq_u32 s27, 0
	v_and_b32_e32 v72, 0x3ff, v0
	s_cselect_b32 s10, ttmp9, s10
	v_and_b32_e32 v48, 6, v3
	v_lshl_add_u32 v73, s10, 1, v1
	s_delay_alu instid0(VALU_DEP_3) | instskip(SKIP_1) | instid1(VALU_DEP_3)
	v_dual_lshlrev_b32 v61, 2, v72 :: v_dual_lshlrev_b32 v74, 3, v72
	v_cmp_gt_u32_e64 s2, 24, v72
	v_mul_hi_u32 v1, s20, v73
	s_delay_alu instid0(VALU_DEP_1) | instskip(NEXT) | instid1(VALU_DEP_1)
	v_add_nc_u32_e32 v1, v73, v1
	v_lshrrev_b32_e32 v1, s21, v1
	s_delay_alu instid0(VALU_DEP_1) | instskip(NEXT) | instid1(VALU_DEP_1)
	v_mul_lo_u32 v1, v1, s22
	v_sub_nc_u32_e32 v0, v73, v1
	s_and_saveexec_b32 s11, s2
	s_cbranch_execz .LBB9_4
; %bb.3:
	s_load_b96 s[24:26], s[0:1], 0x70
	v_dual_mov_b32 v1, 0 :: v_dual_lshlrev_b32 v10, 2, v61
	v_bitop3_b32 v6, v3, 7, 1 bitop3:0xc8
	s_delay_alu instid0(VALU_DEP_2)
	v_dual_mov_b32 v11, v1 :: v_dual_bitop2_b32 v3, 1, v3 bitop3:0x54
	v_dual_mov_b32 v49, v1 :: v_dual_mov_b32 v7, v1
	s_wait_kmcnt 0x0
	s_ashr_i32 s21, s24, 31
	s_mov_b32 s20, s24
	s_mul_i32 s24, s31, s25
	s_lshr_b64 s[20:21], s[20:21], 2
	s_delay_alu instid0(SALU_CYCLE_1)
	v_mul_u64_e32 v[4:5], s[20:21], v[0:1]
	s_ashr_i32 s21, s25, 31
	s_mov_b32 s20, s25
	s_ashr_i32 s25, s24, 31
	s_lshr_b64 s[20:21], s[20:21], 2
	v_add_nc_u32_e32 v1, 0xe80, v74
	v_mul_u64_e32 v[8:9], s[20:21], v[48:49]
	v_mul_u64_e32 v[6:7], s[20:21], v[6:7]
	s_mul_i32 s20, s28, s26
	s_delay_alu instid0(SALU_CYCLE_1) | instskip(NEXT) | instid1(SALU_CYCLE_1)
	s_ashr_i32 s21, s20, 31
	s_add_nc_u64 s[4:5], s[4:5], s[20:21]
	s_delay_alu instid0(SALU_CYCLE_1)
	s_add_nc_u64 s[4:5], s[4:5], s[24:25]
	s_delay_alu instid0(VALU_DEP_4) | instid1(SALU_CYCLE_1)
	v_lshl_add_u64 v[4:5], v[4:5], 2, s[4:5]
	s_load_b32 s4, s[0:1], 0x40
	s_delay_alu instid0(VALU_DEP_1) | instskip(NEXT) | instid1(VALU_DEP_1)
	v_add_nc_u64_e32 v[4:5], v[4:5], v[10:11]
	v_lshl_add_u64 v[12:13], v[8:9], 2, v[4:5]
	s_delay_alu instid0(VALU_DEP_4)
	v_lshl_add_u64 v[14:15], v[6:7], 2, v[4:5]
	s_clause 0x1
	global_load_b128 v[4:7], v[12:13], off
	global_load_b128 v[8:11], v[14:15], off
	s_wait_xcnt 0x1
	v_mad_u32_u24 v12, 0x180, v2, v1
	v_mad_u32_u24 v1, 0xc0, v3, v1
	s_wait_loadcnt 0x1
	s_wait_kmcnt 0x0
	v_fma_mixlo_f16 v4, s4, v4, 0
	v_fma_mixlo_f16 v5, s4, v5, 0
	s_wait_loadcnt 0x0
	v_fma_mixlo_f16 v8, s4, v8, 0
	v_fma_mixlo_f16 v9, s4, v9, 0
	;; [unrolled: 1-line block ×4, first 2 shown]
	v_lshlrev_b32_e32 v5, 16, v5
	v_and_b32_e32 v4, 0xffff, v4
	v_fma_mixlo_f16 v10, s4, v10, 0
	v_fma_mixlo_f16 v11, s4, v11, 0
	v_lshlrev_b32_e32 v9, 16, v9
	v_and_b32_e32 v8, 0xffff, v8
	v_lshlrev_b32_e32 v7, 16, v7
	v_and_b32_e32 v6, 0xffff, v6
	v_dual_lshlrev_b32 v11, 16, v11 :: v_dual_bitop2_b32 v4, v5, v4 bitop3:0x54
	v_and_b32_e32 v10, 0xffff, v10
	v_or_b32_e32 v8, v9, v8
	s_delay_alu instid0(VALU_DEP_4) | instskip(NEXT) | instid1(VALU_DEP_4)
	v_or3_b32 v5, v7, v6, 0
	v_or3_b32 v4, 0, 0, v4
	s_delay_alu instid0(VALU_DEP_4) | instskip(NEXT) | instid1(VALU_DEP_4)
	v_or3_b32 v7, v11, v10, 0
	v_or3_b32 v6, 0, 0, v8
	ds_store_b64 v12, v[4:5]
	ds_store_b64 v1, v[6:7]
.LBB9_4:
	s_or_b32 exec_lo, exec_lo, s11
	s_cmp_eq_u64 s[14:15], 0
	s_wait_dscnt 0x0
	s_barrier_signal -1
	s_barrier_wait -1
	s_cbranch_scc1 .LBB9_6
; %bb.5:
	s_load_b32 s4, s[0:1], 0xd0
	s_wait_kmcnt 0x0
	s_mul_i32 s4, s4, s28
	s_delay_alu instid0(SALU_CYCLE_1)
	s_add_co_i32 s4, s4, s10
	s_load_b32 s30, s[14:15], s4 offset:0x0 scale_offset
.LBB9_6:
	s_wait_xcnt 0x0
	s_bfe_u32 s4, ttmp6, 0x40010
	s_and_b32 s5, ttmp7, 0xffff
	s_add_co_i32 s4, s4, 1
	s_bfe_u32 s10, ttmp6, 0x40004
	s_mul_i32 s4, s5, s4
	v_mbcnt_lo_u32_b32 v49, -1, 0
	s_add_co_i32 s10, s10, s4
	s_cmp_eq_u32 s27, 0
	s_mov_b32 s4, 0
	s_cselect_b32 s33, s5, s10
	s_delay_alu instid0(SALU_CYCLE_1)
	s_lshl_b32 s10, s33, 5
	s_wait_kmcnt 0x0
	s_cmp_lt_i32 s10, s30
	s_cbranch_scc1 .LBB9_9
; %bb.7:
	v_mbcnt_lo_u32_b32 v1, -1, 0
	s_delay_alu instid0(VALU_DEP_1)
	v_dual_mov_b32 v75, 32 :: v_dual_bitop2_b32 v88, 16, v1 bitop3:0x14
	v_xor_b32_e32 v89, 8, v1
	v_xor_b32_e32 v90, 4, v1
	;; [unrolled: 1-line block ×4, first 2 shown]
	s_and_not1_b32 vcc_lo, exec_lo, s4
	s_cbranch_vccz .LBB9_10
; %bb.8:
	v_dual_mov_b32 v67, 0xfeffffff :: v_dual_mov_b32 v86, 0
	v_dual_mov_b32 v51, 0 :: v_dual_mov_b32 v87, 0
	;; [unrolled: 1-line block ×3, first 2 shown]
	s_delay_alu instid0(VALU_DEP_2)
	v_dual_mov_b32 v66, v67 :: v_dual_mov_b32 v50, v51
	s_branch .LBB9_30
.LBB9_9:
                                        ; implicit-def: $vgpr1
                                        ; implicit-def: $vgpr75
                                        ; implicit-def: $vgpr88
                                        ; implicit-def: $vgpr89
                                        ; implicit-def: $vgpr90
                                        ; implicit-def: $vgpr91
                                        ; implicit-def: $vgpr92
.LBB9_10:
	s_clause 0x1
	s_load_b64 s[4:5], s[0:1], 0x8c
	s_load_b128 s[24:27], s[0:1], 0x98
	s_mul_f32 s11, s36, 0x4f7ffffe
	v_dual_lshrrev_b32 v1, 1, v72 :: v_dual_lshrrev_b32 v3, 2, v72
	s_sub_co_i32 s14, 0, s38
	s_delay_alu instid0(SALU_CYCLE_1) | instskip(SKIP_1) | instid1(VALU_DEP_2)
	s_cvt_u32_f32 s11, s11
	v_and_b32_e32 v6, 12, v61
	v_lshl_add_u32 v1, v2, 4, v1
	v_and_b32_e32 v4, 4, v61
	s_mul_i32 s14, s14, s11
	s_ashr_i32 s20, s31, 31
	s_ashr_i32 s21, s29, 31
	s_mul_hi_u32 s14, s11, s14
	s_abs_i32 s36, s31
	s_mov_b32 s15, s37
	s_add_co_i32 s14, s11, s14
	s_xor_b32 s21, s20, s21
	s_mul_u64 s[14:15], s[36:37], s[14:15]
	v_mul_u32_u24_e32 v5, 0x70, v1
	s_wait_kmcnt 0x0
	s_ashr_i32 s20, s4, 2
	v_cmp_gt_u32_e32 vcc_lo, 32, v1
	v_mul_lo_u32 v52, s20, v1
	v_dual_lshlrev_b32 v1, 2, v6 :: v_dual_lshlrev_b32 v7, 2, v4
	s_ashr_i32 s11, s3, 1
	s_mul_i32 s3, s15, s38
	s_load_b64 s[40:41], s[0:1], 0xa8
	s_sub_co_i32 s3, s36, s3
	v_lshl_add_u32 v3, v2, 3, v3
	v_add3_u32 v79, v5, v7, 64
	v_dual_lshrrev_b32 v5, 3, v72 :: v_dual_mov_b32 v57, 0
	s_ashr_i32 s29, s28, 31
	s_ashr_i32 s14, s26, 2
	s_add_co_i32 s4, s15, 1
	s_sub_co_i32 s26, s3, s38
	s_cmp_ge_u32 s3, s38
	v_lshl_add_u32 v5, v2, 2, v5
	s_cselect_b32 s4, s4, s15
	s_cselect_b32 s3, s26, s3
	v_mul_lo_u32 v58, s14, v3
	s_add_co_i32 s15, s4, 1
	s_cmp_ge_u32 s3, s38
	v_mul_lo_u32 v54, s20, v3
	s_cselect_b32 s3, s15, s4
	v_mul_lo_u32 v62, s14, v5
	s_xor_b32 s3, s3, s21
	v_mul_u32_u24_e32 v7, 0xc0, v3
	v_and_b32_e32 v60, 28, v61
	s_sub_co_i32 s3, s3, s21
	s_mul_u64 s[24:25], s[24:25], s[28:29]
	s_mul_i32 s4, s3, s5
	v_mad_u32 v82, v0, s11, v72
	v_mad_u32_u24 v80, 0x70, v3, v1
	v_dual_ashrrev_i32 v59, 31, v58 :: v_dual_bitop2_b32 v0, v7, v1 bitop3:0x54
	v_lshlrev_b32_e32 v1, 2, v60
	s_add_nc_u64 s[6:7], s[6:7], s[24:25]
	s_ashr_i32 s5, s4, 31
	s_wait_kmcnt 0x0
	s_mul_u64 s[36:37], s[40:41], s[28:29]
	s_add_nc_u64 s[24:25], s[6:7], s[4:5]
	s_movk_i32 s4, 0x180
	s_mul_i32 s26, s3, s27
	v_cmp_gt_u32_e64 s3, 32, v3
	v_mul_u32_u24_e32 v78, 0x70, v72
	v_dual_ashrrev_i32 v53, 31, v52 :: v_dual_ashrrev_i32 v55, 31, v54
	v_mad_u32_u24 v81, v2, s4, 0xe80
	v_lshl_add_u32 v83, v2, 7, 0x1a80
	v_cmp_gt_u32_e64 s4, 16, v3
	v_cmp_gt_u32_e64 s5, 16, v5
	v_dual_mov_b32 v75, 32 :: v_dual_add_nc_u32 v84, 0x80, v0
	v_mad_u32_u24 v85, 0xc0, v5, v1
	v_dual_ashrrev_i32 v63, 31, v62 :: v_dual_lshlrev_b32 v56, 2, v4
	v_dual_mov_b32 v93, 0xfeffffff :: v_dual_lshlrev_b32 v64, 2, v6
	v_dual_mov_b32 v77, v57 :: v_dual_mov_b32 v76, v57
	v_dual_mov_b32 v87, v57 :: v_dual_mov_b32 v86, v57
	v_dual_mov_b32 v94, 0xfeffffff :: v_dual_mov_b32 v51, v57
	v_mov_b32_e32 v50, v57
	s_add_nc_u64 s[8:9], s[8:9], s[36:37]
	s_ashr_i32 s27, s26, 31
	s_ashr_i32 s21, s20, 31
	s_add_nc_u64 s[26:27], s[8:9], s[26:27]
	s_ashr_i32 s15, s14, 31
	s_add_nc_u64 s[36:37], s[0:1], 0xd0
.LBB9_11:                               ; =>This Inner Loop Header: Depth=1
	s_ashr_i32 s11, s10, 31
	s_delay_alu instid0(SALU_CYCLE_1) | instskip(NEXT) | instid1(SALU_CYCLE_1)
	s_mul_u64 s[6:7], s[10:11], s[20:21]
	s_lshl_b64 s[6:7], s[6:7], 2
	s_delay_alu instid0(SALU_CYCLE_1) | instskip(NEXT) | instid1(SALU_CYCLE_1)
	s_add_nc_u64 s[6:7], s[24:25], s[6:7]
	v_lshl_add_u64 v[0:1], v[52:53], 2, s[6:7]
	s_and_saveexec_b32 s8, vcc_lo
	s_cbranch_execz .LBB9_13
; %bb.12:                               ;   in Loop: Header=BB9_11 Depth=1
	s_delay_alu instid0(VALU_DEP_1)
	v_add_nc_u64_e32 v[2:3], v[0:1], v[56:57]
	global_load_b128 v[2:5], v[2:3], off offset:64
	s_wait_loadcnt 0x0
	ds_store_b128 v79, v[2:5]
.LBB9_13:                               ;   in Loop: Header=BB9_11 Depth=1
	s_or_b32 exec_lo, exec_lo, s8
	v_lshl_add_u64 v[2:3], v[54:55], 2, s[6:7]
	s_and_saveexec_b32 s6, s3
	s_cbranch_execz .LBB9_15
; %bb.14:                               ;   in Loop: Header=BB9_11 Depth=1
	v_mov_b32_e32 v65, v57
	s_delay_alu instid0(VALU_DEP_1)
	v_add_nc_u64_e32 v[4:5], v[2:3], v[64:65]
	global_load_b128 v[4:7], v[4:5], off
	s_wait_loadcnt 0x0
	ds_store_b128 v80, v[4:7]
.LBB9_15:                               ;   in Loop: Header=BB9_11 Depth=1
	s_or_b32 exec_lo, exec_lo, s6
	s_wait_dscnt 0x0
	s_barrier_signal -1
	s_barrier_wait -1
	ds_load_b128 v[6:9], v78
	ds_load_b128 v[10:13], v81
	ds_load_b128 v[14:17], v81 offset:192
	v_dual_mov_b32 v5, 0 :: v_dual_mov_b32 v4, 0
	s_wait_dscnt 0x1
	;;#ASMSTART
	v_dot2_f32_f16 v5, v6, v10, v5
	;;#ASMEND
	;;#ASMSTART
	v_dot2_f32_f16 v5, v7, v11, v5
	;;#ASMEND
	;;#ASMSTART
	v_dot2_f32_f16 v5, v8, v12, v5
	;;#ASMEND
	;;#ASMSTART
	v_dot2_f32_f16 v5, v9, v13, v5
	;;#ASMEND
	s_wait_dscnt 0x0
	;;#ASMSTART
	v_dot2_f32_f16 v4, v6, v14, v4
	;;#ASMEND
	;;#ASMSTART
	v_dot2_f32_f16 v4, v7, v15, v4
	;;#ASMEND
	;;#ASMSTART
	v_dot2_f32_f16 v4, v8, v16, v4
	;;#ASMEND
	;;#ASMSTART
	v_dot2_f32_f16 v4, v9, v17, v4
	;;#ASMEND
	ds_load_b128 v[6:9], v78 offset:16
	ds_load_b128 v[10:13], v81 offset:16
	ds_load_b128 v[14:17], v81 offset:208
	s_wait_dscnt 0x1
	;;#ASMSTART
	v_dot2_f32_f16 v5, v6, v10, v5
	;;#ASMEND
	;;#ASMSTART
	v_dot2_f32_f16 v5, v7, v11, v5
	;;#ASMEND
	;;#ASMSTART
	v_dot2_f32_f16 v5, v8, v12, v5
	;;#ASMEND
	;;#ASMSTART
	v_dot2_f32_f16 v5, v9, v13, v5
	;;#ASMEND
	s_wait_dscnt 0x0
	;;#ASMSTART
	v_dot2_f32_f16 v4, v6, v14, v4
	;;#ASMEND
	;;#ASMSTART
	v_dot2_f32_f16 v4, v7, v15, v4
	;;#ASMEND
	;;#ASMSTART
	v_dot2_f32_f16 v4, v8, v16, v4
	;;#ASMEND
	;;#ASMSTART
	v_dot2_f32_f16 v4, v9, v17, v4
	;;#ASMEND
	ds_load_b128 v[6:9], v78 offset:32
	ds_load_b128 v[10:13], v81 offset:32
	ds_load_b128 v[14:17], v81 offset:224
	;; [unrolled: 29-line block ×5, first 2 shown]
	s_wait_dscnt 0x1
	;;#ASMSTART
	v_dot2_f32_f16 v5, v6, v10, v5
	;;#ASMEND
	;;#ASMSTART
	v_dot2_f32_f16 v5, v7, v11, v5
	;;#ASMEND
	;; [unrolled: 3-line block ×4, first 2 shown]
	s_wait_dscnt 0x0
	;;#ASMSTART
	v_dot2_f32_f16 v4, v6, v14, v4
	;;#ASMEND
	;;#ASMSTART
	v_dot2_f32_f16 v4, v7, v15, v4
	;;#ASMEND
	;; [unrolled: 3-line block ×4, first 2 shown]
	s_barrier_signal -1
	s_barrier_wait -1
	s_and_saveexec_b32 s6, vcc_lo
	s_cbranch_execz .LBB9_17
; %bb.16:                               ;   in Loop: Header=BB9_11 Depth=1
	v_add_nc_u64_e32 v[0:1], v[0:1], v[56:57]
	global_load_b128 v[6:9], v[0:1], off offset:160
	s_wait_loadcnt 0x0
	ds_store_b128 v79, v[6:9]
.LBB9_17:                               ;   in Loop: Header=BB9_11 Depth=1
	s_or_b32 exec_lo, exec_lo, s6
	s_and_saveexec_b32 s6, s3
	s_cbranch_execz .LBB9_19
; %bb.18:                               ;   in Loop: Header=BB9_11 Depth=1
	v_mov_b32_e32 v65, v57
	s_delay_alu instid0(VALU_DEP_1)
	v_add_nc_u64_e32 v[0:1], v[2:3], v[64:65]
	global_load_b128 v[0:3], v[0:1], off offset:96
	s_wait_loadcnt 0x0
	ds_store_b128 v80, v[0:3]
.LBB9_19:                               ;   in Loop: Header=BB9_11 Depth=1
	s_or_b32 exec_lo, exec_lo, s6
	s_wait_dscnt 0x0
	s_barrier_signal -1
	s_barrier_wait -1
	ds_load_b128 v[0:3], v78
	ds_load_b128 v[6:9], v81 offset:96
	ds_load_b128 v[10:13], v81 offset:288
	v_dual_add_nc_u32 v14, s10, v82 :: v_dual_bitop2_b32 v88, 16, v49 bitop3:0x14
	s_wait_dscnt 0x1
	;;#ASMSTART
	v_dot2_f32_f16 v5, v0, v6, v5
	;;#ASMEND
	;;#ASMSTART
	v_dot2_f32_f16 v5, v1, v7, v5
	;;#ASMEND
	;; [unrolled: 3-line block ×4, first 2 shown]
	s_wait_dscnt 0x0
	;;#ASMSTART
	v_dot2_f32_f16 v4, v0, v10, v4
	;;#ASMEND
	;;#ASMSTART
	v_dot2_f32_f16 v4, v1, v11, v4
	;;#ASMEND
	;; [unrolled: 3-line block ×4, first 2 shown]
	ds_load_b128 v[0:3], v78 offset:16
	ds_load_b128 v[6:9], v81 offset:112
	;; [unrolled: 1-line block ×3, first 2 shown]
	v_cmp_gt_i32_e64 s6, 32, v88
	s_wait_dscnt 0x1
	;;#ASMSTART
	v_dot2_f32_f16 v5, v0, v6, v5
	;;#ASMEND
	;;#ASMSTART
	v_dot2_f32_f16 v5, v1, v7, v5
	;;#ASMEND
	;;#ASMSTART
	v_dot2_f32_f16 v5, v2, v8, v5
	;;#ASMEND
	;;#ASMSTART
	v_dot2_f32_f16 v5, v3, v9, v5
	;;#ASMEND
	s_wait_dscnt 0x0
	;;#ASMSTART
	v_dot2_f32_f16 v4, v0, v10, v4
	;;#ASMEND
	;;#ASMSTART
	v_dot2_f32_f16 v4, v1, v11, v4
	;;#ASMEND
	;;#ASMSTART
	v_dot2_f32_f16 v4, v2, v12, v4
	;;#ASMEND
	;;#ASMSTART
	v_dot2_f32_f16 v4, v3, v13, v4
	;;#ASMEND
	ds_load_b128 v[0:3], v78 offset:32
	ds_load_b128 v[6:9], v81 offset:128
	ds_load_b128 v[10:13], v81 offset:320
	s_wait_dscnt 0x1
	;;#ASMSTART
	v_dot2_f32_f16 v5, v0, v6, v5
	;;#ASMEND
	;;#ASMSTART
	v_dot2_f32_f16 v5, v1, v7, v5
	;;#ASMEND
	;;#ASMSTART
	v_dot2_f32_f16 v5, v2, v8, v5
	;;#ASMEND
	;;#ASMSTART
	v_dot2_f32_f16 v5, v3, v9, v5
	;;#ASMEND
	s_wait_dscnt 0x0
	;;#ASMSTART
	v_dot2_f32_f16 v4, v0, v10, v4
	;;#ASMEND
	;;#ASMSTART
	v_dot2_f32_f16 v4, v1, v11, v4
	;;#ASMEND
	;;#ASMSTART
	v_dot2_f32_f16 v4, v2, v12, v4
	;;#ASMEND
	;;#ASMSTART
	v_dot2_f32_f16 v4, v3, v13, v4
	;;#ASMEND
	ds_load_b128 v[0:3], v78 offset:48
	ds_load_b128 v[6:9], v81 offset:144
	ds_load_b128 v[10:13], v81 offset:336
	;; [unrolled: 29-line block ×4, first 2 shown]
	s_wait_dscnt 0x1
	;;#ASMSTART
	v_dot2_f32_f16 v5, v0, v6, v5
	;;#ASMEND
	;;#ASMSTART
	v_dot2_f32_f16 v5, v1, v7, v5
	;;#ASMEND
	;; [unrolled: 3-line block ×4, first 2 shown]
	s_wait_dscnt 0x0
	;;#ASMSTART
	v_dot2_f32_f16 v4, v0, v10, v4
	;;#ASMEND
	;;#ASMSTART
	v_dot2_f32_f16 v4, v1, v11, v4
	;;#ASMEND
	;; [unrolled: 3-line block ×4, first 2 shown]
	global_load_u16 v0, v14, s[34:35] scale_offset
	v_max_num_f32_e32 v2, v93, v93
	v_dual_cndmask_b32 v3, v49, v88, s6 :: v_dual_bitop2_b32 v89, 8, v49 bitop3:0x14
	s_wait_loadcnt 0x0
	s_barrier_signal -1
	s_barrier_wait -1
	s_delay_alu instid0(VALU_DEP_1) | instskip(SKIP_2) | instid1(VALU_DEP_1)
	v_cmp_gt_i32_e64 s6, 32, v89
	v_dual_lshlrev_b32 v3, 2, v3 :: v_dual_bitop2_b32 v90, 4, v49 bitop3:0x14
	v_cvt_f32_f16_e32 v0, v0
	v_dual_add_f32 v1, v5, v0 :: v_dual_add_f32 v0, v4, v0
	s_delay_alu instid0(VALU_DEP_1) | instskip(NEXT) | instid1(VALU_DEP_2)
	v_dual_max_num_f32 v5, v94, v94 :: v_dual_add_f32 v4, 0x40051340, v1
	v_add_f32_e32 v6, 0x40051340, v0
	s_delay_alu instid0(VALU_DEP_1)
	v_dual_max_num_f32 v2, v2, v4 :: v_dual_max_num_f32 v4, v5, v6
	ds_bpermute_b32 v5, v3, v2
	ds_bpermute_b32 v3, v3, v4
	v_cndmask_b32_e64 v6, v49, v89, s6
	v_cmp_gt_i32_e64 s6, 32, v90
	s_wait_dscnt 0x0
	v_dual_max_num_f32 v5, v5, v5 :: v_dual_max_num_f32 v3, v3, v3
	s_delay_alu instid0(VALU_DEP_1) | instskip(NEXT) | instid1(VALU_DEP_2)
	v_dual_lshlrev_b32 v6, 2, v6 :: v_dual_max_num_f32 v2, v2, v5
	v_max_num_f32_e32 v3, v4, v3
	ds_bpermute_b32 v4, v6, v2
	ds_bpermute_b32 v5, v6, v3
	s_wait_dscnt 0x1
	v_dual_cndmask_b32 v6, v49, v90, s6 :: v_dual_max_num_f32 v4, v4, v4
	s_wait_dscnt 0x0
	s_delay_alu instid0(VALU_DEP_1) | instskip(NEXT) | instid1(VALU_DEP_1)
	v_dual_max_num_f32 v5, v5, v5 :: v_dual_lshlrev_b32 v6, 2, v6
	v_dual_max_num_f32 v2, v2, v4 :: v_dual_max_num_f32 v3, v3, v5
	ds_bpermute_b32 v4, v6, v2
	ds_bpermute_b32 v5, v6, v3
	s_wait_dscnt 0x1
	v_dual_max_num_f32 v4, v4, v4 :: v_dual_bitop2_b32 v91, 2, v49 bitop3:0x14
	s_delay_alu instid0(VALU_DEP_1) | instskip(NEXT) | instid1(VALU_DEP_1)
	v_cmp_gt_i32_e64 s6, 32, v91
	v_dual_max_num_f32 v2, v2, v4 :: v_dual_cndmask_b32 v6, v49, v91, s6
	s_wait_dscnt 0x0
	s_delay_alu instid0(VALU_DEP_1) | instskip(SKIP_3) | instid1(VALU_DEP_1)
	v_dual_max_num_f32 v5, v5, v5 :: v_dual_lshlrev_b32 v6, 2, v6
	ds_bpermute_b32 v4, v6, v2
	s_wait_dscnt 0x0
	v_dual_max_num_f32 v4, v4, v4 :: v_dual_bitop2_b32 v92, 1, v49 bitop3:0x14
	v_cmp_gt_i32_e64 s6, 32, v92
	v_max_num_f32_e32 v3, v3, v5
	ds_bpermute_b32 v5, v6, v3
	v_cndmask_b32_e64 v6, v49, v92, s6
	s_wait_dscnt 0x0
	s_delay_alu instid0(VALU_DEP_1) | instskip(NEXT) | instid1(VALU_DEP_1)
	v_dual_max_num_f32 v5, v5, v5 :: v_dual_lshlrev_b32 v6, 2, v6
	v_dual_max_num_f32 v2, v2, v4 :: v_dual_max_num_f32 v3, v3, v5
	ds_bpermute_b32 v4, v6, v2
	ds_bpermute_b32 v5, v6, v3
	s_wait_dscnt 0x0
	v_dual_max_num_f32 v4, v4, v4 :: v_dual_max_num_f32 v5, v5, v5
	s_delay_alu instid0(VALU_DEP_1) | instskip(NEXT) | instid1(VALU_DEP_1)
	v_dual_max_num_f32 v66, v2, v4 :: v_dual_max_num_f32 v67, v3, v5
	v_dual_sub_f32 v1, v1, v66 :: v_dual_sub_f32 v0, v0, v67
	s_delay_alu instid0(VALU_DEP_1) | instskip(SKIP_1) | instid1(VALU_DEP_3)
	v_mul_f32_e32 v2, 0x3fb8aa3b, v1
	v_cmp_ngt_f32_e64 s6, 0xc2ce8ed0, v1
	v_mul_f32_e32 v3, 0x3fb8aa3b, v0
	s_delay_alu instid0(VALU_DEP_3) | instskip(SKIP_1) | instid1(VALU_DEP_3)
	v_fma_f32 v4, 0x3fb8aa3b, v1, -v2
	v_rndne_f32_e32 v5, v2
	v_fma_f32 v6, 0x3fb8aa3b, v0, -v3
	v_rndne_f32_e32 v7, v3
	s_delay_alu instid0(VALU_DEP_4) | instskip(NEXT) | instid1(VALU_DEP_2)
	v_fmac_f32_e32 v4, 0x32a5705f, v1
	v_dual_fmac_f32 v6, 0x32a5705f, v0 :: v_dual_sub_f32 v3, v3, v7
	s_delay_alu instid0(VALU_DEP_1) | instskip(NEXT) | instid1(VALU_DEP_1)
	v_dual_sub_f32 v2, v2, v5 :: v_dual_add_f32 v3, v3, v6
	v_add_f32_e32 v2, v2, v4
	v_cvt_i32_f32_e32 v4, v5
	v_cvt_i32_f32_e32 v5, v7
	s_delay_alu instid0(VALU_DEP_4) | instskip(NEXT) | instid1(VALU_DEP_3)
	v_exp_f32_e32 v3, v3
	v_exp_f32_e32 v2, v2
	s_delay_alu instid0(TRANS32_DEP_2) | instskip(NEXT) | instid1(TRANS32_DEP_1)
	v_ldexp_f32 v3, v3, v5
	v_ldexp_f32 v2, v2, v4
	s_delay_alu instid0(VALU_DEP_1) | instskip(SKIP_1) | instid1(VALU_DEP_1)
	v_cndmask_b32_e64 v2, 0, v2, s6
	v_cmp_ngt_f32_e64 s6, 0xc2ce8ed0, v0
	v_cndmask_b32_e64 v3, 0, v3, s6
	v_cmp_nlt_f32_e64 s6, 0x42b17218, v1
	s_delay_alu instid0(VALU_DEP_1) | instskip(SKIP_2) | instid1(VALU_DEP_2)
	v_cndmask_b32_e64 v68, 0x7f800000, v2, s6
	v_cmp_nlt_f32_e64 s6, 0x42b17218, v0
	v_add_nc_u32_e32 v0, v83, v61
	v_cndmask_b32_e64 v69, 0x7f800000, v3, s6
	s_mul_u64 s[6:7], s[10:11], s[14:15]
	s_delay_alu instid0(SALU_CYCLE_1) | instskip(NEXT) | instid1(VALU_DEP_1)
	s_lshl_b64 s[6:7], s[6:7], 2
	v_cvt_pk_f16_f32 v1, v68, v69
	s_add_nc_u64 s[6:7], s[26:27], s[6:7]
	ds_store_b32 v0, v1
	s_wait_xcnt 0x0
	s_and_saveexec_b32 s8, s4
	s_cbranch_execz .LBB9_21
; %bb.20:                               ;   in Loop: Header=BB9_11 Depth=1
	v_lshl_add_u64 v[0:1], v[58:59], 2, s[6:7]
	v_mov_b32_e32 v65, v57
	s_delay_alu instid0(VALU_DEP_1)
	v_add_nc_u64_e32 v[0:1], v[0:1], v[64:65]
	global_load_b128 v[0:3], v[0:1], off offset:128
	s_wait_loadcnt 0x0
	ds_store_b128 v84, v[0:3]
.LBB9_21:                               ;   in Loop: Header=BB9_11 Depth=1
	s_or_b32 exec_lo, exec_lo, s8
	v_lshlrev_b32_e32 v70, 2, v60
	s_and_saveexec_b32 s8, s5
	s_cbranch_execz .LBB9_23
; %bb.22:                               ;   in Loop: Header=BB9_11 Depth=1
	v_lshl_add_u64 v[0:1], v[62:63], 2, s[6:7]
	v_mov_b32_e32 v71, v57
	s_delay_alu instid0(VALU_DEP_1)
	v_add_nc_u64_e32 v[0:1], v[0:1], v[70:71]
	global_load_b128 v[0:3], v[0:1], off
	s_wait_loadcnt 0x0
	ds_store_b128 v85, v[0:3]
.LBB9_23:                               ;   in Loop: Header=BB9_11 Depth=1
	s_or_b32 exec_lo, exec_lo, s8
	v_add_nc_u32_e32 v96, 0x400, v74
	v_add_nc_u32_e32 v95, 0x800, v74
	s_wait_dscnt 0x0
	s_barrier_signal -1
	s_barrier_wait -1
	ds_load_2addr_b64 v[28:31], v74 offset1:24
	ds_load_b128 v[44:47], v83
	ds_load_b128 v[40:43], v83 offset:16
	ds_load_b128 v[36:39], v83 offset:32
	;; [unrolled: 1-line block ×3, first 2 shown]
	ds_load_2addr_b64 v[24:27], v74 offset0:48 offset1:72
	v_dual_sub_f32 v97, v93, v66 :: v_dual_sub_f32 v93, v94, v67
	ds_load_2addr_b64 v[32:35], v74 offset0:96 offset1:120
	ds_load_2addr_b64 v[20:23], v74 offset0:144 offset1:168
	ds_load_2addr_b64 v[16:19], v74 offset0:192 offset1:216
	ds_load_2addr_b64 v[12:15], v96 offset0:112 offset1:136
	ds_load_2addr_b64 v[8:11], v95 offset0:32 offset1:56
	ds_load_2addr_b64 v[4:7], v95 offset0:80 offset1:104
	s_or_b32 s38, s10, 16
	s_wait_dscnt 0x0
	s_ashr_i32 s39, s38, 31
	v_cmp_ngt_f32_e64 s7, 0xc2ce8ed0, v97
	s_mul_u64 s[38:39], s[38:39], s[14:15]
	v_cmp_nlt_f32_e64 s6, 0x42b17218, v97
	v_cmp_ngt_f32_e64 s8, 0xc2ce8ed0, v93
	v_cmp_nlt_f32_e64 s9, 0x42b17218, v93
	s_lshl_b64 s[38:39], s[38:39], 2
	s_barrier_signal -1
	s_add_nc_u64 s[38:39], s[26:27], s[38:39]
	s_barrier_wait -1
	s_and_saveexec_b32 s11, s4
	s_cbranch_execz .LBB9_25
; %bb.24:                               ;   in Loop: Header=BB9_11 Depth=1
	v_lshl_add_u64 v[98:99], v[58:59], 2, s[38:39]
	v_mov_b32_e32 v65, v57
	s_delay_alu instid0(VALU_DEP_1)
	v_add_nc_u64_e32 v[98:99], v[98:99], v[64:65]
	global_load_b128 v[98:101], v[98:99], off offset:128
	s_wait_loadcnt 0x0
	ds_store_b128 v84, v[98:101]
.LBB9_25:                               ;   in Loop: Header=BB9_11 Depth=1
	s_or_b32 exec_lo, exec_lo, s11
	s_and_saveexec_b32 s11, s5
	s_cbranch_execz .LBB9_27
; %bb.26:                               ;   in Loop: Header=BB9_11 Depth=1
	v_lshl_add_u64 v[98:99], v[62:63], 2, s[38:39]
	v_mov_b32_e32 v71, v57
	s_delay_alu instid0(VALU_DEP_1)
	v_add_nc_u64_e32 v[70:71], v[98:99], v[70:71]
	global_load_b128 v[98:101], v[70:71], off
	s_wait_loadcnt 0x0
	ds_store_b128 v85, v[98:101]
.LBB9_27:                               ;   in Loop: Header=BB9_11 Depth=1
	s_or_b32 exec_lo, exec_lo, s11
	v_dual_mul_f32 v65, 0x3fb8aa3b, v97 :: v_dual_lshrrev_b32 v100, 16, v44
	v_and_b32_e32 v101, 0xffff, v40
	v_and_b32_e32 v103, 0xffff, v43
	;; [unrolled: 1-line block ×3, first 2 shown]
	s_delay_alu instid0(VALU_DEP_4)
	v_rndne_f32_e32 v94, v65
	v_mul_f32_e32 v70, 0x3fb8aa3b, v93
	v_fma_f32 v71, 0x3fb8aa3b, v97, -v65
	v_mul_u32_u24_e32 v101, 0x10001, v101
	v_mul_u32_u24_e32 v44, 0x10001, v44
	v_sub_f32_e32 v65, v65, v94
	v_fma_f32 v98, 0x3fb8aa3b, v93, -v70
	v_rndne_f32_e32 v99, v70
	v_fmac_f32_e32 v71, 0x32a5705f, v97
	v_cvt_i32_f32_e32 v94, v94
	v_pk_mul_f16 v109, v28, v44
	v_lshrrev_b32_e32 v97, 16, v47
	v_sub_f32_e32 v70, v70, v99
	v_dual_fmac_f32 v98, 0x32a5705f, v93 :: v_dual_add_f32 v65, v65, v71
	v_lshrrev_b32_e32 v93, 16, v45
	v_and_b32_e32 v45, 0xffff, v45
	v_lshrrev_b32_e32 v71, 16, v46
	s_delay_alu instid0(VALU_DEP_4)
	v_add_f32_e32 v70, v70, v98
	v_exp_f32_e32 v65, v65
	v_cvt_i32_f32_e32 v98, v99
	v_lshrrev_b32_e32 v99, 16, v40
	v_and_b32_e32 v46, 0xffff, v46
	v_exp_f32_e32 v70, v70
	v_mul_u32_u24_e32 v45, 0x10001, v45
	v_mul_u32_u24_e32 v93, 0x10001, v93
	v_ldexp_f32 v40, v65, v94
	v_and_b32_e32 v94, 0xffff, v41
	v_and_b32_e32 v47, 0xffff, v47
	v_mul_u32_u24_e32 v46, 0x10001, v46
	v_ldexp_f32 v65, v70, v98
	v_dual_lshrrev_b32 v70, 16, v41 :: v_dual_lshrrev_b32 v98, 16, v42
	v_dual_cndmask_b32 v40, 0, v40, s7 :: v_dual_lshrrev_b32 v43, 16, v43
	s_delay_alu instid0(VALU_DEP_3) | instskip(SKIP_2) | instid1(VALU_DEP_4)
	v_cndmask_b32_e64 v41, 0, v65, s8
	v_mul_u32_u24_e32 v65, 0x10001, v100
	v_mul_u32_u24_e32 v71, 0x10001, v71
	v_cndmask_b32_e64 v40, 0x7f800000, v40, s6
	v_mul_u32_u24_e32 v47, 0x10001, v47
	v_cndmask_b32_e64 v41, 0x7f800000, v41, s9
	v_pk_mul_f16 v28, v28, v65
	v_mul_u32_u24_e32 v97, 0x10001, v97
	v_cvt_f16_f32_e32 v100, v40
	v_mul_u32_u24_e32 v99, 0x10001, v99
	v_cvt_f16_f32_e32 v102, v41
	v_and_b32_e32 v42, 0xffff, v42
	v_mul_u32_u24_e32 v94, 0x10001, v94
	v_and_b32_e32 v100, 0xffff, v100
	v_mul_u32_u24_e32 v70, 0x10001, v70
	v_and_b32_e32 v102, 0xffff, v102
	v_mul_u32_u24_e32 v42, 0x10001, v42
	v_mul_u32_u24_e32 v98, 0x10001, v98
	v_mul_u32_u24_e32 v100, 0x10001, v100
	v_and_b32_e32 v104, 0xffff, v36
	v_mul_u32_u24_e32 v102, 0x10001, v102
	v_lshrrev_b32_e32 v36, 16, v36
	v_mul_u32_u24_e32 v103, 0x10001, v103
	v_pk_mul_f16 v87, v87, v100
	v_pk_fma_f16 v86, v86, v100, v109
	v_pk_mul_f16 v77, v77, v102
	v_pk_fma_f16 v28, v76, v102, v28
	v_mul_u32_u24_e32 v43, 0x10001, v43
	v_pk_fma_f16 v44, v29, v44, v87
	v_and_b32_e32 v105, 0xffff, v37
	v_pk_fma_f16 v29, v29, v65, v77
	v_pk_fma_f16 v65, v30, v45, v86
	;; [unrolled: 1-line block ×4, first 2 shown]
	v_mul_u32_u24_e32 v104, 0x10001, v104
	v_pk_fma_f16 v29, v31, v93, v29
	v_pk_fma_f16 v31, v24, v46, v65
	;; [unrolled: 1-line block ×4, first 2 shown]
	v_lshrrev_b32_e32 v37, 16, v37
	v_pk_fma_f16 v25, v25, v71, v29
	v_pk_fma_f16 v29, v26, v47, v31
	;; [unrolled: 1-line block ×4, first 2 shown]
	v_mul_u32_u24_e32 v36, 0x10001, v36
	v_pk_fma_f16 v25, v27, v97, v25
	v_pk_fma_f16 v27, v32, v101, v29
	;; [unrolled: 1-line block ×4, first 2 shown]
	v_mul_u32_u24_e32 v105, 0x10001, v105
	v_pk_fma_f16 v25, v33, v99, v25
	v_pk_fma_f16 v27, v34, v94, v27
	v_pk_fma_f16 v24, v34, v70, v24
	v_pk_fma_f16 v26, v35, v94, v26
	v_and_b32_e32 v106, 0xffff, v38
	v_pk_fma_f16 v25, v35, v70, v25
	v_pk_fma_f16 v27, v20, v42, v27
	;; [unrolled: 1-line block ×4, first 2 shown]
	v_lshrrev_b32_e32 v26, 16, v2
	v_pk_fma_f16 v21, v21, v98, v25
	v_pk_fma_f16 v25, v22, v103, v27
	;; [unrolled: 1-line block ×4, first 2 shown]
	v_and_b32_e32 v2, 0xffff, v2
	v_pk_fma_f16 v21, v23, v43, v21
	v_lshrrev_b32_e32 v38, 16, v38
	v_mul_u32_u24_e32 v37, 0x10001, v37
	v_pk_fma_f16 v23, v16, v104, v25
	v_pk_fma_f16 v16, v16, v36, v20
	v_pk_fma_f16 v20, v17, v104, v22
	v_mul_u32_u24_e32 v22, 0x10001, v2
	v_pk_fma_f16 v2, v17, v36, v21
	v_and_b32_e32 v107, 0xffff, v39
	v_lshrrev_b32_e32 v39, 16, v39
	v_mul_u32_u24_e32 v106, 0x10001, v106
	v_mul_u32_u24_e32 v38, 0x10001, v38
	v_pk_fma_f16 v17, v18, v105, v23
	v_pk_fma_f16 v16, v18, v37, v16
	;; [unrolled: 1-line block ×4, first 2 shown]
	v_mul_u32_u24_e32 v107, 0x10001, v107
	v_mul_u32_u24_e32 v39, 0x10001, v39
	v_dual_lshrrev_b32 v108, 16, v0 :: v_dual_lshrrev_b32 v30, 16, v1
	v_and_b32_e32 v0, 0xffff, v0
	v_pk_fma_f16 v17, v12, v106, v17
	v_pk_fma_f16 v12, v12, v38, v16
	;; [unrolled: 1-line block ×4, first 2 shown]
	v_mul_u32_u24_e32 v0, 0x10001, v0
	v_mul_u32_u24_e32 v44, 0x10001, v108
	v_and_b32_e32 v1, 0xffff, v1
	v_pk_fma_f16 v13, v14, v107, v17
	v_pk_fma_f16 v12, v14, v39, v12
	;; [unrolled: 1-line block ×3, first 2 shown]
	s_wait_dscnt 0x0
	s_barrier_signal -1
	s_barrier_wait -1
	ds_load_b128 v[16:19], v83 offset:64
	v_pk_fma_f16 v2, v15, v39, v2
	v_mul_u32_u24_e32 v1, 0x10001, v1
	v_mul_u32_u24_e32 v28, 0x10001, v30
	v_lshrrev_b32_e32 v21, 16, v3
	v_and_b32_e32 v3, 0xffff, v3
	v_pk_fma_f16 v13, v8, v0, v13
	v_pk_fma_f16 v8, v8, v44, v12
	;; [unrolled: 1-line block ×4, first 2 shown]
	v_mul_u32_u24_e32 v12, 0x10001, v3
	v_pk_fma_f16 v9, v10, v1, v13
	v_pk_fma_f16 v8, v10, v28, v8
	;; [unrolled: 1-line block ×4, first 2 shown]
	ds_load_2addr_b64 v[0:3], v74 offset1:24
	v_mul_u32_u24_e32 v20, 0x10001, v26
	v_pk_fma_f16 v9, v4, v22, v9
	v_mul_u32_u24_e32 v13, 0x10001, v21
	v_pk_fma_f16 v14, v5, v22, v10
	v_pk_fma_f32 v[50:51], v[50:51], v[40:41], v[68:69]
	v_pk_fma_f16 v4, v4, v20, v8
	v_pk_fma_f16 v5, v5, v20, v11
	;; [unrolled: 1-line block ×3, first 2 shown]
	ds_load_b128 v[8:11], v83 offset:80
	s_wait_dscnt 0x2
	v_and_b32_e32 v15, 0xffff, v16
	v_lshrrev_b32_e32 v16, 16, v16
	v_pk_fma_f16 v25, v6, v13, v4
	v_pk_fma_f16 v26, v7, v12, v14
	;; [unrolled: 1-line block ×3, first 2 shown]
	v_mul_u32_u24_e32 v28, 0x10001, v15
	v_and_b32_e32 v29, 0xffff, v17
	v_lshrrev_b32_e32 v17, 16, v17
	v_mul_u32_u24_e32 v16, 0x10001, v16
	ds_load_2addr_b64 v[4:7], v74 offset0:48 offset1:72
	ds_load_b128 v[12:15], v83 offset:96
	ds_load_b128 v[20:23], v83 offset:112
	s_wait_dscnt 0x4
	v_pk_fma_f16 v24, v0, v28, v24
	v_mul_u32_u24_e32 v29, 0x10001, v29
	v_mul_u32_u24_e32 v17, 0x10001, v17
	v_pk_fma_f16 v0, v0, v16, v25
	v_pk_fma_f16 v25, v1, v28, v26
	;; [unrolled: 1-line block ×4, first 2 shown]
	v_and_b32_e32 v24, 0xffff, v18
	v_lshrrev_b32_e32 v18, 16, v18
	v_pk_fma_f16 v26, v2, v17, v0
	v_pk_fma_f16 v25, v3, v29, v25
	;; [unrolled: 1-line block ×3, first 2 shown]
	ds_load_2addr_b64 v[0:3], v74 offset0:96 offset1:120
	v_mul_u32_u24_e32 v24, 0x10001, v24
	v_and_b32_e32 v27, 0xffff, v19
	v_lshrrev_b32_e32 v19, 16, v19
	v_mul_u32_u24_e32 v18, 0x10001, v18
	s_wait_dscnt 0x3
	v_pk_fma_f16 v16, v4, v24, v16
	v_pk_fma_f16 v24, v5, v24, v25
	v_mul_u32_u24_e32 v25, 0x10001, v27
	v_pk_fma_f16 v4, v4, v18, v26
	v_mul_u32_u24_e32 v26, 0x10001, v19
	v_pk_fma_f16 v5, v5, v18, v17
	v_and_b32_e32 v17, 0xffff, v8
	v_lshrrev_b32_e32 v8, 16, v8
	v_pk_fma_f16 v27, v6, v25, v16
	v_pk_fma_f16 v4, v6, v26, v4
	;; [unrolled: 1-line block ×3, first 2 shown]
	v_mul_u32_u24_e32 v24, 0x10001, v17
	v_and_b32_e32 v25, 0xffff, v9
	ds_load_2addr_b64 v[16:19], v74 offset0:144 offset1:168
	v_pk_fma_f16 v5, v7, v26, v5
	v_lshrrev_b32_e32 v7, 16, v9
	v_mul_u32_u24_e32 v8, 0x10001, v8
	s_wait_dscnt 0x1
	v_pk_fma_f16 v9, v0, v24, v27
	v_mul_u32_u24_e32 v25, 0x10001, v25
	s_delay_alu instid0(VALU_DEP_3)
	v_pk_fma_f16 v0, v0, v8, v4
	v_pk_fma_f16 v4, v1, v24, v6
	v_mul_u32_u24_e32 v6, 0x10001, v7
	v_pk_fma_f16 v1, v1, v8, v5
	v_pk_fma_f16 v5, v2, v25, v9
	v_and_b32_e32 v7, 0xffff, v10
	v_lshrrev_b32_e32 v8, 16, v10
	v_pk_fma_f16 v9, v2, v6, v0
	v_pk_fma_f16 v4, v3, v25, v4
	;; [unrolled: 1-line block ×3, first 2 shown]
	ds_load_2addr_b64 v[0:3], v74 offset0:192 offset1:216
	v_mul_u32_u24_e32 v7, 0x10001, v7
	v_and_b32_e32 v10, 0xffff, v11
	v_lshrrev_b32_e32 v11, 16, v11
	v_mul_u32_u24_e32 v8, 0x10001, v8
	s_wait_dscnt 0x1
	v_pk_fma_f16 v5, v16, v7, v5
	v_pk_fma_f16 v4, v17, v7, v4
	v_mul_u32_u24_e32 v7, 0x10001, v10
	v_pk_fma_f16 v9, v16, v8, v9
	v_mul_u32_u24_e32 v10, 0x10001, v11
	v_pk_fma_f16 v8, v17, v8, v6
	v_and_b32_e32 v6, 0xffff, v12
	v_lshrrev_b32_e32 v11, 16, v12
	v_pk_fma_f16 v12, v18, v7, v5
	v_pk_fma_f16 v9, v18, v10, v9
	;; [unrolled: 1-line block ×3, first 2 shown]
	v_mul_u32_u24_e32 v17, 0x10001, v6
	v_and_b32_e32 v18, 0xffff, v13
	ds_load_2addr_b64 v[4:7], v96 offset0:112 offset1:136
	v_pk_fma_f16 v8, v19, v10, v8
	v_lshrrev_b32_e32 v10, 16, v13
	v_mul_u32_u24_e32 v11, 0x10001, v11
	s_wait_dscnt 0x1
	v_pk_fma_f16 v12, v0, v17, v12
	v_pk_fma_f16 v13, v1, v17, v16
	v_mul_u32_u24_e32 v16, 0x10001, v10
	v_pk_fma_f16 v0, v0, v11, v9
	v_mul_u32_u24_e32 v9, 0x10001, v18
	v_pk_fma_f16 v1, v1, v11, v8
	v_and_b32_e32 v8, 0xffff, v14
	v_lshrrev_b32_e32 v14, 16, v14
	v_pk_fma_f16 v0, v2, v16, v0
	v_pk_fma_f16 v12, v2, v9, v12
	;; [unrolled: 1-line block ×3, first 2 shown]
	v_mul_u32_u24_e32 v13, 0x10001, v8
	ds_load_2addr_b64 v[8:11], v95 offset0:32 offset1:56
	v_pk_fma_f16 v1, v3, v16, v1
	v_and_b32_e32 v3, 0xffff, v15
	v_lshrrev_b32_e32 v15, 16, v15
	v_mul_u32_u24_e32 v14, 0x10001, v14
	s_wait_dscnt 0x1
	v_pk_fma_f16 v12, v4, v13, v12
	v_pk_fma_f16 v2, v5, v13, v2
	v_mul_u32_u24_e32 v3, 0x10001, v3
	v_and_b32_e32 v13, 0xffff, v20
	v_pk_fma_f16 v0, v4, v14, v0
	v_mul_u32_u24_e32 v4, 0x10001, v15
	v_lshrrev_b32_e32 v15, 16, v20
	v_pk_fma_f16 v1, v5, v14, v1
	v_pk_fma_f16 v5, v6, v3, v12
	v_lshrrev_b32_e32 v14, 16, v21
	v_pk_fma_f16 v0, v6, v4, v0
	v_mul_u32_u24_e32 v12, 0x10001, v15
	v_mul_u32_u24_e32 v6, 0x10001, v13
	v_pk_fma_f16 v13, v7, v3, v2
	v_pk_fma_f16 v4, v7, v4, v1
	s_wait_dscnt 0x0
	v_pk_fma_f16 v7, v8, v12, v0
	ds_load_2addr_b64 v[0:3], v95 offset0:80 offset1:104
	s_wait_dscnt 0x0
	s_barrier_signal -1
	s_barrier_wait -1
	s_load_b32 s6, s[36:37], 0x4
	v_pk_fma_f16 v5, v8, v6, v5
	v_and_b32_e32 v8, 0xffff, v21
	v_pk_fma_f16 v6, v9, v6, v13
	v_pk_fma_f16 v4, v9, v12, v4
	v_mul_u32_u24_e32 v9, 0x10001, v14
	v_and_b32_e32 v12, 0xffff, v22
	v_mul_u32_u24_e32 v8, 0x10001, v8
	v_lshrrev_b32_e32 v13, 16, v22
	s_delay_alu instid0(VALU_DEP_4) | instskip(SKIP_1) | instid1(VALU_DEP_4)
	v_pk_fma_f16 v7, v10, v9, v7
	v_pk_fma_f16 v4, v11, v9, v4
	;; [unrolled: 1-line block ×4, first 2 shown]
	v_mul_u32_u24_e32 v8, 0x10001, v12
	v_mul_u32_u24_e32 v10, 0x10001, v13
	v_and_b32_e32 v12, 0xffff, v23
	v_lshrrev_b32_e32 v13, 16, v23
	s_delay_alu instid0(VALU_DEP_4) | instskip(NEXT) | instid1(VALU_DEP_4)
	v_pk_fma_f16 v5, v0, v8, v5
	v_pk_fma_f16 v0, v0, v10, v7
	s_delay_alu instid0(VALU_DEP_4) | instskip(NEXT) | instid1(VALU_DEP_4)
	v_mul_u32_u24_e32 v7, 0x10001, v12
	v_mul_u32_u24_e32 v9, 0x10001, v13
	v_pk_fma_f16 v6, v1, v8, v6
	v_pk_fma_f16 v1, v1, v10, v4
	s_wait_kmcnt 0x0
	s_lshl_b32 s6, s6, 5
	v_pk_fma_f16 v86, v2, v7, v5
	v_pk_fma_f16 v76, v2, v9, v0
	;; [unrolled: 1-line block ×4, first 2 shown]
	s_add_co_i32 s10, s6, s10
	s_delay_alu instid0(SALU_CYCLE_1)
	s_cmp_ge_i32 s10, s30
	s_cbranch_scc1 .LBB9_29
; %bb.28:                               ;   in Loop: Header=BB9_11 Depth=1
	v_dual_mov_b32 v93, v66 :: v_dual_mov_b32 v94, v67
	s_branch .LBB9_11
.LBB9_29:
	v_mov_b32_e32 v1, v49
.LBB9_30:
	v_cmp_lt_i32_e32 vcc_lo, v88, v75
	s_cmp_lg_u64 s[12:13], 0
	s_cselect_b32 s3, -1, 0
	s_cmp_eq_u32 s33, 0
	v_cndmask_b32_e32 v0, v1, v88, vcc_lo
	v_cmp_lt_i32_e32 vcc_lo, v89, v75
	s_cselect_b32 s4, -1, 0
	s_delay_alu instid0(SALU_CYCLE_1) | instskip(NEXT) | instid1(VALU_DEP_2)
	s_and_b32 s3, s4, s3
	v_lshlrev_b32_e32 v0, 2, v0
	ds_bpermute_b32 v2, v0, v50
	ds_bpermute_b32 v3, v0, v51
	v_cndmask_b32_e32 v0, v1, v89, vcc_lo
	v_cmp_lt_i32_e32 vcc_lo, v90, v75
	s_delay_alu instid0(VALU_DEP_2)
	v_lshlrev_b32_e32 v0, 2, v0
	s_wait_dscnt 0x0
	v_pk_add_f32 v[2:3], v[50:51], v[2:3]
	ds_bpermute_b32 v4, v0, v2
	ds_bpermute_b32 v5, v0, v3
	v_cndmask_b32_e32 v0, v1, v90, vcc_lo
	v_cmp_lt_i32_e32 vcc_lo, v91, v75
	s_delay_alu instid0(VALU_DEP_2)
	v_lshlrev_b32_e32 v0, 2, v0
	s_wait_dscnt 0x0
	v_pk_add_f32 v[2:3], v[2:3], v[4:5]
	;; [unrolled: 8-line block ×3, first 2 shown]
	ds_bpermute_b32 v4, v0, v2
	ds_bpermute_b32 v5, v0, v3
	v_cndmask_b32_e32 v0, v1, v92, vcc_lo
	s_and_b32 vcc_lo, exec_lo, s3
	s_delay_alu instid0(VALU_DEP_1)
	v_lshlrev_b32_e32 v6, 2, v0
	s_wait_dscnt 0x0
	v_pk_add_f32 v[0:1], v[2:3], v[4:5]
	ds_bpermute_b32 v2, v6, v0
	ds_bpermute_b32 v3, v6, v1
	s_wait_dscnt 0x0
	v_pk_add_f32 v[0:1], v[0:1], v[2:3]
	s_cbranch_vccz .LBB9_32
; %bb.31:
	v_dual_add_nc_u32 v2, s31, v48 :: v_dual_max_num_f32 v4, v66, v66
	s_delay_alu instid0(VALU_DEP_1) | instskip(NEXT) | instid1(VALU_DEP_1)
	v_ashrrev_i32_e32 v3, 31, v2
	v_lshl_add_u64 v[2:3], v[2:3], 2, s[12:13]
	global_load_b64 v[2:3], v[2:3], off
	s_wait_loadcnt 0x0
	v_dual_max_num_f32 v5, v2, v2 :: v_dual_max_num_f32 v6, v67, v67
	s_delay_alu instid0(VALU_DEP_1) | instskip(NEXT) | instid1(VALU_DEP_1)
	v_dual_max_num_f32 v4, v4, v5 :: v_dual_max_num_f32 v7, v3, v3
	v_max_num_f32_e32 v5, v6, v7
	s_delay_alu instid0(VALU_DEP_2) | instskip(NEXT) | instid1(VALU_DEP_1)
	v_sub_f32_e32 v6, v66, v4
	v_dual_sub_f32 v7, v2, v4 :: v_dual_mul_f32 v2, 0x3fb8aa3b, v6
	s_delay_alu instid0(VALU_DEP_3)
	v_sub_f32_e32 v8, v67, v5
	v_sub_f32_e32 v9, v3, v5
	v_cmp_ngt_f32_e32 vcc_lo, 0xc2ce8ed0, v6
	v_mov_b64_e32 v[66:67], v[4:5]
	v_rndne_f32_e32 v13, v2
	v_mul_f32_e32 v3, 0x3fb8aa3b, v7
	v_fma_f32 v12, 0x3fb8aa3b, v6, -v2
	v_mul_f32_e32 v10, 0x3fb8aa3b, v8
	s_delay_alu instid0(VALU_DEP_4) | instskip(NEXT) | instid1(VALU_DEP_4)
	v_sub_f32_e32 v2, v2, v13
	v_rndne_f32_e32 v15, v3
	v_fma_f32 v14, 0x3fb8aa3b, v7, -v3
	v_fmac_f32_e32 v12, 0x32a5705f, v6
	v_fma_f32 v16, 0x3fb8aa3b, v8, -v10
	v_rndne_f32_e32 v17, v10
	v_sub_f32_e32 v3, v3, v15
	s_delay_alu instid0(VALU_DEP_4) | instskip(SKIP_2) | instid1(VALU_DEP_3)
	v_dual_mul_f32 v11, 0x3fb8aa3b, v9 :: v_dual_add_f32 v2, v2, v12
	v_cvt_i32_f32_e32 v13, v13
	v_cvt_i32_f32_e32 v12, v15
	v_fma_f32 v18, 0x3fb8aa3b, v9, -v11
	v_rndne_f32_e32 v19, v11
	v_fmac_f32_e32 v16, 0x32a5705f, v8
	v_exp_f32_e32 v2, v2
	s_delay_alu instid0(VALU_DEP_2) | instskip(SKIP_2) | instid1(TRANS32_DEP_1)
	v_dual_fmac_f32 v18, 0x32a5705f, v9 :: v_dual_sub_f32 v11, v11, v19
	v_fmac_f32_e32 v14, 0x32a5705f, v7
	v_cvt_i32_f32_e32 v15, v19
	v_ldexp_f32 v2, v2, v13
	s_delay_alu instid0(VALU_DEP_4) | instskip(NEXT) | instid1(VALU_DEP_4)
	v_dual_add_f32 v11, v11, v18 :: v_dual_sub_f32 v10, v10, v17
	v_add_f32_e32 v3, v3, v14
	v_cvt_i32_f32_e32 v14, v17
	s_delay_alu instid0(VALU_DEP_4) | instskip(SKIP_4) | instid1(VALU_DEP_1)
	v_cndmask_b32_e32 v2, 0, v2, vcc_lo
	v_cmp_ngt_f32_e32 vcc_lo, 0xc2ce8ed0, v8
	v_add_f32_e32 v10, v10, v16
	v_exp_f32_e32 v3, v3
	v_exp_f32_e32 v11, v11
	v_exp_f32_e32 v10, v10
	v_nop
	s_delay_alu instid0(TRANS32_DEP_1) | instskip(NEXT) | instid1(VALU_DEP_1)
	v_ldexp_f32 v10, v10, v14
	v_cndmask_b32_e32 v10, 0, v10, vcc_lo
	v_cmp_nlt_f32_e32 vcc_lo, 0x42b17218, v6
	v_ldexp_f32 v6, v3, v12
	v_cndmask_b32_e32 v2, 0x7f800000, v2, vcc_lo
	v_cmp_nlt_f32_e32 vcc_lo, 0x42b17218, v8
	v_ldexp_f32 v8, v11, v15
	v_cndmask_b32_e32 v3, 0x7f800000, v10, vcc_lo
	v_cmp_ngt_f32_e32 vcc_lo, 0xc2ce8ed0, v7
	v_cvt_f16_f32_e32 v10, v2
	s_delay_alu instid0(VALU_DEP_3) | instskip(SKIP_2) | instid1(VALU_DEP_4)
	v_cvt_f16_f32_e32 v11, v3
	v_cndmask_b32_e32 v6, 0, v6, vcc_lo
	v_cmp_ngt_f32_e32 vcc_lo, 0xc2ce8ed0, v9
	v_and_b32_e32 v10, 0xffff, v10
	s_delay_alu instid0(VALU_DEP_4)
	v_and_b32_e32 v11, 0xffff, v11
	v_cndmask_b32_e32 v8, 0, v8, vcc_lo
	v_cmp_nlt_f32_e32 vcc_lo, 0x42b17218, v7
	v_cndmask_b32_e32 v6, 0x7f800000, v6, vcc_lo
	v_cmp_nlt_f32_e32 vcc_lo, 0x42b17218, v9
	v_mul_u32_u24_e32 v9, 0x10001, v11
	v_cndmask_b32_e32 v7, 0x7f800000, v8, vcc_lo
	v_mul_u32_u24_e32 v8, 0x10001, v10
	s_delay_alu instid0(VALU_DEP_3) | instskip(SKIP_1) | instid1(VALU_DEP_4)
	v_pk_mul_f16 v76, v76, v9
	v_pk_mul_f16 v77, v77, v9
	v_pk_fma_f32 v[0:1], v[0:1], v[2:3], v[6:7]
	s_delay_alu instid0(VALU_DEP_4)
	v_pk_mul_f16 v86, v86, v8
	v_pk_mul_f16 v87, v87, v8
.LBB9_32:
	s_mov_b32 s3, exec_lo
	v_cmpx_gt_i32_e64 s22, v73
	s_cbranch_execz .LBB9_42
; %bb.33:
	s_load_b32 s0, s[0:1], 0xd4
	v_mov_b32_e32 v2, 1.0
	s_wait_kmcnt 0x0
	s_cmp_lg_u32 s0, 1
	s_cselect_b32 s3, -1, 0
	s_cmp_eq_u32 s0, 1
	s_cselect_b32 s1, -1, 0
	s_and_b32 vcc_lo, exec_lo, s3
	s_cbranch_vccnz .LBB9_35
; %bb.34:
	v_div_scale_f32 v2, null, v0, v0, 1.0
	s_delay_alu instid0(VALU_DEP_1) | instskip(SKIP_1) | instid1(TRANS32_DEP_1)
	v_rcp_f32_e32 v3, v2
	v_nop
	v_fma_f32 v4, -v2, v3, 1.0
	s_delay_alu instid0(VALU_DEP_1) | instskip(SKIP_1) | instid1(VALU_DEP_1)
	v_fmac_f32_e32 v3, v4, v3
	v_div_scale_f32 v4, vcc_lo, 1.0, v0, 1.0
	v_mul_f32_e32 v5, v4, v3
	s_delay_alu instid0(VALU_DEP_1) | instskip(NEXT) | instid1(VALU_DEP_1)
	v_fma_f32 v6, -v2, v5, v4
	v_fmac_f32_e32 v5, v6, v3
	s_delay_alu instid0(VALU_DEP_1) | instskip(NEXT) | instid1(VALU_DEP_1)
	v_fma_f32 v2, -v2, v5, v4
	v_div_fmas_f32 v2, v2, v3, v5
	s_delay_alu instid0(VALU_DEP_1)
	v_div_fixup_f32 v2, v2, v0, 1.0
.LBB9_35:
	v_mad_u32 v3, s28, s22, v73
	v_add_nc_u32_e32 v4, s31, v48
	s_delay_alu instid0(VALU_DEP_1) | instskip(NEXT) | instid1(VALU_DEP_1)
	v_mad_u32 v3, v3, s23, v4
	v_mul_lo_u32 v3, s0, v3
	s_delay_alu instid0(VALU_DEP_1)
	v_add_nc_u32_e32 v4, s33, v3
	s_and_saveexec_b32 s4, s2
	s_cbranch_execz .LBB9_37
; %bb.36:
	s_delay_alu instid0(VALU_DEP_1) | instskip(SKIP_4) | instid1(VALU_DEP_4)
	v_mad_u32 v8, 0x60, v4, v61
	v_dual_lshrrev_b32 v5, 16, v86 :: v_dual_lshrrev_b32 v11, 16, v87
	v_mov_b32_e32 v9, 0
	v_cvt_f32_f16_e32 v6, v86
	v_cvt_f32_f16_e32 v10, v87
	;; [unrolled: 1-line block ×4, first 2 shown]
	s_delay_alu instid0(VALU_DEP_2) | instskip(SKIP_1) | instid1(VALU_DEP_3)
	v_pk_mul_f32 v[6:7], v[2:3], v[6:7] op_sel_hi:[0,1]
	v_lshl_add_u64 v[12:13], v[8:9], 2, s[16:17]
	v_pk_mul_f32 v[8:9], v[2:3], v[10:11] op_sel_hi:[0,1]
	global_store_b128 v[12:13], v[6:9], off
.LBB9_37:
	s_wait_xcnt 0x0
	s_or_b32 exec_lo, exec_lo, s4
	v_cmp_eq_u32_e32 vcc_lo, 0, v72
	s_and_b32 s3, vcc_lo, s3
	s_delay_alu instid0(SALU_CYCLE_1)
	s_and_saveexec_b32 s4, s3
	s_cbranch_execnz .LBB9_43
; %bb.38:
	s_or_b32 exec_lo, exec_lo, s4
	v_mov_b32_e32 v0, 1.0
	s_and_not1_b32 vcc_lo, exec_lo, s1
	s_cbranch_vccz .LBB9_44
.LBB9_39:
	v_add3_u32 v2, s33, s0, v3
	s_and_saveexec_b32 s0, s2
	s_cbranch_execnz .LBB9_45
.LBB9_40:
	s_or_b32 exec_lo, exec_lo, s0
	s_delay_alu instid0(SALU_CYCLE_1)
	s_and_b32 exec_lo, exec_lo, s3
	s_cbranch_execz .LBB9_42
.LBB9_41:
	v_mov_b32_e32 v0, v67
	global_store_b64 v2, v[0:1], s[18:19] scale_offset
.LBB9_42:
	s_sendmsg sendmsg(MSG_DEALLOC_VGPRS)
	s_endpgm
.LBB9_43:
	v_dual_mov_b32 v6, v66 :: v_dual_mov_b32 v7, v0
	global_store_b64 v4, v[6:7], s[18:19] scale_offset
	s_wait_xcnt 0x0
	s_or_b32 exec_lo, exec_lo, s4
	v_mov_b32_e32 v0, 1.0
	s_and_not1_b32 vcc_lo, exec_lo, s1
	s_cbranch_vccnz .LBB9_39
.LBB9_44:
	v_div_scale_f32 v0, null, v1, v1, 1.0
	s_delay_alu instid0(VALU_DEP_1) | instskip(SKIP_1) | instid1(TRANS32_DEP_1)
	v_rcp_f32_e32 v2, v0
	v_nop
	v_fma_f32 v4, -v0, v2, 1.0
	s_delay_alu instid0(VALU_DEP_1) | instskip(SKIP_1) | instid1(VALU_DEP_1)
	v_fmac_f32_e32 v2, v4, v2
	v_div_scale_f32 v4, vcc_lo, 1.0, v1, 1.0
	v_mul_f32_e32 v5, v4, v2
	s_delay_alu instid0(VALU_DEP_1) | instskip(NEXT) | instid1(VALU_DEP_1)
	v_fma_f32 v6, -v0, v5, v4
	v_fmac_f32_e32 v5, v6, v2
	s_delay_alu instid0(VALU_DEP_1) | instskip(NEXT) | instid1(VALU_DEP_1)
	v_fma_f32 v0, -v0, v5, v4
	v_div_fmas_f32 v0, v0, v2, v5
	s_delay_alu instid0(VALU_DEP_1)
	v_div_fixup_f32 v0, v0, v1, 1.0
	v_add3_u32 v2, s33, s0, v3
	s_and_saveexec_b32 s0, s2
	s_cbranch_execz .LBB9_40
.LBB9_45:
	s_delay_alu instid0(VALU_DEP_1) | instskip(SKIP_4) | instid1(VALU_DEP_4)
	v_mad_u32 v6, 0x60, v2, v61
	v_dual_lshrrev_b32 v3, 16, v76 :: v_dual_lshrrev_b32 v9, 16, v77
	v_mov_b32_e32 v7, 0
	v_cvt_f32_f16_e32 v4, v76
	v_cvt_f32_f16_e32 v8, v77
	;; [unrolled: 1-line block ×4, first 2 shown]
	s_delay_alu instid0(VALU_DEP_2) | instskip(SKIP_1) | instid1(VALU_DEP_3)
	v_pk_mul_f32 v[4:5], v[0:1], v[4:5] op_sel_hi:[0,1]
	v_lshl_add_u64 v[10:11], v[6:7], 2, s[16:17]
	v_pk_mul_f32 v[6:7], v[0:1], v[8:9] op_sel_hi:[0,1]
	global_store_b128 v[10:11], v[4:7], off
	s_wait_xcnt 0x0
	s_or_b32 exec_lo, exec_lo, s0
	s_delay_alu instid0(SALU_CYCLE_1)
	s_and_b32 exec_lo, exec_lo, s3
	s_cbranch_execnz .LBB9_41
	s_branch .LBB9_42
	.section	.rodata,"a",@progbits
	.p2align	6, 0x0
	.amdhsa_kernel _ZL15flash_attn_tileILi96ELi96ELi2ELi8ELb0EEvPKcS1_S1_S1_S1_PKiPfP15HIP_vector_typeIfLj2EEffffjfiS5_IjLj3EEiiiiiiiiiiiliiliiiiil
		.amdhsa_group_segment_fixed_size 7808
		.amdhsa_private_segment_fixed_size 0
		.amdhsa_kernarg_size 464
		.amdhsa_user_sgpr_count 2
		.amdhsa_user_sgpr_dispatch_ptr 0
		.amdhsa_user_sgpr_queue_ptr 0
		.amdhsa_user_sgpr_kernarg_segment_ptr 1
		.amdhsa_user_sgpr_dispatch_id 0
		.amdhsa_user_sgpr_kernarg_preload_length 0
		.amdhsa_user_sgpr_kernarg_preload_offset 0
		.amdhsa_user_sgpr_private_segment_size 0
		.amdhsa_wavefront_size32 1
		.amdhsa_uses_dynamic_stack 0
		.amdhsa_enable_private_segment 0
		.amdhsa_system_sgpr_workgroup_id_x 1
		.amdhsa_system_sgpr_workgroup_id_y 1
		.amdhsa_system_sgpr_workgroup_id_z 1
		.amdhsa_system_sgpr_workgroup_info 0
		.amdhsa_system_vgpr_workitem_id 1
		.amdhsa_next_free_vgpr 110
		.amdhsa_next_free_sgpr 42
		.amdhsa_named_barrier_count 0
		.amdhsa_reserve_vcc 1
		.amdhsa_float_round_mode_32 0
		.amdhsa_float_round_mode_16_64 0
		.amdhsa_float_denorm_mode_32 3
		.amdhsa_float_denorm_mode_16_64 3
		.amdhsa_fp16_overflow 0
		.amdhsa_memory_ordered 1
		.amdhsa_forward_progress 1
		.amdhsa_inst_pref_size 60
		.amdhsa_round_robin_scheduling 0
		.amdhsa_exception_fp_ieee_invalid_op 0
		.amdhsa_exception_fp_denorm_src 0
		.amdhsa_exception_fp_ieee_div_zero 0
		.amdhsa_exception_fp_ieee_overflow 0
		.amdhsa_exception_fp_ieee_underflow 0
		.amdhsa_exception_fp_ieee_inexact 0
		.amdhsa_exception_int_div_zero 0
	.end_amdhsa_kernel
	.section	.text._ZL15flash_attn_tileILi96ELi96ELi2ELi8ELb0EEvPKcS1_S1_S1_S1_PKiPfP15HIP_vector_typeIfLj2EEffffjfiS5_IjLj3EEiiiiiiiiiiiliiliiiiil,"axG",@progbits,_ZL15flash_attn_tileILi96ELi96ELi2ELi8ELb0EEvPKcS1_S1_S1_S1_PKiPfP15HIP_vector_typeIfLj2EEffffjfiS5_IjLj3EEiiiiiiiiiiiliiliiiiil,comdat
.Lfunc_end9:
	.size	_ZL15flash_attn_tileILi96ELi96ELi2ELi8ELb0EEvPKcS1_S1_S1_S1_PKiPfP15HIP_vector_typeIfLj2EEffffjfiS5_IjLj3EEiiiiiiiiiiiliiliiiiil, .Lfunc_end9-_ZL15flash_attn_tileILi96ELi96ELi2ELi8ELb0EEvPKcS1_S1_S1_S1_PKiPfP15HIP_vector_typeIfLj2EEffffjfiS5_IjLj3EEiiiiiiiiiiiliiliiiiil
                                        ; -- End function
	.set _ZL15flash_attn_tileILi96ELi96ELi2ELi8ELb0EEvPKcS1_S1_S1_S1_PKiPfP15HIP_vector_typeIfLj2EEffffjfiS5_IjLj3EEiiiiiiiiiiiliiliiiiil.num_vgpr, 110
	.set _ZL15flash_attn_tileILi96ELi96ELi2ELi8ELb0EEvPKcS1_S1_S1_S1_PKiPfP15HIP_vector_typeIfLj2EEffffjfiS5_IjLj3EEiiiiiiiiiiiliiliiiiil.num_agpr, 0
	.set _ZL15flash_attn_tileILi96ELi96ELi2ELi8ELb0EEvPKcS1_S1_S1_S1_PKiPfP15HIP_vector_typeIfLj2EEffffjfiS5_IjLj3EEiiiiiiiiiiiliiliiiiil.numbered_sgpr, 42
	.set _ZL15flash_attn_tileILi96ELi96ELi2ELi8ELb0EEvPKcS1_S1_S1_S1_PKiPfP15HIP_vector_typeIfLj2EEffffjfiS5_IjLj3EEiiiiiiiiiiiliiliiiiil.num_named_barrier, 0
	.set _ZL15flash_attn_tileILi96ELi96ELi2ELi8ELb0EEvPKcS1_S1_S1_S1_PKiPfP15HIP_vector_typeIfLj2EEffffjfiS5_IjLj3EEiiiiiiiiiiiliiliiiiil.private_seg_size, 0
	.set _ZL15flash_attn_tileILi96ELi96ELi2ELi8ELb0EEvPKcS1_S1_S1_S1_PKiPfP15HIP_vector_typeIfLj2EEffffjfiS5_IjLj3EEiiiiiiiiiiiliiliiiiil.uses_vcc, 1
	.set _ZL15flash_attn_tileILi96ELi96ELi2ELi8ELb0EEvPKcS1_S1_S1_S1_PKiPfP15HIP_vector_typeIfLj2EEffffjfiS5_IjLj3EEiiiiiiiiiiiliiliiiiil.uses_flat_scratch, 0
	.set _ZL15flash_attn_tileILi96ELi96ELi2ELi8ELb0EEvPKcS1_S1_S1_S1_PKiPfP15HIP_vector_typeIfLj2EEffffjfiS5_IjLj3EEiiiiiiiiiiiliiliiiiil.has_dyn_sized_stack, 0
	.set _ZL15flash_attn_tileILi96ELi96ELi2ELi8ELb0EEvPKcS1_S1_S1_S1_PKiPfP15HIP_vector_typeIfLj2EEffffjfiS5_IjLj3EEiiiiiiiiiiiliiliiiiil.has_recursion, 0
	.set _ZL15flash_attn_tileILi96ELi96ELi2ELi8ELb0EEvPKcS1_S1_S1_S1_PKiPfP15HIP_vector_typeIfLj2EEffffjfiS5_IjLj3EEiiiiiiiiiiiliiliiiiil.has_indirect_call, 0
	.section	.AMDGPU.csdata,"",@progbits
; Kernel info:
; codeLenInByte = 7560
; TotalNumSgprs: 44
; NumVgprs: 110
; ScratchSize: 0
; MemoryBound: 0
; FloatMode: 240
; IeeeMode: 1
; LDSByteSize: 7808 bytes/workgroup (compile time only)
; SGPRBlocks: 0
; VGPRBlocks: 6
; NumSGPRsForWavesPerEU: 44
; NumVGPRsForWavesPerEU: 110
; NamedBarCnt: 0
; Occupancy: 9
; WaveLimiterHint : 1
; COMPUTE_PGM_RSRC2:SCRATCH_EN: 0
; COMPUTE_PGM_RSRC2:USER_SGPR: 2
; COMPUTE_PGM_RSRC2:TRAP_HANDLER: 0
; COMPUTE_PGM_RSRC2:TGID_X_EN: 1
; COMPUTE_PGM_RSRC2:TGID_Y_EN: 1
; COMPUTE_PGM_RSRC2:TGID_Z_EN: 1
; COMPUTE_PGM_RSRC2:TIDIG_COMP_CNT: 1
	.section	.text._ZL25flash_attn_mask_to_KV_maxILi2EEvPK7__half2Piiii,"axG",@progbits,_ZL25flash_attn_mask_to_KV_maxILi2EEvPK7__half2Piiii,comdat
	.globl	_ZL25flash_attn_mask_to_KV_maxILi2EEvPK7__half2Piiii ; -- Begin function _ZL25flash_attn_mask_to_KV_maxILi2EEvPK7__half2Piiii
	.p2align	8
	.type	_ZL25flash_attn_mask_to_KV_maxILi2EEvPK7__half2Piiii,@function
_ZL25flash_attn_mask_to_KV_maxILi2EEvPK7__half2Piiii: ; @_ZL25flash_attn_mask_to_KV_maxILi2EEvPK7__half2Piiii
; %bb.0:
	s_load_b128 s[4:7], s[0:1], 0x0
	s_mov_b32 s2, exec_lo
	v_cmpx_gt_u32_e32 32, v0
; %bb.1:
	v_dual_mov_b32 v2, 1 :: v_dual_lshlrev_b32 v1, 2, v0
	ds_store_b32 v1, v2
; %bb.2:
	s_or_b32 exec_lo, exec_lo, s2
	s_clause 0x1
	s_load_b96 s[8:10], s[0:1], 0x10
	s_load_b32 s11, s[0:1], 0x20
	s_wait_xcnt 0x0
	s_bfe_u32 s1, ttmp6, 0x4000c
	s_bfe_u32 s2, ttmp6, 0x40010
	s_add_co_i32 s1, s1, 1
	s_add_co_i32 s2, s2, 1
	s_and_b32 s0, ttmp6, 15
	s_bfe_u32 s3, ttmp6, 0x40004
	s_mul_i32 s1, ttmp9, s1
	s_mul_i32 s2, ttmp7, s2
	s_getreg_b32 s12, hwreg(HW_REG_IB_STS2, 6, 4)
	s_add_co_i32 s0, s0, s1
	s_add_co_i32 s3, s3, s2
	s_cmp_eq_u32 s12, 0
	v_dual_lshrrev_b32 v1, 3, v0 :: v_dual_bitop2_b32 v2, 31, v0 bitop3:0x40
	s_cselect_b32 s1, ttmp9, s0
	s_cselect_b32 s12, ttmp7, s3
	s_wait_dscnt 0x0
	s_barrier_signal -1
	s_wait_kmcnt 0x0
	s_mul_i32 s0, s1, s9
	s_mul_i32 s2, s10, s12
	s_lshl_b32 s0, s0, 1
	s_barrier_wait -1
	s_add_co_i32 s2, s2, s0
	v_cmp_eq_u32_e64 s0, 0, v2
	s_ashr_i32 s3, s2, 31
	v_lshlrev_b32_e32 v2, 2, v2
	s_lshl_b64 s[2:3], s[2:3], 2
	s_delay_alu instid0(SALU_CYCLE_1)
	s_add_nc_u64 s[2:3], s[4:5], s[2:3]
	s_lshl_b32 s5, s8, 8
	s_branch .LBB10_4
.LBB10_3:                               ;   in Loop: Header=BB10_4 Depth=1
	s_or_b32 exec_lo, exec_lo, s8
	s_wait_dscnt 0x0
	s_barrier_signal -1
	s_barrier_wait -1
	ds_load_b32 v3, v2
	s_wait_dscnt 0x0
	s_barrier_signal -1
	s_barrier_wait -1
	v_cmp_ne_u32_e32 vcc_lo, 0, v3
	s_cmp_lg_u32 vcc_lo, exec_lo
	s_cselect_b32 s8, -1, 0
	s_delay_alu instid0(SALU_CYCLE_1)
	s_and_b32 vcc_lo, exec_lo, s8
	s_cbranch_vccnz .LBB10_12
.LBB10_4:                               ; =>This Inner Loop Header: Depth=1
	s_mov_b32 s4, s5
	s_addk_co_i32 s5, 0xff00
	s_delay_alu instid0(SALU_CYCLE_1)
	s_cmp_lt_i32 s5, 0
	s_cbranch_scc1 .LBB10_11
; %bb.5:                                ;   in Loop: Header=BB10_4 Depth=1
	s_lshr_b32 s8, s5, 1
	s_delay_alu instid0(SALU_CYCLE_1) | instskip(SKIP_4) | instid1(VALU_DEP_2)
	v_add_nc_u32_e32 v3, s8, v0
	global_load_b32 v4, v3, s[2:3] scale_offset
	s_wait_loadcnt 0x0
	v_lshrrev_b32_e32 v5, 16, v4
	v_cmp_class_f16_e64 s8, v4, 0x204
	v_cmp_class_f16_e64 s10, v5, 0x204
	s_and_b32 s13, s8, s10
	s_mov_b32 s10, 0
	s_and_saveexec_b32 s8, s13
	s_cbranch_execz .LBB10_9
; %bb.6:                                ;   in Loop: Header=BB10_4 Depth=1
	v_add_nc_u32_e32 v3, s9, v3
	global_load_b32 v3, v3, s[2:3] scale_offset
	s_wait_loadcnt 0x0
	v_cmp_class_f16_e64 s14, v3, 0x204
	s_and_saveexec_b32 s13, s14
; %bb.7:                                ;   in Loop: Header=BB10_4 Depth=1
	v_lshrrev_b32_e32 v3, 16, v3
	s_delay_alu instid0(VALU_DEP_1)
	v_cmp_class_f16_e64 s10, v3, 0x204
	s_and_b32 s10, s10, exec_lo
; %bb.8:                                ;   in Loop: Header=BB10_4 Depth=1
	s_or_b32 exec_lo, exec_lo, s13
	s_delay_alu instid0(SALU_CYCLE_1)
	s_and_b32 s10, s10, exec_lo
.LBB10_9:                               ;   in Loop: Header=BB10_4 Depth=1
	s_or_b32 exec_lo, exec_lo, s8
	v_cndmask_b32_e64 v3, 0, 1, s10
	s_mov_b32 s13, exec_lo
	s_delay_alu instid0(VALU_DEP_1)
	v_cmp_ne_u32_e32 vcc_lo, 0, v3
	s_and_saveexec_b32 s8, s0
	s_cbranch_execz .LBB10_3
; %bb.10:                               ;   in Loop: Header=BB10_4 Depth=1
	s_cmp_eq_u32 vcc_lo, s13
	s_cselect_b32 s10, -1, 0
	s_delay_alu instid0(SALU_CYCLE_1)
	v_cndmask_b32_e64 v3, 0, 1, s10
	ds_store_b32 v1, v3
	s_branch .LBB10_3
.LBB10_11:                              ;   in Loop: Header=BB10_4 Depth=1
	s_cbranch_execz .LBB10_4
.LBB10_12:
	s_mov_b32 s0, exec_lo
	v_cmpx_eq_u32_e32 0, v0
	s_cbranch_execz .LBB10_14
; %bb.13:
	s_mul_i32 s0, s11, s12
	v_mov_b32_e32 v1, s4
	s_add_co_i32 s0, s0, s1
	s_delay_alu instid0(SALU_CYCLE_1)
	v_mov_b32_e32 v0, s0
	global_store_b32 v0, v1, s[6:7] scale_offset
.LBB10_14:
	s_endpgm
	.section	.rodata,"a",@progbits
	.p2align	6, 0x0
	.amdhsa_kernel _ZL25flash_attn_mask_to_KV_maxILi2EEvPK7__half2Piiii
		.amdhsa_group_segment_fixed_size 128
		.amdhsa_private_segment_fixed_size 0
		.amdhsa_kernarg_size 288
		.amdhsa_user_sgpr_count 2
		.amdhsa_user_sgpr_dispatch_ptr 0
		.amdhsa_user_sgpr_queue_ptr 0
		.amdhsa_user_sgpr_kernarg_segment_ptr 1
		.amdhsa_user_sgpr_dispatch_id 0
		.amdhsa_user_sgpr_kernarg_preload_length 0
		.amdhsa_user_sgpr_kernarg_preload_offset 0
		.amdhsa_user_sgpr_private_segment_size 0
		.amdhsa_wavefront_size32 1
		.amdhsa_uses_dynamic_stack 0
		.amdhsa_enable_private_segment 0
		.amdhsa_system_sgpr_workgroup_id_x 1
		.amdhsa_system_sgpr_workgroup_id_y 1
		.amdhsa_system_sgpr_workgroup_id_z 0
		.amdhsa_system_sgpr_workgroup_info 0
		.amdhsa_system_vgpr_workitem_id 0
		.amdhsa_next_free_vgpr 6
		.amdhsa_next_free_sgpr 15
		.amdhsa_named_barrier_count 0
		.amdhsa_reserve_vcc 1
		.amdhsa_float_round_mode_32 0
		.amdhsa_float_round_mode_16_64 0
		.amdhsa_float_denorm_mode_32 3
		.amdhsa_float_denorm_mode_16_64 3
		.amdhsa_fp16_overflow 0
		.amdhsa_memory_ordered 1
		.amdhsa_forward_progress 1
		.amdhsa_inst_pref_size 5
		.amdhsa_round_robin_scheduling 0
		.amdhsa_exception_fp_ieee_invalid_op 0
		.amdhsa_exception_fp_denorm_src 0
		.amdhsa_exception_fp_ieee_div_zero 0
		.amdhsa_exception_fp_ieee_overflow 0
		.amdhsa_exception_fp_ieee_underflow 0
		.amdhsa_exception_fp_ieee_inexact 0
		.amdhsa_exception_int_div_zero 0
	.end_amdhsa_kernel
	.section	.text._ZL25flash_attn_mask_to_KV_maxILi2EEvPK7__half2Piiii,"axG",@progbits,_ZL25flash_attn_mask_to_KV_maxILi2EEvPK7__half2Piiii,comdat
.Lfunc_end10:
	.size	_ZL25flash_attn_mask_to_KV_maxILi2EEvPK7__half2Piiii, .Lfunc_end10-_ZL25flash_attn_mask_to_KV_maxILi2EEvPK7__half2Piiii
                                        ; -- End function
	.set _ZL25flash_attn_mask_to_KV_maxILi2EEvPK7__half2Piiii.num_vgpr, 6
	.set _ZL25flash_attn_mask_to_KV_maxILi2EEvPK7__half2Piiii.num_agpr, 0
	.set _ZL25flash_attn_mask_to_KV_maxILi2EEvPK7__half2Piiii.numbered_sgpr, 15
	.set _ZL25flash_attn_mask_to_KV_maxILi2EEvPK7__half2Piiii.num_named_barrier, 0
	.set _ZL25flash_attn_mask_to_KV_maxILi2EEvPK7__half2Piiii.private_seg_size, 0
	.set _ZL25flash_attn_mask_to_KV_maxILi2EEvPK7__half2Piiii.uses_vcc, 1
	.set _ZL25flash_attn_mask_to_KV_maxILi2EEvPK7__half2Piiii.uses_flat_scratch, 0
	.set _ZL25flash_attn_mask_to_KV_maxILi2EEvPK7__half2Piiii.has_dyn_sized_stack, 0
	.set _ZL25flash_attn_mask_to_KV_maxILi2EEvPK7__half2Piiii.has_recursion, 0
	.set _ZL25flash_attn_mask_to_KV_maxILi2EEvPK7__half2Piiii.has_indirect_call, 0
	.section	.AMDGPU.csdata,"",@progbits
; Kernel info:
; codeLenInByte = 548
; TotalNumSgprs: 17
; NumVgprs: 6
; ScratchSize: 0
; MemoryBound: 0
; FloatMode: 240
; IeeeMode: 1
; LDSByteSize: 128 bytes/workgroup (compile time only)
; SGPRBlocks: 0
; VGPRBlocks: 0
; NumSGPRsForWavesPerEU: 17
; NumVGPRsForWavesPerEU: 6
; NamedBarCnt: 0
; Occupancy: 16
; WaveLimiterHint : 0
; COMPUTE_PGM_RSRC2:SCRATCH_EN: 0
; COMPUTE_PGM_RSRC2:USER_SGPR: 2
; COMPUTE_PGM_RSRC2:TRAP_HANDLER: 0
; COMPUTE_PGM_RSRC2:TGID_X_EN: 1
; COMPUTE_PGM_RSRC2:TGID_Y_EN: 1
; COMPUTE_PGM_RSRC2:TGID_Z_EN: 0
; COMPUTE_PGM_RSRC2:TIDIG_COMP_CNT: 0
	.section	.text._ZL33flash_attn_stream_k_fixup_uniformILi96ELi2ELi8EEvPfPK15HIP_vector_typeIfLj2EEiiiiiiS1_IjLj3EES5_S5_,"axG",@progbits,_ZL33flash_attn_stream_k_fixup_uniformILi96ELi2ELi8EEvPfPK15HIP_vector_typeIfLj2EEiiiiiiS1_IjLj3EES5_S5_,comdat
	.globl	_ZL33flash_attn_stream_k_fixup_uniformILi96ELi2ELi8EEvPfPK15HIP_vector_typeIfLj2EEiiiiiiS1_IjLj3EES5_S5_ ; -- Begin function _ZL33flash_attn_stream_k_fixup_uniformILi96ELi2ELi8EEvPfPK15HIP_vector_typeIfLj2EEiiiiiiS1_IjLj3EES5_S5_
	.p2align	8
	.type	_ZL33flash_attn_stream_k_fixup_uniformILi96ELi2ELi8EEvPfPK15HIP_vector_typeIfLj2EEiiiiiiS1_IjLj3EES5_S5_,@function
_ZL33flash_attn_stream_k_fixup_uniformILi96ELi2ELi8EEvPfPK15HIP_vector_typeIfLj2EEiiiiiiS1_IjLj3EES5_S5_: ; @_ZL33flash_attn_stream_k_fixup_uniformILi96ELi2ELi8EEvPfPK15HIP_vector_typeIfLj2EEiiiiiiS1_IjLj3EES5_S5_
; %bb.0:
	s_load_b256 s[4:11], s[0:1], 0x1c
	s_bfe_u32 s2, ttmp6, 0x40014
	s_lshr_b32 s3, ttmp7, 16
	s_add_co_i32 s2, s2, 1
	s_bfe_u32 s13, ttmp6, 0x40010
	s_mul_i32 s2, s3, s2
	s_bfe_u32 s12, ttmp6, 0x40008
	s_and_b32 s15, ttmp7, 0xffff
	s_add_co_i32 s13, s13, 1
	s_bfe_u32 s14, ttmp6, 0x4000c
	s_add_co_i32 s2, s12, s2
	s_mul_i32 s12, s15, s13
	s_bfe_u32 s13, ttmp6, 0x40004
	s_add_co_i32 s14, s14, 1
	s_add_co_i32 s13, s13, s12
	s_and_b32 s12, ttmp6, 15
	s_mul_i32 s14, ttmp9, s14
	s_getreg_b32 s20, hwreg(HW_REG_IB_STS2, 6, 4)
	s_add_co_i32 s12, s12, s14
	s_load_b128 s[16:19], s[0:1], 0x3c
	s_cmp_eq_u32 s20, 0
	s_cselect_b32 s14, ttmp9, s12
	s_cselect_b32 s12, s15, s13
	s_wait_kmcnt 0x0
	s_mul_hi_u32 s7, s7, s14
	s_cselect_b32 s13, s3, s2
	s_add_co_i32 s2, s14, s7
	s_delay_alu instid0(SALU_CYCLE_1) | instskip(NEXT) | instid1(SALU_CYCLE_1)
	s_lshr_b32 s7, s2, s8
	s_mul_i32 s2, s7, s9
	s_delay_alu instid0(SALU_CYCLE_1) | instskip(NEXT) | instid1(SALU_CYCLE_1)
	s_sub_co_i32 s8, s14, s2
	s_mul_hi_u32 s2, s8, s10
	s_delay_alu instid0(SALU_CYCLE_1) | instskip(SKIP_2) | instid1(SALU_CYCLE_1)
	s_add_co_i32 s9, s8, s2
	s_load_b64 s[2:3], s[0:1], 0x10
	s_lshr_b32 s15, s9, s11
	s_mul_i32 s9, s15, s16
	s_delay_alu instid0(SALU_CYCLE_1) | instskip(NEXT) | instid1(SALU_CYCLE_1)
	s_sub_co_i32 s8, s8, s9
	s_mul_hi_u32 s9, s8, s17
	s_delay_alu instid0(SALU_CYCLE_1) | instskip(NEXT) | instid1(SALU_CYCLE_1)
	s_add_co_i32 s9, s8, s9
	s_lshr_b32 s9, s9, s18
	s_delay_alu instid0(SALU_CYCLE_1) | instskip(SKIP_2) | instid1(SALU_CYCLE_1)
	s_mul_i32 s10, s9, s19
	s_lshl_b32 s17, s9, 3
	s_sub_co_i32 s16, s8, s10
	s_lshl_b32 s8, s16, 1
	s_delay_alu instid0(SALU_CYCLE_1) | instskip(SKIP_4) | instid1(SALU_CYCLE_1)
	s_add_co_i32 s8, s8, s12
	s_wait_kmcnt 0x0
	s_cmp_lt_i32 s8, s2
	s_cselect_b32 s8, -1, 0
	s_add_co_i32 s17, s17, s13
	s_cmp_lt_i32 s17, s5
	s_cselect_b32 s9, -1, 0
	s_delay_alu instid0(SALU_CYCLE_1) | instskip(NEXT) | instid1(SALU_CYCLE_1)
	s_and_b32 s8, s8, s9
	s_and_not1_b32 vcc_lo, exec_lo, s8
	s_cbranch_vccnz .LBB11_6
; %bb.1:
	s_load_b128 s[8:11], s[0:1], 0x0
	s_wait_xcnt 0x0
	s_mul_i32 s0, s7, s2
	s_mul_i32 s15, s15, s5
	s_add_co_i32 s0, s0, s12
	s_add_co_i32 s1, s17, s15
	s_mul_i32 s0, s0, s3
	s_mul_i32 s2, s3, s16
	s_add_co_i32 s0, s1, s0
	s_mulk_i32 s2, 0xc0
	s_mulk_i32 s0, 0x60
	s_mul_i32 s7, s6, s14
	v_add3_u32 v4, s0, s2, v0
	s_lshl_b32 s5, s12, 3
	s_add_co_i32 s15, s7, s6
	s_add_co_i32 s0, s5, s13
	s_lshl_b32 s1, s15, 4
	v_ashrrev_i32_e32 v5, 31, v4
	s_add_co_i32 s0, s0, s1
	s_add_co_i32 s2, s15, -2
	s_add_co_i32 s0, s0, -16
	s_wait_kmcnt 0x0
	global_load_b32 v3, v4, s[8:9] scale_offset
	s_ashr_i32 s1, s0, 31
	s_delay_alu instid0(SALU_CYCLE_1)
	s_lshl_b64 s[0:1], s[0:1], 3
	s_cmp_lt_i32 s2, s7
	s_add_nc_u64 s[0:1], s[10:11], s[0:1]
	s_load_b32 s16, s[0:1], 0x4
	s_cbranch_scc1 .LBB11_4
; %bb.2:
	s_wait_xcnt 0x0
	s_load_b32 s0, s[0:1], 0x0
	s_add_co_i32 s14, s14, 1
	s_mulk_i32 s12, 0x300
	s_wait_xcnt 0x0
	s_mul_i32 s1, s6, s14
	s_lshl_b32 s2, s4, 6
	s_lshl_b32 s6, s1, 4
	s_mulk_i32 s1, 0x600
	s_add_co_i32 s6, s13, s6
	s_mulk_i32 s13, 0x60
	s_lshl_b32 s4, s4, 4
	s_add_co_i32 s12, s13, s12
	s_ashr_i32 s3, s2, 31
	s_add_co_i32 s12, s12, s1
	s_add_co_i32 s1, s6, s4
	v_add3_u32 v0, s12, v0, 0xfffff400
	s_wait_kmcnt 0x0
	v_mov_b32_e32 v2, s16
	s_lshl_b64 s[2:3], s[2:3], 2
	s_add_co_i32 s4, s1, s5
	s_add_nc_u64 s[2:3], s[10:11], s[2:3]
	s_add_co_i32 s1, s15, -1
	s_sub_co_i32 s4, s4, 32
.LBB11_3:                               ; =>This Inner Loop Header: Depth=1
	global_load_b32 v7, v0, s[2:3] scale_offset
	s_ashr_i32 s5, s4, 31
	v_max_num_f32_e64 v1, s0, s0
	s_lshl_b64 s[12:13], s[4:5], 3
	s_delay_alu instid0(SALU_CYCLE_1) | instskip(SKIP_1) | instid1(VALU_DEP_1)
	s_add_nc_u64 s[12:13], s[10:11], s[12:13]
	s_load_b64 s[12:13], s[12:13], 0x0
	v_readfirstlane_b32 s5, v1
	v_add_nc_u32_e32 v0, 0xfffffa00, v0
	s_wait_kmcnt 0x0
	v_max_num_f32_e64 v1, s12, s12
	s_delay_alu instid0(VALU_DEP_1) | instskip(SKIP_1) | instid1(SALU_CYCLE_3)
	v_readfirstlane_b32 s6, v1
	s_max_num_f32 s5, s5, s6
	s_sub_f32 s0, s0, s5
	s_sub_f32 s6, s12, s5
	s_delay_alu instid0(SALU_CYCLE_2) | instskip(NEXT) | instid1(SALU_CYCLE_2)
	s_mul_f32 s12, s0, 0x3fb8aa3b
	s_mul_f32 s14, s6, 0x3fb8aa3b
	s_delay_alu instid0(SALU_CYCLE_2)
	s_xor_b32 s15, s12, 0x80000000
	s_rndne_f32 s16, s12
	s_fmamk_f32 s15, s0, 0x3fb8aa3b, s15
	s_cmp_nlt_f32 s0, 0xc2ce8ed0
	s_rndne_f32 s17, s14
	s_sub_f32 s12, s12, s16
	s_fmamk_f32 s15, s0, 0x32a5705f, s15
	s_cselect_b32 vcc_lo, -1, 0
	s_cmp_ngt_f32 s0, 0x42b17218
	s_delay_alu instid0(SALU_CYCLE_1) | instskip(SKIP_2) | instid1(SALU_CYCLE_1)
	s_add_f32 s12, s12, s15
	s_cvt_i32_f32 s15, s16
	s_sub_f32 s16, s14, s17
	v_s_exp_f32 s12, s12
	v_nop
	s_delay_alu instid0(TRANS32_DEP_1) | instskip(SKIP_1) | instid1(VALU_DEP_1)
	v_ldexp_f32 v1, s12, s15
	s_cvt_i32_f32 s12, s17
	v_cndmask_b32_e32 v1, 0, v1, vcc_lo
	s_cselect_b32 vcc_lo, -1, 0
	s_cmp_ge_f32 s0, 0xc1a00000
	s_delay_alu instid0(VALU_DEP_1)
	v_cndmask_b32_e32 v1, 0x7f800000, v1, vcc_lo
	s_cselect_b32 vcc_lo, -1, 0
	s_xor_b32 s0, s14, 0x80000000
	s_cmp_nlt_f32 s6, 0xc2ce8ed0
	s_fmamk_f32 s0, s6, 0x3fb8aa3b, s0
	v_cndmask_b32_e32 v10, 0, v1, vcc_lo
	s_delay_alu instid0(SALU_CYCLE_2) | instskip(NEXT) | instid1(SALU_CYCLE_3)
	s_fmamk_f32 s0, s6, 0x32a5705f, s0
	s_add_f32 s0, s16, s0
	s_delay_alu instid0(SALU_CYCLE_3) | instskip(SKIP_1) | instid1(TRANS32_DEP_1)
	v_s_exp_f32 s0, s0
	v_nop
	v_ldexp_f32 v6, s0, s12
	s_cselect_b32 s0, -1, 0
	s_cmp_ngt_f32 s6, 0x42b17218
	s_delay_alu instid0(VALU_DEP_1) | instskip(SKIP_2) | instid1(VALU_DEP_1)
	v_cndmask_b32_e64 v6, 0, v6, s0
	s_cselect_b32 s0, -1, 0
	s_cmp_ge_f32 s6, 0xc1a00000
	v_cndmask_b32_e64 v8, 0x7f800000, v6, s0
	s_cselect_b32 s0, -1, 0
	v_mov_b32_e32 v6, s13
	s_add_co_i32 s1, s1, -1
	s_add_co_i32 s4, s4, -16
	v_cndmask_b32_e64 v8, 0, v8, s0
	s_cmp_le_i32 s1, s7
	s_mov_b32 s0, s5
	s_wait_loadcnt 0x0
	s_delay_alu instid0(VALU_DEP_1) | instskip(NEXT) | instid1(VALU_DEP_1)
	v_pk_mul_f32 v[6:7], v[6:7], v[8:9] op_sel_hi:[1,0]
	v_pk_fma_f32 v[2:3], v[2:3], v[10:11], v[6:7] op_sel_hi:[1,0,1]
	s_cbranch_scc0 .LBB11_3
	s_branch .LBB11_5
.LBB11_4:
	s_wait_kmcnt 0x0
	v_mov_b32_e32 v2, s16
.LBB11_5:
	v_lshl_add_u64 v[0:1], v[4:5], 2, s[8:9]
	s_wait_loadcnt 0x0
	s_delay_alu instid0(VALU_DEP_2) | instskip(NEXT) | instid1(VALU_DEP_1)
	v_div_scale_f32 v4, null, v2, v2, v3
	v_rcp_f32_e32 v5, v4
	v_nop
	s_delay_alu instid0(TRANS32_DEP_1) | instskip(NEXT) | instid1(VALU_DEP_1)
	v_fma_f32 v6, -v4, v5, 1.0
	v_fmac_f32_e32 v5, v6, v5
	v_div_scale_f32 v6, vcc_lo, v3, v2, v3
	s_delay_alu instid0(VALU_DEP_1) | instskip(NEXT) | instid1(VALU_DEP_1)
	v_mul_f32_e32 v7, v6, v5
	v_fma_f32 v8, -v4, v7, v6
	s_delay_alu instid0(VALU_DEP_1) | instskip(NEXT) | instid1(VALU_DEP_1)
	v_fmac_f32_e32 v7, v8, v5
	v_fma_f32 v4, -v4, v7, v6
	s_delay_alu instid0(VALU_DEP_1) | instskip(NEXT) | instid1(VALU_DEP_1)
	v_div_fmas_f32 v4, v4, v5, v7
	v_div_fixup_f32 v2, v4, v2, v3
	global_store_b32 v[0:1], v2, off
.LBB11_6:
	s_endpgm
	.section	.rodata,"a",@progbits
	.p2align	6, 0x0
	.amdhsa_kernel _ZL33flash_attn_stream_k_fixup_uniformILi96ELi2ELi8EEvPfPK15HIP_vector_typeIfLj2EEiiiiiiS1_IjLj3EES5_S5_
		.amdhsa_group_segment_fixed_size 0
		.amdhsa_private_segment_fixed_size 0
		.amdhsa_kernarg_size 76
		.amdhsa_user_sgpr_count 2
		.amdhsa_user_sgpr_dispatch_ptr 0
		.amdhsa_user_sgpr_queue_ptr 0
		.amdhsa_user_sgpr_kernarg_segment_ptr 1
		.amdhsa_user_sgpr_dispatch_id 0
		.amdhsa_user_sgpr_kernarg_preload_length 0
		.amdhsa_user_sgpr_kernarg_preload_offset 0
		.amdhsa_user_sgpr_private_segment_size 0
		.amdhsa_wavefront_size32 1
		.amdhsa_uses_dynamic_stack 0
		.amdhsa_enable_private_segment 0
		.amdhsa_system_sgpr_workgroup_id_x 1
		.amdhsa_system_sgpr_workgroup_id_y 1
		.amdhsa_system_sgpr_workgroup_id_z 1
		.amdhsa_system_sgpr_workgroup_info 0
		.amdhsa_system_vgpr_workitem_id 0
		.amdhsa_next_free_vgpr 12
		.amdhsa_next_free_sgpr 21
		.amdhsa_named_barrier_count 0
		.amdhsa_reserve_vcc 1
		.amdhsa_float_round_mode_32 0
		.amdhsa_float_round_mode_16_64 0
		.amdhsa_float_denorm_mode_32 3
		.amdhsa_float_denorm_mode_16_64 3
		.amdhsa_fp16_overflow 0
		.amdhsa_memory_ordered 1
		.amdhsa_forward_progress 1
		.amdhsa_inst_pref_size 9
		.amdhsa_round_robin_scheduling 0
		.amdhsa_exception_fp_ieee_invalid_op 0
		.amdhsa_exception_fp_denorm_src 0
		.amdhsa_exception_fp_ieee_div_zero 0
		.amdhsa_exception_fp_ieee_overflow 0
		.amdhsa_exception_fp_ieee_underflow 0
		.amdhsa_exception_fp_ieee_inexact 0
		.amdhsa_exception_int_div_zero 0
	.end_amdhsa_kernel
	.section	.text._ZL33flash_attn_stream_k_fixup_uniformILi96ELi2ELi8EEvPfPK15HIP_vector_typeIfLj2EEiiiiiiS1_IjLj3EES5_S5_,"axG",@progbits,_ZL33flash_attn_stream_k_fixup_uniformILi96ELi2ELi8EEvPfPK15HIP_vector_typeIfLj2EEiiiiiiS1_IjLj3EES5_S5_,comdat
.Lfunc_end11:
	.size	_ZL33flash_attn_stream_k_fixup_uniformILi96ELi2ELi8EEvPfPK15HIP_vector_typeIfLj2EEiiiiiiS1_IjLj3EES5_S5_, .Lfunc_end11-_ZL33flash_attn_stream_k_fixup_uniformILi96ELi2ELi8EEvPfPK15HIP_vector_typeIfLj2EEiiiiiiS1_IjLj3EES5_S5_
                                        ; -- End function
	.set _ZL33flash_attn_stream_k_fixup_uniformILi96ELi2ELi8EEvPfPK15HIP_vector_typeIfLj2EEiiiiiiS1_IjLj3EES5_S5_.num_vgpr, 12
	.set _ZL33flash_attn_stream_k_fixup_uniformILi96ELi2ELi8EEvPfPK15HIP_vector_typeIfLj2EEiiiiiiS1_IjLj3EES5_S5_.num_agpr, 0
	.set _ZL33flash_attn_stream_k_fixup_uniformILi96ELi2ELi8EEvPfPK15HIP_vector_typeIfLj2EEiiiiiiS1_IjLj3EES5_S5_.numbered_sgpr, 21
	.set _ZL33flash_attn_stream_k_fixup_uniformILi96ELi2ELi8EEvPfPK15HIP_vector_typeIfLj2EEiiiiiiS1_IjLj3EES5_S5_.num_named_barrier, 0
	.set _ZL33flash_attn_stream_k_fixup_uniformILi96ELi2ELi8EEvPfPK15HIP_vector_typeIfLj2EEiiiiiiS1_IjLj3EES5_S5_.private_seg_size, 0
	.set _ZL33flash_attn_stream_k_fixup_uniformILi96ELi2ELi8EEvPfPK15HIP_vector_typeIfLj2EEiiiiiiS1_IjLj3EES5_S5_.uses_vcc, 1
	.set _ZL33flash_attn_stream_k_fixup_uniformILi96ELi2ELi8EEvPfPK15HIP_vector_typeIfLj2EEiiiiiiS1_IjLj3EES5_S5_.uses_flat_scratch, 0
	.set _ZL33flash_attn_stream_k_fixup_uniformILi96ELi2ELi8EEvPfPK15HIP_vector_typeIfLj2EEiiiiiiS1_IjLj3EES5_S5_.has_dyn_sized_stack, 0
	.set _ZL33flash_attn_stream_k_fixup_uniformILi96ELi2ELi8EEvPfPK15HIP_vector_typeIfLj2EEiiiiiiS1_IjLj3EES5_S5_.has_recursion, 0
	.set _ZL33flash_attn_stream_k_fixup_uniformILi96ELi2ELi8EEvPfPK15HIP_vector_typeIfLj2EEiiiiiiS1_IjLj3EES5_S5_.has_indirect_call, 0
	.section	.AMDGPU.csdata,"",@progbits
; Kernel info:
; codeLenInByte = 1084
; TotalNumSgprs: 23
; NumVgprs: 12
; ScratchSize: 0
; MemoryBound: 0
; FloatMode: 240
; IeeeMode: 1
; LDSByteSize: 0 bytes/workgroup (compile time only)
; SGPRBlocks: 0
; VGPRBlocks: 0
; NumSGPRsForWavesPerEU: 23
; NumVGPRsForWavesPerEU: 12
; NamedBarCnt: 0
; Occupancy: 16
; WaveLimiterHint : 0
; COMPUTE_PGM_RSRC2:SCRATCH_EN: 0
; COMPUTE_PGM_RSRC2:USER_SGPR: 2
; COMPUTE_PGM_RSRC2:TRAP_HANDLER: 0
; COMPUTE_PGM_RSRC2:TGID_X_EN: 1
; COMPUTE_PGM_RSRC2:TGID_Y_EN: 1
; COMPUTE_PGM_RSRC2:TGID_Z_EN: 1
; COMPUTE_PGM_RSRC2:TIDIG_COMP_CNT: 0
	.section	.text._ZL33flash_attn_stream_k_fixup_generalILi96ELi2ELi8EEvPfPK15HIP_vector_typeIfLj2EEiiiiS1_IjLj3EES5_S5_S5_,"axG",@progbits,_ZL33flash_attn_stream_k_fixup_generalILi96ELi2ELi8EEvPfPK15HIP_vector_typeIfLj2EEiiiiS1_IjLj3EES5_S5_S5_,comdat
	.globl	_ZL33flash_attn_stream_k_fixup_generalILi96ELi2ELi8EEvPfPK15HIP_vector_typeIfLj2EEiiiiS1_IjLj3EES5_S5_S5_ ; -- Begin function _ZL33flash_attn_stream_k_fixup_generalILi96ELi2ELi8EEvPfPK15HIP_vector_typeIfLj2EEiiiiS1_IjLj3EES5_S5_S5_
	.p2align	8
	.type	_ZL33flash_attn_stream_k_fixup_generalILi96ELi2ELi8EEvPfPK15HIP_vector_typeIfLj2EEiiiiS1_IjLj3EES5_S5_S5_,@function
_ZL33flash_attn_stream_k_fixup_generalILi96ELi2ELi8EEvPfPK15HIP_vector_typeIfLj2EEiiiiS1_IjLj3EES5_S5_S5_: ; @_ZL33flash_attn_stream_k_fixup_generalILi96ELi2ELi8EEvPfPK15HIP_vector_typeIfLj2EEiiiiS1_IjLj3EES5_S5_S5_
; %bb.0:
	s_clause 0x1
	s_load_b128 s[4:7], s[0:1], 0x10
	s_load_b32 s16, s[0:1], 0x50
	s_bfe_u32 s2, ttmp6, 0x4000c
	s_and_b32 s3, ttmp6, 15
	s_add_co_i32 s2, s2, 1
	s_getreg_b32 s15, hwreg(HW_REG_IB_STS2, 6, 4)
	s_mul_i32 s2, ttmp9, s2
	s_mov_b32 s17, 0
	s_add_co_i32 s3, s3, s2
	s_cmp_eq_u32 s15, 0
	s_cselect_b32 s2, ttmp9, s3
	s_delay_alu instid0(SALU_CYCLE_1) | instskip(SKIP_3) | instid1(SALU_CYCLE_1)
	s_ashr_i32 s3, s2, 31
	s_wait_kmcnt 0x0
	s_ashr_i32 s19, s7, 31
	s_mov_b32 s18, s7
	s_mul_u64 s[8:9], s[18:19], s[2:3]
	s_delay_alu instid0(SALU_CYCLE_1) | instskip(NEXT) | instid1(SALU_CYCLE_1)
	s_and_b64 s[10:11], s[8:9], 0xffffffff00000000
	s_cmp_lg_u64 s[10:11], 0
	s_cbranch_scc0 .LBB12_21
; %bb.1:
	s_add_nc_u64 s[10:11], s[16:17], 0
	s_mov_b32 s23, s17
	s_xor_b64 s[10:11], s[10:11], 0
	s_mov_b32 s27, s17
	s_cvt_f32_u32 s3, s10
	s_cvt_f32_u32 s7, s11
	s_sub_nc_u64 s[20:21], 0, s[10:11]
	s_delay_alu instid0(SALU_CYCLE_2) | instskip(NEXT) | instid1(SALU_CYCLE_3)
	s_fmamk_f32 s3, s7, 0x4f800000, s3
	v_s_rcp_f32 s3, s3
	s_delay_alu instid0(TRANS32_DEP_1) | instskip(NEXT) | instid1(SALU_CYCLE_3)
	s_mul_f32 s3, s3, 0x5f7ffffc
	s_mul_f32 s7, s3, 0x2f800000
	s_delay_alu instid0(SALU_CYCLE_3) | instskip(NEXT) | instid1(SALU_CYCLE_3)
	s_trunc_f32 s7, s7
	s_fmamk_f32 s3, s7, 0xcf800000, s3
	s_cvt_u32_f32 s13, s7
	s_delay_alu instid0(SALU_CYCLE_2) | instskip(NEXT) | instid1(SALU_CYCLE_3)
	s_cvt_u32_f32 s12, s3
	s_mul_u64 s[24:25], s[20:21], s[12:13]
	s_delay_alu instid0(SALU_CYCLE_1)
	s_mul_hi_u32 s29, s12, s25
	s_mul_i32 s28, s12, s25
	s_mul_hi_u32 s22, s12, s24
	s_mul_i32 s7, s13, s24
	s_add_nc_u64 s[22:23], s[22:23], s[28:29]
	s_mul_hi_u32 s3, s13, s24
	s_mul_hi_u32 s14, s13, s25
	s_add_co_u32 s7, s22, s7
	s_add_co_ci_u32 s26, s23, s3
	s_mul_i32 s24, s13, s25
	s_add_co_ci_u32 s25, s14, 0
	s_delay_alu instid0(SALU_CYCLE_1) | instskip(SKIP_3) | instid1(SALU_CYCLE_1)
	s_add_nc_u64 s[22:23], s[26:27], s[24:25]
	s_mov_b32 s25, s17
	s_add_co_u32 s12, s12, s22
	s_cselect_b32 s3, -1, 0
	s_cmp_lg_u32 s3, 0
	s_add_co_ci_u32 s13, s13, s23
	s_mov_b32 s23, s17
	s_mul_u64 s[20:21], s[20:21], s[12:13]
	s_delay_alu instid0(SALU_CYCLE_1)
	s_mul_hi_u32 s27, s12, s21
	s_mul_i32 s26, s12, s21
	s_mul_hi_u32 s22, s12, s20
	s_mul_i32 s7, s13, s20
	s_add_nc_u64 s[22:23], s[22:23], s[26:27]
	s_mul_hi_u32 s3, s13, s20
	s_mul_hi_u32 s14, s13, s21
	s_add_co_u32 s7, s22, s7
	s_add_co_ci_u32 s24, s23, s3
	s_mul_i32 s20, s13, s21
	s_add_co_ci_u32 s21, s14, 0
	s_mov_b32 s23, s17
	s_add_nc_u64 s[20:21], s[24:25], s[20:21]
	s_delay_alu instid0(SALU_CYCLE_1) | instskip(SKIP_1) | instid1(SALU_CYCLE_1)
	s_add_co_u32 s3, s12, s20
	s_cselect_b32 s7, -1, 0
	s_cmp_lg_u32 s7, 0
	s_add_co_ci_u32 s7, s13, s21
	s_ashr_i32 s12, s9, 31
	s_delay_alu instid0(SALU_CYCLE_1) | instskip(NEXT) | instid1(SALU_CYCLE_1)
	s_mov_b32 s13, s12
	s_add_nc_u64 s[20:21], s[8:9], s[12:13]
	s_delay_alu instid0(SALU_CYCLE_1) | instskip(NEXT) | instid1(SALU_CYCLE_1)
	s_xor_b64 s[20:21], s[20:21], s[12:13]
	s_mul_hi_u32 s27, s20, s7
	s_mul_i32 s26, s20, s7
	s_mul_hi_u32 s22, s20, s3
	s_mul_hi_u32 s14, s21, s3
	s_mul_i32 s3, s21, s3
	s_add_nc_u64 s[22:23], s[22:23], s[26:27]
	s_mul_hi_u32 s9, s21, s7
	s_add_co_u32 s3, s22, s3
	s_add_co_ci_u32 s24, s23, s14
	s_mul_i32 s26, s21, s7
	s_add_co_ci_u32 s27, s9, 0
	s_delay_alu instid0(SALU_CYCLE_1) | instskip(NEXT) | instid1(SALU_CYCLE_1)
	s_add_nc_u64 s[22:23], s[24:25], s[26:27]
	s_and_b64 s[24:25], s[22:23], 0xffffffff00000000
	s_delay_alu instid0(SALU_CYCLE_1) | instskip(NEXT) | instid1(SALU_CYCLE_1)
	s_or_b32 s24, s24, s22
	s_mul_u64 s[22:23], s[10:11], s[24:25]
	s_add_nc_u64 s[26:27], s[24:25], 1
	s_sub_co_u32 s3, s20, s22
	s_cselect_b32 s7, -1, 0
	s_sub_co_i32 s9, s21, s23
	s_cmp_lg_u32 s7, 0
	s_add_nc_u64 s[28:29], s[24:25], 2
	s_sub_co_ci_u32 s9, s9, s11
	s_sub_co_u32 s14, s3, s10
	s_cselect_b32 s20, -1, 0
	s_delay_alu instid0(SALU_CYCLE_1) | instskip(SKIP_1) | instid1(SALU_CYCLE_1)
	s_cmp_lg_u32 s20, 0
	s_sub_co_ci_u32 s9, s9, 0
	s_cmp_ge_u32 s9, s11
	s_cselect_b32 s20, -1, 0
	s_cmp_ge_u32 s14, s10
	s_cselect_b32 s14, -1, 0
	s_cmp_eq_u32 s9, s11
	s_cselect_b32 s9, s14, s20
	s_delay_alu instid0(SALU_CYCLE_1) | instskip(SKIP_4) | instid1(SALU_CYCLE_1)
	s_cmp_lg_u32 s9, 0
	s_cselect_b32 s9, s28, s26
	s_cselect_b32 s14, s29, s27
	s_cmp_lg_u32 s7, 0
	s_sub_co_ci_u32 s7, s21, s23
	s_cmp_ge_u32 s7, s11
	s_cselect_b32 s20, -1, 0
	s_cmp_ge_u32 s3, s10
	s_cselect_b32 s3, -1, 0
	s_cmp_eq_u32 s7, s11
	s_cselect_b32 s3, s3, s20
	s_delay_alu instid0(SALU_CYCLE_1) | instskip(SKIP_4) | instid1(SALU_CYCLE_1)
	s_cmp_lg_u32 s3, 0
	s_mov_b32 s3, s17
	s_cselect_b32 s11, s14, s25
	s_cselect_b32 s10, s9, s24
	s_xor_b64 s[12:13], s[12:13], 0
	s_xor_b64 s[10:11], s[10:11], s[12:13]
	s_delay_alu instid0(SALU_CYCLE_1)
	s_sub_nc_u64 s[20:21], s[10:11], s[12:13]
	s_and_not1_b32 vcc_lo, exec_lo, s3
	s_cbranch_vccnz .LBB12_3
.LBB12_2:
	v_cvt_f32_u32_e32 v1, s16
	s_sub_co_i32 s7, 0, s16
	s_mov_b32 s21, 0
	s_delay_alu instid0(VALU_DEP_1) | instskip(SKIP_1) | instid1(TRANS32_DEP_1)
	v_rcp_iflag_f32_e32 v1, v1
	v_nop
	v_mul_f32_e32 v1, 0x4f7ffffe, v1
	s_delay_alu instid0(VALU_DEP_1) | instskip(NEXT) | instid1(VALU_DEP_1)
	v_cvt_u32_f32_e32 v1, v1
	v_readfirstlane_b32 s3, v1
	s_mul_i32 s7, s7, s3
	s_delay_alu instid0(SALU_CYCLE_1) | instskip(NEXT) | instid1(SALU_CYCLE_1)
	s_mul_hi_u32 s7, s3, s7
	s_add_co_i32 s3, s3, s7
	s_delay_alu instid0(SALU_CYCLE_1) | instskip(NEXT) | instid1(SALU_CYCLE_1)
	s_mul_hi_u32 s3, s8, s3
	s_mul_i32 s7, s3, s16
	s_delay_alu instid0(SALU_CYCLE_1)
	s_sub_co_i32 s7, s8, s7
	s_add_co_i32 s8, s3, 1
	s_sub_co_i32 s9, s7, s16
	s_cmp_ge_u32 s7, s16
	s_cselect_b32 s3, s8, s3
	s_cselect_b32 s7, s9, s7
	s_add_co_i32 s8, s3, 1
	s_cmp_ge_u32 s7, s16
	s_cselect_b32 s20, s8, s3
.LBB12_3:
	s_add_co_i32 s8, s2, 1
	s_delay_alu instid0(SALU_CYCLE_1) | instskip(NEXT) | instid1(SALU_CYCLE_1)
	s_ashr_i32 s9, s8, 31
	s_mul_u64 s[8:9], s[18:19], s[8:9]
	s_delay_alu instid0(SALU_CYCLE_1) | instskip(NEXT) | instid1(SALU_CYCLE_1)
	s_and_b64 s[10:11], s[8:9], 0xffffffff00000000
	s_cmp_lg_u64 s[10:11], 0
	s_cbranch_scc0 .LBB12_22
; %bb.4:
	s_add_nc_u64 s[10:11], s[16:17], 0
	s_delay_alu instid0(SALU_CYCLE_1) | instskip(SKIP_4) | instid1(SALU_CYCLE_2)
	s_xor_b64 s[12:13], s[10:11], 0
	s_mov_b32 s11, 0
	s_cvt_f32_u32 s3, s12
	s_cvt_f32_u32 s7, s13
	s_sub_nc_u64 s[24:25], 0, s[12:13]
	s_fmamk_f32 s3, s7, 0x4f800000, s3
	s_delay_alu instid0(SALU_CYCLE_3) | instskip(NEXT) | instid1(TRANS32_DEP_1)
	v_s_rcp_f32 s3, s3
	s_mul_f32 s3, s3, 0x5f7ffffc
	s_delay_alu instid0(SALU_CYCLE_3) | instskip(NEXT) | instid1(SALU_CYCLE_3)
	s_mul_f32 s7, s3, 0x2f800000
	s_trunc_f32 s7, s7
	s_delay_alu instid0(SALU_CYCLE_3) | instskip(SKIP_1) | instid1(SALU_CYCLE_2)
	s_fmamk_f32 s3, s7, 0xcf800000, s3
	s_cvt_u32_f32 s23, s7
	s_cvt_u32_f32 s22, s3
	s_delay_alu instid0(SALU_CYCLE_3) | instskip(NEXT) | instid1(SALU_CYCLE_1)
	s_mul_u64 s[26:27], s[24:25], s[22:23]
	s_mul_hi_u32 s29, s22, s27
	s_mul_i32 s28, s22, s27
	s_mul_hi_u32 s10, s22, s26
	s_mul_i32 s7, s23, s26
	s_add_nc_u64 s[28:29], s[10:11], s[28:29]
	s_mul_hi_u32 s3, s23, s26
	s_mul_hi_u32 s14, s23, s27
	s_add_co_u32 s7, s28, s7
	s_add_co_ci_u32 s10, s29, s3
	s_mul_i32 s26, s23, s27
	s_add_co_ci_u32 s27, s14, 0
	s_delay_alu instid0(SALU_CYCLE_1) | instskip(NEXT) | instid1(SALU_CYCLE_1)
	s_add_nc_u64 s[26:27], s[10:11], s[26:27]
	s_add_co_u32 s22, s22, s26
	s_cselect_b32 s3, -1, 0
	s_delay_alu instid0(SALU_CYCLE_1) | instskip(SKIP_1) | instid1(SALU_CYCLE_1)
	s_cmp_lg_u32 s3, 0
	s_add_co_ci_u32 s23, s23, s27
	s_mul_u64 s[24:25], s[24:25], s[22:23]
	s_delay_alu instid0(SALU_CYCLE_1)
	s_mul_hi_u32 s27, s22, s25
	s_mul_i32 s26, s22, s25
	s_mul_hi_u32 s10, s22, s24
	s_mul_i32 s7, s23, s24
	s_add_nc_u64 s[26:27], s[10:11], s[26:27]
	s_mul_hi_u32 s3, s23, s24
	s_mul_hi_u32 s14, s23, s25
	s_add_co_u32 s7, s26, s7
	s_add_co_ci_u32 s10, s27, s3
	s_mul_i32 s24, s23, s25
	s_add_co_ci_u32 s25, s14, 0
	s_delay_alu instid0(SALU_CYCLE_1) | instskip(NEXT) | instid1(SALU_CYCLE_1)
	s_add_nc_u64 s[24:25], s[10:11], s[24:25]
	s_add_co_u32 s3, s22, s24
	s_cselect_b32 s7, -1, 0
	s_delay_alu instid0(SALU_CYCLE_1) | instskip(SKIP_2) | instid1(SALU_CYCLE_1)
	s_cmp_lg_u32 s7, 0
	s_add_co_ci_u32 s7, s23, s25
	s_ashr_i32 s22, s9, 31
	s_mov_b32 s23, s22
	s_delay_alu instid0(SALU_CYCLE_1) | instskip(NEXT) | instid1(SALU_CYCLE_1)
	s_add_nc_u64 s[24:25], s[8:9], s[22:23]
	s_xor_b64 s[24:25], s[24:25], s[22:23]
	s_delay_alu instid0(SALU_CYCLE_1)
	s_mul_hi_u32 s27, s24, s7
	s_mul_i32 s26, s24, s7
	s_mul_hi_u32 s10, s24, s3
	s_mul_hi_u32 s14, s25, s3
	s_mul_i32 s3, s25, s3
	s_add_nc_u64 s[26:27], s[10:11], s[26:27]
	s_mul_hi_u32 s9, s25, s7
	s_add_co_u32 s3, s26, s3
	s_add_co_ci_u32 s10, s27, s14
	s_mul_i32 s28, s25, s7
	s_add_co_ci_u32 s29, s9, 0
	s_delay_alu instid0(SALU_CYCLE_1) | instskip(NEXT) | instid1(SALU_CYCLE_1)
	s_add_nc_u64 s[26:27], s[10:11], s[28:29]
	s_and_b64 s[28:29], s[26:27], 0xffffffff00000000
	s_delay_alu instid0(SALU_CYCLE_1) | instskip(NEXT) | instid1(SALU_CYCLE_1)
	s_or_b32 s28, s28, s26
	s_mul_u64 s[26:27], s[12:13], s[28:29]
	s_add_nc_u64 s[30:31], s[28:29], 1
	s_sub_co_u32 s3, s24, s26
	s_cselect_b32 s7, -1, 0
	s_sub_co_i32 s9, s25, s27
	s_cmp_lg_u32 s7, 0
	s_add_nc_u64 s[34:35], s[28:29], 2
	s_sub_co_ci_u32 s9, s9, s13
	s_sub_co_u32 s10, s3, s12
	s_cselect_b32 s14, -1, 0
	s_delay_alu instid0(SALU_CYCLE_1) | instskip(SKIP_1) | instid1(SALU_CYCLE_1)
	s_cmp_lg_u32 s14, 0
	s_sub_co_ci_u32 s9, s9, 0
	s_cmp_ge_u32 s9, s13
	s_cselect_b32 s14, -1, 0
	s_cmp_ge_u32 s10, s12
	s_cselect_b32 s10, -1, 0
	s_cmp_eq_u32 s9, s13
	s_cselect_b32 s9, s10, s14
	s_delay_alu instid0(SALU_CYCLE_1) | instskip(SKIP_4) | instid1(SALU_CYCLE_1)
	s_cmp_lg_u32 s9, 0
	s_cselect_b32 s9, s34, s30
	s_cselect_b32 s10, s35, s31
	s_cmp_lg_u32 s7, 0
	s_sub_co_ci_u32 s7, s25, s27
	s_cmp_ge_u32 s7, s13
	s_cselect_b32 s14, -1, 0
	s_cmp_ge_u32 s3, s12
	s_cselect_b32 s3, -1, 0
	s_cmp_eq_u32 s7, s13
	s_cselect_b32 s3, s3, s14
	s_delay_alu instid0(SALU_CYCLE_1) | instskip(SKIP_3) | instid1(SALU_CYCLE_1)
	s_cmp_lg_u32 s3, 0
	s_cselect_b32 s13, s10, s29
	s_cselect_b32 s12, s9, s28
	s_xor_b64 s[22:23], s[22:23], 0
	s_xor_b64 s[12:13], s[12:13], s[22:23]
	s_delay_alu instid0(SALU_CYCLE_1)
	s_sub_nc_u64 s[24:25], s[12:13], s[22:23]
	s_load_b96 s[12:14], s[0:1], 0x44
	s_cbranch_execnz .LBB12_6
.LBB12_5:
	v_cvt_f32_u32_e32 v1, s16
	s_sub_co_i32 s7, 0, s16
	s_delay_alu instid0(VALU_DEP_1) | instskip(SKIP_1) | instid1(TRANS32_DEP_1)
	v_rcp_iflag_f32_e32 v1, v1
	v_nop
	v_mul_f32_e32 v1, 0x4f7ffffe, v1
	s_delay_alu instid0(VALU_DEP_1) | instskip(NEXT) | instid1(VALU_DEP_1)
	v_cvt_u32_f32_e32 v1, v1
	v_readfirstlane_b32 s3, v1
	s_mul_i32 s7, s7, s3
	s_delay_alu instid0(SALU_CYCLE_1) | instskip(NEXT) | instid1(SALU_CYCLE_1)
	s_mul_hi_u32 s7, s3, s7
	s_add_co_i32 s3, s3, s7
	s_delay_alu instid0(SALU_CYCLE_1) | instskip(NEXT) | instid1(SALU_CYCLE_1)
	s_mul_hi_u32 s3, s8, s3
	s_mul_i32 s7, s3, s16
	s_delay_alu instid0(SALU_CYCLE_1)
	s_sub_co_i32 s7, s8, s7
	s_add_co_i32 s8, s3, 1
	s_sub_co_i32 s9, s7, s16
	s_cmp_ge_u32 s7, s16
	s_cselect_b32 s3, s8, s3
	s_cselect_b32 s7, s9, s7
	s_add_co_i32 s8, s3, 1
	s_cmp_ge_u32 s7, s16
	s_cselect_b32 s24, s8, s3
.LBB12_6:
	s_delay_alu instid0(SALU_CYCLE_1)
	s_cmp_eq_u32 s20, s24
	s_mov_b64 s[8:9], 0xffffffff
	s_cselect_b32 s3, -1, 0
	s_and_b64 s[8:9], s[20:21], s[8:9]
	s_mov_b32 s23, 0
	s_wait_kmcnt 0x0
	s_mov_b32 s22, s12
	s_mov_b32 s25, s23
	s_mul_u64 s[10:11], s[8:9], s[22:23]
	s_delay_alu instid0(SALU_CYCLE_1) | instskip(SKIP_2) | instid1(SALU_CYCLE_1)
	s_add_co_i32 s7, s11, s20
	s_mul_u64 s[10:11], s[24:25], s[22:23]
	s_lshr_b32 s12, s7, s13
	s_mul_i32 s7, s12, s14
	s_delay_alu instid0(SALU_CYCLE_1) | instskip(SKIP_2) | instid1(SALU_CYCLE_1)
	s_cmp_eq_u32 s7, s20
	s_cselect_b32 s7, -1, 0
	s_add_co_i32 s10, s11, s24
	s_lshr_b32 s10, s10, s13
	s_delay_alu instid0(SALU_CYCLE_1)
	s_cmp_eq_u32 s12, s10
	s_mul_i32 s10, s10, s14
	s_cselect_b32 s11, -1, 0
	s_cmp_lg_u32 s10, s24
	s_cselect_b32 s10, -1, 0
	s_or_b32 s3, s3, s7
	s_and_b32 s10, s11, s10
	s_delay_alu instid0(SALU_CYCLE_1) | instskip(NEXT) | instid1(SALU_CYCLE_1)
	s_or_b32 s3, s3, s10
	s_and_b32 vcc_lo, exec_lo, s3
	s_cbranch_vccnz .LBB12_24
; %bb.7:
	s_load_b256 s[24:31], s[0:1], 0x20
	s_bfe_u32 s7, ttmp6, 0x40014
	s_bfe_u32 s33, ttmp6, 0x40010
	s_lshr_b32 s3, ttmp7, 16
	s_add_co_i32 s7, s7, 1
	s_and_b32 s21, ttmp7, 0xffff
	s_add_co_i32 s33, s33, 1
	s_bfe_u32 s10, ttmp6, 0x40008
	s_mul_i32 s7, s3, s7
	s_bfe_u32 s34, ttmp6, 0x40004
	s_mul_i32 s33, s21, s33
	s_mov_b32 s11, s23
	s_add_co_i32 s35, s10, s7
	s_add_co_i32 s34, s34, s33
	s_cmp_eq_u32 s15, 0
	s_cselect_b32 s7, s21, s34
	s_cselect_b32 s3, s3, s35
	s_wait_kmcnt 0x0
	s_mov_b32 s10, s24
	s_delay_alu instid0(SALU_CYCLE_1) | instskip(NEXT) | instid1(SALU_CYCLE_1)
	s_mul_u64 s[8:9], s[8:9], s[10:11]
	s_add_co_i32 s8, s9, s20
	s_delay_alu instid0(SALU_CYCLE_1) | instskip(SKIP_2) | instid1(SALU_CYCLE_1)
	s_lshr_b32 s15, s8, s25
	s_load_b32 s8, s[0:1], 0x40
	s_mul_i32 s9, s15, s26
	s_sub_co_i32 s9, s20, s9
	s_delay_alu instid0(SALU_CYCLE_1) | instskip(NEXT) | instid1(SALU_CYCLE_1)
	s_mul_hi_u32 s10, s9, s27
	s_add_co_i32 s10, s9, s10
	s_delay_alu instid0(SALU_CYCLE_1) | instskip(NEXT) | instid1(SALU_CYCLE_1)
	s_lshr_b32 s21, s10, s28
	s_mul_i32 s10, s21, s29
	s_delay_alu instid0(SALU_CYCLE_1) | instskip(NEXT) | instid1(SALU_CYCLE_1)
	s_sub_co_i32 s10, s9, s10
	s_mul_hi_u32 s9, s10, s30
	s_delay_alu instid0(SALU_CYCLE_1) | instskip(NEXT) | instid1(SALU_CYCLE_1)
	s_add_co_i32 s9, s10, s9
	s_lshr_b32 s25, s9, s31
	s_mov_b32 s9, s23
	s_wait_kmcnt 0x0
	s_mul_i32 s8, s25, s8
	s_lshl_b32 s25, s25, 3
	s_sub_co_i32 s8, s10, s8
	s_delay_alu instid0(SALU_CYCLE_1) | instskip(NEXT) | instid1(SALU_CYCLE_1)
	s_mul_u64 s[10:11], s[8:9], s[22:23]
	s_add_co_i32 s8, s8, s11
	s_delay_alu instid0(SALU_CYCLE_1) | instskip(NEXT) | instid1(SALU_CYCLE_1)
	s_lshr_b32 s24, s8, s13
	s_lshl_b32 s8, s24, 1
	s_delay_alu instid0(SALU_CYCLE_1) | instskip(NEXT) | instid1(SALU_CYCLE_1)
	s_add_co_i32 s8, s8, s7
	s_cmp_lt_i32 s8, s4
	s_cselect_b32 s8, -1, 0
	s_add_co_i32 s25, s25, s3
	s_delay_alu instid0(SALU_CYCLE_1) | instskip(SKIP_1) | instid1(SALU_CYCLE_1)
	s_cmp_lt_i32 s25, s6
	s_cselect_b32 s9, -1, 0
	s_and_b32 s8, s8, s9
	s_delay_alu instid0(SALU_CYCLE_1)
	s_and_not1_b32 vcc_lo, exec_lo, s8
	s_cbranch_vccnz .LBB12_24
; %bb.8:
	s_load_b128 s[8:11], s[0:1], 0x0
	s_wait_xcnt 0x0
	s_mul_i32 s0, s15, s4
	s_mul_i32 s21, s21, s6
	s_add_co_i32 s0, s0, s7
	s_add_co_i32 s1, s25, s21
	s_mul_i32 s0, s0, s5
	s_mul_i32 s4, s5, s24
	s_add_co_i32 s0, s1, s0
	s_mulk_i32 s4, 0xc0
	s_mulk_i32 s0, 0x60
	s_lshl_b32 s15, s7, 3
	v_add3_u32 v2, s4, s0, v0
	s_add_nc_u64 s[0:1], s[16:17], 0
	s_add_co_i32 s15, s15, s3
	s_xor_b64 s[6:7], s[0:1], 0
	s_lshl_b32 s0, s2, 4
	s_cvt_f32_u32 s3, s6
	s_cvt_f32_u32 s4, s7
	s_add_co_i32 s0, s15, s0
	v_cvt_f32_u32_e32 v4, s16
	s_wait_kmcnt 0x0
	global_load_b32 v1, v2, s[8:9] scale_offset
	s_fmamk_f32 s3, s4, 0x4f800000, s3
	s_ashr_i32 s1, s0, 31
	s_lshl_b32 s24, s16, 6
	s_lshl_b64 s[0:1], s[0:1], 3
	v_s_rcp_f32 s3, s3
	s_add_nc_u64 s[0:1], s[10:11], s[0:1]
	v_rcp_iflag_f32_e32 v4, v4
	s_load_b64 s[28:29], s[0:1], 0x0
	s_mov_b32 s25, 0
	v_mad_u32 v6, 0x60, s15, v0
	v_ashrrev_i32_e32 v3, 31, v2
	s_wait_xcnt 0x0
	s_lshl_b64 s[0:1], s[24:25], 2
	s_mul_f32 s3, s3, 0x5f7ffffc
	v_mul_f32_e32 v4, 0x4f7ffffe, v4
	s_add_nc_u64 s[26:27], s[10:11], s[0:1]
	v_lshl_add_u64 v[2:3], v[2:3], 2, s[8:9]
	s_mul_f32 s4, s3, 0x2f800000
	s_mov_b64 s[8:9], 0xffffffff
	v_cvt_u32_f32_e32 v7, v4
	s_add_co_i32 s36, s2, -1
	s_trunc_f32 s4, s4
	s_sub_nc_u64 s[34:35], 0, s[6:7]
	s_delay_alu instid0(SALU_CYCLE_2)
	s_fmamk_f32 s0, s4, 0xcf800000, s3
	s_cvt_u32_f32 s31, s4
	s_wait_kmcnt 0x0
	v_mov_b32_e32 v0, s29
	s_cvt_u32_f32 s30, s0
.LBB12_9:                               ; =>This Inner Loop Header: Depth=1
	s_ashr_i32 s37, s36, 31
                                        ; implicit-def: $sgpr40_sgpr41
	s_delay_alu instid0(SALU_CYCLE_1) | instskip(NEXT) | instid1(SALU_CYCLE_1)
	s_mul_u64 s[0:1], s[36:37], s[18:19]
	s_and_b64 s[2:3], s[0:1], 0xffffffff00000000
	s_delay_alu instid0(SALU_CYCLE_1)
	s_cmp_lg_u64 s[2:3], 0
	s_mov_b32 s2, -1
	s_cbranch_scc0 .LBB12_11
; %bb.10:                               ;   in Loop: Header=BB12_9 Depth=1
	s_mul_u64 s[2:3], s[34:35], s[30:31]
	s_delay_alu instid0(SALU_CYCLE_1)
	s_mul_hi_u32 s5, s30, s3
	s_mul_i32 s4, s30, s3
	s_mul_hi_u32 s24, s30, s2
	s_mul_hi_u32 s17, s31, s2
	s_add_nc_u64 s[4:5], s[24:25], s[4:5]
	s_mul_i32 s2, s31, s2
	s_mul_hi_u32 s21, s31, s3
	s_add_co_u32 s2, s4, s2
	s_add_co_ci_u32 s24, s5, s17
	s_add_co_ci_u32 s5, s21, 0
	s_mul_i32 s4, s31, s3
	s_delay_alu instid0(SALU_CYCLE_1) | instskip(NEXT) | instid1(SALU_CYCLE_1)
	s_add_nc_u64 s[2:3], s[24:25], s[4:5]
	s_add_co_u32 s2, s30, s2
	s_cselect_b32 s4, -1, 0
	s_delay_alu instid0(SALU_CYCLE_1) | instskip(SKIP_1) | instid1(SALU_CYCLE_1)
	s_cmp_lg_u32 s4, 0
	s_add_co_ci_u32 s3, s31, s3
	s_mul_u64 s[4:5], s[34:35], s[2:3]
	s_delay_alu instid0(SALU_CYCLE_1)
	s_mul_hi_u32 s39, s2, s5
	s_mul_i32 s38, s2, s5
	s_mul_hi_u32 s24, s2, s4
	s_mul_hi_u32 s17, s3, s4
	s_mul_i32 s4, s3, s4
	s_add_nc_u64 s[38:39], s[24:25], s[38:39]
	s_mul_hi_u32 s21, s3, s5
	s_add_co_u32 s4, s38, s4
	s_add_co_ci_u32 s24, s39, s17
	s_mul_i32 s4, s3, s5
	s_add_co_ci_u32 s5, s21, 0
	s_delay_alu instid0(SALU_CYCLE_1) | instskip(NEXT) | instid1(SALU_CYCLE_1)
	s_add_nc_u64 s[4:5], s[24:25], s[4:5]
	s_add_co_u32 s17, s2, s4
	s_cselect_b32 s2, -1, 0
	s_delay_alu instid0(SALU_CYCLE_1) | instskip(SKIP_2) | instid1(SALU_CYCLE_1)
	s_cmp_lg_u32 s2, 0
	s_add_co_ci_u32 s21, s3, s5
	s_ashr_i32 s2, s1, 31
	s_mov_b32 s3, s2
	s_delay_alu instid0(SALU_CYCLE_1) | instskip(NEXT) | instid1(SALU_CYCLE_1)
	s_add_nc_u64 s[4:5], s[0:1], s[2:3]
	s_xor_b64 s[4:5], s[4:5], s[2:3]
	s_delay_alu instid0(SALU_CYCLE_1)
	s_mul_hi_u32 s39, s4, s21
	s_mul_i32 s38, s4, s21
	s_mul_hi_u32 s24, s4, s17
	s_mul_hi_u32 s29, s5, s17
	s_mul_i32 s17, s5, s17
	s_add_nc_u64 s[38:39], s[24:25], s[38:39]
	s_mul_hi_u32 s1, s5, s21
	s_add_co_u32 s17, s38, s17
	s_add_co_ci_u32 s24, s39, s29
	s_mul_i32 s40, s5, s21
	s_add_co_ci_u32 s41, s1, 0
	s_delay_alu instid0(SALU_CYCLE_1) | instskip(NEXT) | instid1(SALU_CYCLE_1)
	s_add_nc_u64 s[38:39], s[24:25], s[40:41]
	s_and_b64 s[40:41], s[38:39], 0xffffffff00000000
	s_delay_alu instid0(SALU_CYCLE_1) | instskip(NEXT) | instid1(SALU_CYCLE_1)
	s_or_b32 s40, s40, s38
	s_mul_u64 s[38:39], s[6:7], s[40:41]
	s_add_nc_u64 s[42:43], s[40:41], 1
	s_sub_co_u32 s1, s4, s38
	s_cselect_b32 s4, -1, 0
	s_sub_co_i32 s17, s5, s39
	s_cmp_lg_u32 s4, 0
	s_add_nc_u64 s[44:45], s[40:41], 2
	s_sub_co_ci_u32 s17, s17, s7
	s_sub_co_u32 s21, s1, s6
	s_cselect_b32 s24, -1, 0
	s_delay_alu instid0(SALU_CYCLE_1) | instskip(SKIP_1) | instid1(SALU_CYCLE_1)
	s_cmp_lg_u32 s24, 0
	s_sub_co_ci_u32 s17, s17, 0
	s_cmp_ge_u32 s17, s7
	s_cselect_b32 s24, -1, 0
	s_cmp_ge_u32 s21, s6
	s_cselect_b32 s21, -1, 0
	s_cmp_eq_u32 s17, s7
	s_cselect_b32 s17, s21, s24
	s_delay_alu instid0(SALU_CYCLE_1) | instskip(SKIP_4) | instid1(SALU_CYCLE_1)
	s_cmp_lg_u32 s17, 0
	s_cselect_b32 s17, s44, s42
	s_cselect_b32 s21, s45, s43
	s_cmp_lg_u32 s4, 0
	s_sub_co_ci_u32 s4, s5, s39
	s_cmp_ge_u32 s4, s7
	s_cselect_b32 s5, -1, 0
	s_cmp_ge_u32 s1, s6
	s_cselect_b32 s1, -1, 0
	s_cmp_eq_u32 s4, s7
	s_cselect_b32 s1, s1, s5
	s_delay_alu instid0(SALU_CYCLE_1) | instskip(SKIP_3) | instid1(SALU_CYCLE_1)
	s_cmp_lg_u32 s1, 0
	s_cselect_b32 s5, s21, s41
	s_cselect_b32 s4, s17, s40
	s_xor_b64 s[2:3], s[2:3], 0
	s_xor_b64 s[4:5], s[4:5], s[2:3]
	s_delay_alu instid0(SALU_CYCLE_1)
	s_sub_nc_u64 s[40:41], s[4:5], s[2:3]
	s_mov_b32 s2, 0
.LBB12_11:                              ;   in Loop: Header=BB12_9 Depth=1
	s_delay_alu instid0(SALU_CYCLE_1)
	s_and_not1_b32 vcc_lo, exec_lo, s2
	s_cbranch_vccnz .LBB12_13
; %bb.12:                               ;   in Loop: Header=BB12_9 Depth=1
	v_readfirstlane_b32 s1, v7
	s_sub_co_i32 s2, 0, s16
	s_delay_alu instid0(SALU_CYCLE_1) | instskip(NEXT) | instid1(SALU_CYCLE_1)
	s_mul_i32 s2, s2, s1
	s_mul_hi_u32 s2, s1, s2
	s_delay_alu instid0(SALU_CYCLE_1) | instskip(NEXT) | instid1(SALU_CYCLE_1)
	s_add_co_i32 s1, s1, s2
	s_mul_hi_u32 s1, s0, s1
	s_delay_alu instid0(SALU_CYCLE_1) | instskip(NEXT) | instid1(SALU_CYCLE_1)
	s_mul_i32 s2, s1, s16
	s_sub_co_i32 s0, s0, s2
	s_add_co_i32 s2, s1, 1
	s_sub_co_i32 s3, s0, s16
	s_cmp_ge_u32 s0, s16
	s_cselect_b32 s1, s2, s1
	s_cselect_b32 s0, s3, s0
	s_add_co_i32 s2, s1, 1
	s_cmp_ge_u32 s0, s16
	s_cselect_b32 s24, s2, s1
	s_delay_alu instid0(SALU_CYCLE_1)
	s_mov_b64 s[40:41], s[24:25]
.LBB12_13:                              ;   in Loop: Header=BB12_9 Depth=1
	s_delay_alu instid0(SALU_CYCLE_1)
	s_cmp_lg_u32 s20, s40
	s_mov_b32 s0, -1
                                        ; implicit-def: $vgpr4_vgpr5
                                        ; implicit-def: $sgpr24
                                        ; implicit-def: $sgpr17
                                        ; implicit-def: $sgpr21
                                        ; implicit-def: $sgpr29
	s_cbranch_scc0 .LBB12_18
; %bb.14:                               ;   in Loop: Header=BB12_9 Depth=1
	s_add_co_i32 s0, s36, s16
	v_max_num_f32_e64 v4, s28, s28
	s_lshl_b32 s0, s0, 4
	s_mov_b32 s29, s20
	s_add_co_i32 s0, s0, s15
	s_load_b64 s[38:39], s[10:11], s0 offset:0x0 scale_offset
	s_wait_xcnt 0x0
	v_readfirstlane_b32 s0, v4
	s_wait_kmcnt 0x0
	v_max_num_f32_e64 v5, s38, s38
	s_delay_alu instid0(VALU_DEP_1) | instskip(SKIP_1) | instid1(SALU_CYCLE_3)
	v_readfirstlane_b32 s1, v5
	s_max_num_f32 s17, s0, s1
	s_sub_f32 s33, s28, s17
	s_sub_f32 s37, s38, s17
	s_delay_alu instid0(SALU_CYCLE_2)
	s_cmp_nlt_f32 s33, 0xc2ce8ed0
	s_cselect_b32 s1, -1, 0
	s_cmp_ngt_f32 s33, 0x42b17218
	s_cselect_b32 s2, -1, 0
	s_cmp_ge_f32 s33, 0xc1a00000
	s_cselect_b32 s0, -1, 0
	s_cmp_nlt_f32 s37, 0xc2ce8ed0
	s_cselect_b32 s3, -1, 0
	s_cmp_ngt_f32 s37, 0x42b17218
	s_cselect_b32 s4, -1, 0
	s_cmp_ge_f32 s37, 0xc1a00000
	s_cselect_b32 s5, -1, 0
	s_and_b64 s[42:43], s[40:41], s[8:9]
	s_delay_alu instid0(SALU_CYCLE_1) | instskip(NEXT) | instid1(SALU_CYCLE_1)
	s_mul_u64 s[42:43], s[42:43], s[22:23]
	s_add_co_i32 s21, s43, s40
	s_delay_alu instid0(SALU_CYCLE_1) | instskip(NEXT) | instid1(SALU_CYCLE_1)
	s_lshr_b32 s21, s21, s13
	s_mul_i32 s24, s21, s14
	s_delay_alu instid0(SALU_CYCLE_1) | instskip(SKIP_3) | instid1(SALU_CYCLE_1)
	s_cmp_eq_u32 s24, s40
	s_cselect_b32 s24, -1, 0
	s_cmp_lt_u32 s21, s12
	s_cselect_b32 s21, -1, 0
	s_or_b32 s21, s21, s24
	s_mov_b32 s24, -1
	s_and_b32 vcc_lo, exec_lo, s21
	s_mov_b32 s21, s36
	s_cbranch_vccnz .LBB12_16
; %bb.15:                               ;   in Loop: Header=BB12_9 Depth=1
	s_add_co_i32 s21, s36, -1
	s_mov_b32 s24, 0
	s_mov_b32 s29, s40
.LBB12_16:                              ;   in Loop: Header=BB12_9 Depth=1
	v_mad_u32 v4, 0x600, s36, v6
	s_mul_f32 s40, s33, 0x3fb8aa3b
	s_mul_f32 s38, s37, 0x3fb8aa3b
	s_delay_alu instid0(SALU_CYCLE_2)
	s_xor_b32 s42, s40, 0x80000000
	s_rndne_f32 s44, s40
	s_fmamk_f32 s42, s33, 0x3fb8aa3b, s42
	s_xor_b32 s41, s38, 0x80000000
	s_rndne_f32 s43, s38
	s_sub_f32 s40, s40, s44
	global_load_b32 v5, v4, s[26:27] scale_offset
	s_fmamk_f32 s33, s33, 0x32a5705f, s42
	s_fmamk_f32 s41, s37, 0x3fb8aa3b, s41
	s_sub_f32 s38, s38, s43
	s_delay_alu instid0(SALU_CYCLE_1) | instskip(NEXT) | instid1(SALU_CYCLE_1)
	s_add_f32 s33, s40, s33
	s_fmamk_f32 s37, s37, 0x32a5705f, s41
	s_cvt_i32_f32 s40, s44
	s_delay_alu instid0(SALU_CYCLE_1) | instskip(NEXT) | instid1(SALU_CYCLE_1)
	v_s_exp_f32 s33, s33
	s_add_f32 s37, s38, s37
	s_cvt_i32_f32 s38, s43
	s_delay_alu instid0(SALU_CYCLE_2) | instskip(NEXT) | instid1(TRANS32_DEP_2)
	v_s_exp_f32 s37, s37
	v_ldexp_f32 v8, s33, s40
	s_wait_xcnt 0x0
	s_delay_alu instid0(TRANS32_DEP_1) | instskip(NEXT) | instid1(VALU_DEP_2)
	v_ldexp_f32 v4, s37, s38
	v_cndmask_b32_e64 v8, 0, v8, s1
	s_delay_alu instid0(VALU_DEP_1) | instskip(NEXT) | instid1(VALU_DEP_1)
	v_cndmask_b32_e64 v9, 0x7f800000, v8, s2
	v_dual_cndmask_b32 v4, 0, v4, s3 :: v_dual_cndmask_b32 v10, 0, v9, s0
	s_delay_alu instid0(VALU_DEP_1) | instskip(NEXT) | instid1(VALU_DEP_1)
	v_cndmask_b32_e64 v4, 0x7f800000, v4, s4
	v_dual_cndmask_b32 v8, 0, v4, s5 :: v_dual_mov_b32 v4, s39
	s_wait_loadcnt 0x0
	s_delay_alu instid0(VALU_DEP_1) | instskip(NEXT) | instid1(VALU_DEP_1)
	v_pk_mul_f32 v[4:5], v[4:5], v[8:9] op_sel_hi:[1,0]
	v_pk_fma_f32 v[4:5], v[0:1], v[10:11], v[4:5] op_sel_hi:[1,0,1]
	s_cbranch_execz .LBB12_19
.LBB12_17:                              ;   in Loop: Header=BB12_9 Depth=1
	s_and_not1_b32 vcc_lo, exec_lo, s24
	s_cbranch_vccnz .LBB12_20
	s_branch .LBB12_23
.LBB12_18:                              ;   in Loop: Header=BB12_9 Depth=1
	s_and_not1_b32 vcc_lo, exec_lo, s0
	s_cbranch_vccnz .LBB12_17
.LBB12_19:                              ;   in Loop: Header=BB12_9 Depth=1
	s_wait_loadcnt 0x0
	v_mov_b64_e32 v[4:5], v[0:1]
	s_add_co_i32 s21, s36, -1
	s_mov_b32 s29, s20
	s_mov_b32 s17, s28
	s_cbranch_execz .LBB12_23
.LBB12_20:                              ;   in Loop: Header=BB12_9 Depth=1
	s_wait_loadcnt 0x0
	s_delay_alu instid0(VALU_DEP_1)
	v_mov_b64_e32 v[0:1], v[4:5]
	s_mov_b32 s20, s29
	s_mov_b32 s36, s21
	;; [unrolled: 1-line block ×3, first 2 shown]
	s_branch .LBB12_9
.LBB12_21:
                                        ; implicit-def: $sgpr20_sgpr21
	s_branch .LBB12_2
.LBB12_22:
                                        ; implicit-def: $sgpr24_sgpr25
	s_load_b96 s[12:14], s[0:1], 0x44
	s_branch .LBB12_5
.LBB12_23:
	s_delay_alu instid0(VALU_DEP_1) | instskip(SKIP_1) | instid1(VALU_DEP_1)
	v_div_scale_f32 v0, null, v4, v4, v5
	s_wait_loadcnt 0x0
	v_rcp_f32_e32 v1, v0
	v_nop
	s_delay_alu instid0(TRANS32_DEP_1) | instskip(NEXT) | instid1(VALU_DEP_1)
	v_fma_f32 v6, -v0, v1, 1.0
	v_fmac_f32_e32 v1, v6, v1
	v_div_scale_f32 v6, vcc_lo, v5, v4, v5
	s_delay_alu instid0(VALU_DEP_1) | instskip(NEXT) | instid1(VALU_DEP_1)
	v_mul_f32_e32 v7, v6, v1
	v_fma_f32 v8, -v0, v7, v6
	s_delay_alu instid0(VALU_DEP_1) | instskip(NEXT) | instid1(VALU_DEP_1)
	v_fmac_f32_e32 v7, v8, v1
	v_fma_f32 v0, -v0, v7, v6
	s_delay_alu instid0(VALU_DEP_1) | instskip(NEXT) | instid1(VALU_DEP_1)
	v_div_fmas_f32 v0, v0, v1, v7
	v_div_fixup_f32 v0, v0, v4, v5
	global_store_b32 v[2:3], v0, off
.LBB12_24:
	s_endpgm
	.section	.rodata,"a",@progbits
	.p2align	6, 0x0
	.amdhsa_kernel _ZL33flash_attn_stream_k_fixup_generalILi96ELi2ELi8EEvPfPK15HIP_vector_typeIfLj2EEiiiiS1_IjLj3EES5_S5_S5_
		.amdhsa_group_segment_fixed_size 0
		.amdhsa_private_segment_fixed_size 0
		.amdhsa_kernarg_size 336
		.amdhsa_user_sgpr_count 2
		.amdhsa_user_sgpr_dispatch_ptr 0
		.amdhsa_user_sgpr_queue_ptr 0
		.amdhsa_user_sgpr_kernarg_segment_ptr 1
		.amdhsa_user_sgpr_dispatch_id 0
		.amdhsa_user_sgpr_kernarg_preload_length 0
		.amdhsa_user_sgpr_kernarg_preload_offset 0
		.amdhsa_user_sgpr_private_segment_size 0
		.amdhsa_wavefront_size32 1
		.amdhsa_uses_dynamic_stack 0
		.amdhsa_enable_private_segment 0
		.amdhsa_system_sgpr_workgroup_id_x 1
		.amdhsa_system_sgpr_workgroup_id_y 1
		.amdhsa_system_sgpr_workgroup_id_z 1
		.amdhsa_system_sgpr_workgroup_info 0
		.amdhsa_system_vgpr_workitem_id 0
		.amdhsa_next_free_vgpr 12
		.amdhsa_next_free_sgpr 46
		.amdhsa_named_barrier_count 0
		.amdhsa_reserve_vcc 1
		.amdhsa_float_round_mode_32 0
		.amdhsa_float_round_mode_16_64 0
		.amdhsa_float_denorm_mode_32 3
		.amdhsa_float_denorm_mode_16_64 3
		.amdhsa_fp16_overflow 0
		.amdhsa_memory_ordered 1
		.amdhsa_forward_progress 1
		.amdhsa_inst_pref_size 27
		.amdhsa_round_robin_scheduling 0
		.amdhsa_exception_fp_ieee_invalid_op 0
		.amdhsa_exception_fp_denorm_src 0
		.amdhsa_exception_fp_ieee_div_zero 0
		.amdhsa_exception_fp_ieee_overflow 0
		.amdhsa_exception_fp_ieee_underflow 0
		.amdhsa_exception_fp_ieee_inexact 0
		.amdhsa_exception_int_div_zero 0
	.end_amdhsa_kernel
	.section	.text._ZL33flash_attn_stream_k_fixup_generalILi96ELi2ELi8EEvPfPK15HIP_vector_typeIfLj2EEiiiiS1_IjLj3EES5_S5_S5_,"axG",@progbits,_ZL33flash_attn_stream_k_fixup_generalILi96ELi2ELi8EEvPfPK15HIP_vector_typeIfLj2EEiiiiS1_IjLj3EES5_S5_S5_,comdat
.Lfunc_end12:
	.size	_ZL33flash_attn_stream_k_fixup_generalILi96ELi2ELi8EEvPfPK15HIP_vector_typeIfLj2EEiiiiS1_IjLj3EES5_S5_S5_, .Lfunc_end12-_ZL33flash_attn_stream_k_fixup_generalILi96ELi2ELi8EEvPfPK15HIP_vector_typeIfLj2EEiiiiS1_IjLj3EES5_S5_S5_
                                        ; -- End function
	.set _ZL33flash_attn_stream_k_fixup_generalILi96ELi2ELi8EEvPfPK15HIP_vector_typeIfLj2EEiiiiS1_IjLj3EES5_S5_S5_.num_vgpr, 12
	.set _ZL33flash_attn_stream_k_fixup_generalILi96ELi2ELi8EEvPfPK15HIP_vector_typeIfLj2EEiiiiS1_IjLj3EES5_S5_S5_.num_agpr, 0
	.set _ZL33flash_attn_stream_k_fixup_generalILi96ELi2ELi8EEvPfPK15HIP_vector_typeIfLj2EEiiiiS1_IjLj3EES5_S5_S5_.numbered_sgpr, 46
	.set _ZL33flash_attn_stream_k_fixup_generalILi96ELi2ELi8EEvPfPK15HIP_vector_typeIfLj2EEiiiiS1_IjLj3EES5_S5_S5_.num_named_barrier, 0
	.set _ZL33flash_attn_stream_k_fixup_generalILi96ELi2ELi8EEvPfPK15HIP_vector_typeIfLj2EEiiiiS1_IjLj3EES5_S5_S5_.private_seg_size, 0
	.set _ZL33flash_attn_stream_k_fixup_generalILi96ELi2ELi8EEvPfPK15HIP_vector_typeIfLj2EEiiiiS1_IjLj3EES5_S5_S5_.uses_vcc, 1
	.set _ZL33flash_attn_stream_k_fixup_generalILi96ELi2ELi8EEvPfPK15HIP_vector_typeIfLj2EEiiiiS1_IjLj3EES5_S5_S5_.uses_flat_scratch, 0
	.set _ZL33flash_attn_stream_k_fixup_generalILi96ELi2ELi8EEvPfPK15HIP_vector_typeIfLj2EEiiiiS1_IjLj3EES5_S5_S5_.has_dyn_sized_stack, 0
	.set _ZL33flash_attn_stream_k_fixup_generalILi96ELi2ELi8EEvPfPK15HIP_vector_typeIfLj2EEiiiiS1_IjLj3EES5_S5_S5_.has_recursion, 0
	.set _ZL33flash_attn_stream_k_fixup_generalILi96ELi2ELi8EEvPfPK15HIP_vector_typeIfLj2EEiiiiS1_IjLj3EES5_S5_S5_.has_indirect_call, 0
	.section	.AMDGPU.csdata,"",@progbits
; Kernel info:
; codeLenInByte = 3352
; TotalNumSgprs: 48
; NumVgprs: 12
; ScratchSize: 0
; MemoryBound: 0
; FloatMode: 240
; IeeeMode: 1
; LDSByteSize: 0 bytes/workgroup (compile time only)
; SGPRBlocks: 0
; VGPRBlocks: 0
; NumSGPRsForWavesPerEU: 48
; NumVGPRsForWavesPerEU: 12
; NamedBarCnt: 0
; Occupancy: 16
; WaveLimiterHint : 0
; COMPUTE_PGM_RSRC2:SCRATCH_EN: 0
; COMPUTE_PGM_RSRC2:USER_SGPR: 2
; COMPUTE_PGM_RSRC2:TRAP_HANDLER: 0
; COMPUTE_PGM_RSRC2:TGID_X_EN: 1
; COMPUTE_PGM_RSRC2:TGID_Y_EN: 1
; COMPUTE_PGM_RSRC2:TGID_Z_EN: 1
; COMPUTE_PGM_RSRC2:TIDIG_COMP_CNT: 0
	.section	.text._ZL15flash_attn_tileILi96ELi96ELi1ELi8ELb0EEvPKcS1_S1_S1_S1_PKiPfP15HIP_vector_typeIfLj2EEffffjfiS5_IjLj3EEiiiiiiiiiiiliiliiiiil,"axG",@progbits,_ZL15flash_attn_tileILi96ELi96ELi1ELi8ELb0EEvPKcS1_S1_S1_S1_PKiPfP15HIP_vector_typeIfLj2EEffffjfiS5_IjLj3EEiiiiiiiiiiiliiliiiiil,comdat
	.globl	_ZL15flash_attn_tileILi96ELi96ELi1ELi8ELb0EEvPKcS1_S1_S1_S1_PKiPfP15HIP_vector_typeIfLj2EEffffjfiS5_IjLj3EEiiiiiiiiiiiliiliiiiil ; -- Begin function _ZL15flash_attn_tileILi96ELi96ELi1ELi8ELb0EEvPKcS1_S1_S1_S1_PKiPfP15HIP_vector_typeIfLj2EEffffjfiS5_IjLj3EEiiiiiiiiiiiliiliiiiil
	.p2align	8
	.type	_ZL15flash_attn_tileILi96ELi96ELi1ELi8ELb0EEvPKcS1_S1_S1_S1_PKiPfP15HIP_vector_typeIfLj2EEffffjfiS5_IjLj3EEiiiiiiiiiiiliiliiiiil,@function
_ZL15flash_attn_tileILi96ELi96ELi1ELi8ELb0EEvPKcS1_S1_S1_S1_PKiPfP15HIP_vector_typeIfLj2EEffffjfiS5_IjLj3EEiiiiiiiiiiiliiliiiiil: ; @_ZL15flash_attn_tileILi96ELi96ELi1ELi8ELb0EEvPKcS1_S1_S1_S1_PKiPfP15HIP_vector_typeIfLj2EEffffjfiS5_IjLj3EEiiiiiiiiiiiliiliiiiil
; %bb.0:
	s_clause 0x1
	s_load_b128 s[20:23], s[0:1], 0x5c
	s_load_b64 s[30:31], s[0:1], 0x80
	s_bfe_u32 s5, ttmp6, 0x40014
	s_lshr_b32 s4, ttmp7, 16
	s_add_co_i32 s5, s5, 1
	s_bfe_u32 s6, ttmp6, 0x40008
	s_mul_i32 s5, s4, s5
	s_getreg_b32 s24, hwreg(HW_REG_IB_STS2, 6, 4)
	s_add_co_i32 s6, s6, s5
	s_mov_b32 s37, 0
	s_mov_b64 s[34:35], 0
	s_wait_kmcnt 0x0
	s_ashr_i32 s2, s23, 31
	s_delay_alu instid0(SALU_CYCLE_1) | instskip(NEXT) | instid1(SALU_CYCLE_1)
	s_lshr_b32 s2, s2, 29
	s_add_co_i32 s2, s23, s2
	s_delay_alu instid0(SALU_CYCLE_1) | instskip(NEXT) | instid1(SALU_CYCLE_1)
	s_ashr_i32 s2, s2, 3
	s_cvt_f32_u32 s3, s2
	s_sub_co_i32 s7, 0, s2
	s_delay_alu instid0(SALU_CYCLE_2) | instskip(SKIP_1) | instid1(TRANS32_DEP_1)
	v_rcp_iflag_f32_e32 v1, s3
	v_nop
	v_readfirstlane_b32 s3, v1
	s_mul_f32 s3, s3, 0x4f7ffffe
	s_delay_alu instid0(SALU_CYCLE_3) | instskip(NEXT) | instid1(SALU_CYCLE_3)
	s_cvt_u32_f32 s3, s3
	s_mul_i32 s7, s7, s3
	s_delay_alu instid0(SALU_CYCLE_1) | instskip(NEXT) | instid1(SALU_CYCLE_1)
	s_mul_hi_u32 s7, s3, s7
	s_add_co_i32 s3, s3, s7
	s_cmp_eq_u32 s24, 0
	s_cselect_b32 s4, s4, s6
	s_delay_alu instid0(SALU_CYCLE_1) | instskip(NEXT) | instid1(SALU_CYCLE_1)
	s_mul_hi_u32 s3, s4, s3
	s_mul_i32 s5, s3, s2
	s_add_co_i32 s6, s3, 1
	s_sub_co_i32 s5, s4, s5
	s_delay_alu instid0(SALU_CYCLE_1)
	s_sub_co_i32 s7, s5, s2
	s_cmp_ge_u32 s5, s2
	s_cselect_b32 s3, s6, s3
	s_cselect_b32 s5, s7, s5
	s_add_co_i32 s6, s3, 1
	s_cmp_ge_u32 s5, s2
	s_cselect_b32 s28, s6, s3
	s_abs_i32 s2, s31
	s_abs_i32 s6, s23
	s_cvt_f32_u32 s3, s2
	s_sub_co_i32 s5, 0, s2
	s_lshl_b32 s25, s4, 3
	s_xor_b32 s4, s23, s31
	v_rcp_iflag_f32_e32 v1, s3
	s_ashr_i32 s26, s4, 31
	v_nop
	s_delay_alu instid0(TRANS32_DEP_1) | instskip(SKIP_1) | instid1(SALU_CYCLE_3)
	v_readfirstlane_b32 s3, v1
	s_mul_f32 s3, s3, 0x4f7ffffe
	s_cvt_u32_f32 s3, s3
	s_delay_alu instid0(SALU_CYCLE_3) | instskip(NEXT) | instid1(SALU_CYCLE_1)
	s_mul_i32 s5, s5, s3
	s_mul_hi_u32 s5, s3, s5
	s_delay_alu instid0(SALU_CYCLE_1) | instskip(NEXT) | instid1(SALU_CYCLE_1)
	s_add_co_i32 s3, s3, s5
	s_mul_hi_u32 s3, s6, s3
	s_delay_alu instid0(SALU_CYCLE_1) | instskip(NEXT) | instid1(SALU_CYCLE_1)
	s_mul_i32 s5, s3, s2
	s_sub_co_i32 s4, s6, s5
	s_add_co_i32 s5, s3, 1
	s_sub_co_i32 s6, s4, s2
	s_cmp_ge_u32 s4, s2
	s_cselect_b32 s3, s5, s3
	s_cselect_b32 s4, s6, s4
	s_add_co_i32 s5, s3, 1
	s_cmp_ge_u32 s4, s2
	s_cselect_b32 s2, s5, s3
	s_load_b512 s[4:19], s[0:1], 0x0
	s_xor_b32 s27, s2, s26
	s_load_b64 s[2:3], s[0:1], 0xb8
	s_sub_co_i32 s29, s27, s26
	s_delay_alu instid0(SALU_CYCLE_1) | instskip(NEXT) | instid1(SALU_CYCLE_1)
	s_abs_i32 s39, s29
	s_cvt_f32_u32 s26, s39
	s_delay_alu instid0(SALU_CYCLE_3) | instskip(SKIP_2) | instid1(TRANS32_DEP_1)
	v_rcp_iflag_f32_e32 v1, s26
	s_mul_i32 s26, s28, s23
	v_nop
	v_readfirstlane_b32 s36, v1
	s_wait_kmcnt 0x0
	s_cmp_eq_u64 s[10:11], 0
	s_cbranch_scc1 .LBB13_2
; %bb.1:
	s_abs_i32 s2, s2
	s_abs_i32 s33, s28
	s_cvt_f32_u32 s27, s2
	s_sub_co_i32 s31, 0, s2
	s_load_b64 s[34:35], s[0:1], 0xc8
	s_delay_alu instid0(SALU_CYCLE_1) | instskip(SKIP_1) | instid1(TRANS32_DEP_1)
	v_rcp_iflag_f32_e32 v1, s27
	v_nop
	v_readfirstlane_b32 s27, v1
	s_mul_f32 s27, s27, 0x4f7ffffe
	s_delay_alu instid0(SALU_CYCLE_3) | instskip(NEXT) | instid1(SALU_CYCLE_3)
	s_cvt_u32_f32 s27, s27
	s_mul_i32 s31, s31, s27
	s_delay_alu instid0(SALU_CYCLE_1) | instskip(NEXT) | instid1(SALU_CYCLE_1)
	s_mul_hi_u32 s31, s27, s31
	s_add_co_i32 s27, s27, s31
	s_ashr_i32 s31, s28, 31
	s_mul_hi_u32 s27, s33, s27
	s_delay_alu instid0(SALU_CYCLE_1) | instskip(NEXT) | instid1(SALU_CYCLE_1)
	s_mul_i32 s27, s27, s2
	s_sub_co_i32 s27, s33, s27
	s_delay_alu instid0(SALU_CYCLE_1) | instskip(SKIP_2) | instid1(SALU_CYCLE_1)
	s_sub_co_i32 s33, s27, s2
	s_cmp_ge_u32 s27, s2
	s_cselect_b32 s27, s33, s27
	s_sub_co_i32 s33, s27, s2
	s_cmp_ge_u32 s27, s2
	s_cselect_b32 s2, s33, s27
	s_delay_alu instid0(SALU_CYCLE_1) | instskip(NEXT) | instid1(SALU_CYCLE_1)
	s_xor_b32 s2, s2, s31
	s_sub_co_i32 s40, s2, s31
	s_delay_alu instid0(SALU_CYCLE_1) | instskip(SKIP_2) | instid1(SALU_CYCLE_1)
	s_ashr_i32 s41, s40, 31
	s_wait_kmcnt 0x0
	s_mul_u64 s[34:35], s[34:35], s[40:41]
	s_add_nc_u64 s[34:35], s[10:11], s[34:35]
.LBB13_2:
	s_bfe_u32 s2, ttmp6, 0x4000c
	v_and_b32_e32 v51, 0x3ff, v0
	v_bfe_u32 v0, v0, 10, 10
	s_add_co_i32 s2, s2, 1
	s_and_b32 s10, ttmp6, 15
	s_mul_i32 s2, ttmp9, s2
	s_movk_i32 s11, 0xc0
	s_sub_co_i32 s33, s25, s26
	s_add_co_i32 s10, s10, s2
	v_cmp_gt_u32_e64 s2, 24, v51
	v_mad_u32_u24 v57, v0, s11, 0xe80
	v_dual_lshlrev_b32 v61, 3, v51 :: v_dual_bitop2_b32 v40, 7, v0 bitop3:0x40
	v_lshrrev_b32_e32 v60, 3, v0
	s_cmp_eq_u32 s24, 0
	s_cselect_b32 s31, ttmp9, s10
	s_and_saveexec_b32 s10, s2
	s_cbranch_execz .LBB13_4
; %bb.3:
	v_add_nc_u32_e32 v1, s31, v60
	s_load_b96 s[40:42], s[0:1], 0x70
	v_dual_mov_b32 v41, 0 :: v_dual_lshlrev_b32 v6, 4, v51
	s_delay_alu instid0(VALU_DEP_2) | instskip(NEXT) | instid1(VALU_DEP_2)
	v_mul_hi_u32 v2, s20, v1
	v_dual_mov_b32 v3, v41 :: v_dual_mov_b32 v7, v41
	s_delay_alu instid0(VALU_DEP_2) | instskip(NEXT) | instid1(VALU_DEP_1)
	v_add_nc_u32_e32 v2, v1, v2
	v_lshrrev_b32_e32 v2, s21, v2
	s_wait_kmcnt 0x0
	s_ashr_i32 s27, s41, 31
	s_mov_b32 s26, s41
	s_mul_i32 s44, s33, s41
	s_lshr_b64 s[26:27], s[26:27], 2
	v_mul_lo_u32 v2, v2, s22
	v_mul_u64_e32 v[4:5], s[26:27], v[40:41]
	s_ashr_i32 s41, s40, 31
	s_ashr_i32 s45, s44, 31
	s_lshr_b64 s[26:27], s[40:41], 2
	s_delay_alu instid0(VALU_DEP_2) | instskip(NEXT) | instid1(VALU_DEP_1)
	v_sub_nc_u32_e32 v2, v1, v2
	v_mul_u64_e32 v[2:3], s[26:27], v[2:3]
	s_mul_i32 s26, s28, s42
	s_delay_alu instid0(SALU_CYCLE_1) | instskip(NEXT) | instid1(SALU_CYCLE_1)
	s_ashr_i32 s27, s26, 31
	s_add_nc_u64 s[4:5], s[4:5], s[26:27]
	s_delay_alu instid0(SALU_CYCLE_1)
	s_add_nc_u64 s[4:5], s[4:5], s[44:45]
	s_delay_alu instid0(VALU_DEP_3) | instid1(SALU_CYCLE_1)
	v_lshl_add_u64 v[4:5], v[4:5], 2, s[4:5]
	s_load_b32 s4, s[0:1], 0x40
	s_delay_alu instid0(VALU_DEP_1) | instskip(NEXT) | instid1(VALU_DEP_1)
	v_lshl_add_u64 v[2:3], v[2:3], 2, v[4:5]
	v_add_nc_u64_e32 v[2:3], v[2:3], v[6:7]
	global_load_b128 v[2:5], v[2:3], off
	s_wait_loadcnt 0x0
	s_wait_kmcnt 0x0
	v_fma_mixlo_f16 v1, s4, v2, 0
	v_mov_b32_e32 v2, v5
	s_delay_alu instid0(VALU_DEP_2) | instskip(NEXT) | instid1(VALU_DEP_2)
	v_and_b32_e32 v1, 0xffff, v1
	v_pk_mul_f32 v[2:3], s[4:5], v[2:3] op_sel_hi:[0,1]
	s_delay_alu instid0(VALU_DEP_1) | instskip(SKIP_1) | instid1(VALU_DEP_2)
	v_cvt_pk_f16_f32 v2, v2, v3
	v_fma_mixlo_f16 v3, s4, v4, 0
	v_and_b32_e32 v4, 0xffff0000, v2
	s_delay_alu instid0(VALU_DEP_2) | instskip(NEXT) | instid1(VALU_DEP_2)
	v_and_b32_e32 v3, 0xffff, v3
	v_dual_lshlrev_b32 v2, 16, v2 :: v_dual_bitop2_b32 v1, v4, v1 bitop3:0x54
	v_add_nc_u32_e32 v4, v57, v61
	s_delay_alu instid0(VALU_DEP_2) | instskip(NEXT) | instid1(VALU_DEP_3)
	v_or3_b32 v3, v2, v3, 0
	v_or3_b32 v2, 0, 0, v1
	ds_store_b64 v4, v[2:3]
.LBB13_4:
	s_or_b32 exec_lo, exec_lo, s10
	s_cmp_eq_u64 s[14:15], 0
	s_wait_dscnt 0x0
	s_barrier_signal -1
	s_barrier_wait -1
	s_cbranch_scc1 .LBB13_6
; %bb.5:
	s_load_b32 s4, s[0:1], 0xd0
	s_wait_kmcnt 0x0
	s_mul_i32 s4, s4, s28
	s_delay_alu instid0(SALU_CYCLE_1)
	s_add_co_i32 s4, s4, s31
	s_load_b32 s30, s[14:15], s4 offset:0x0 scale_offset
.LBB13_6:
	s_wait_xcnt 0x0
	s_bfe_u32 s4, ttmp6, 0x40010
	s_and_b32 s5, ttmp7, 0xffff
	s_add_co_i32 s4, s4, 1
	s_bfe_u32 s10, ttmp6, 0x40004
	s_mul_i32 s4, s5, s4
	v_mbcnt_lo_u32_b32 v62, -1, 0
	s_add_co_i32 s10, s10, s4
	s_cmp_eq_u32 s24, 0
	s_mov_b32 s4, 0
	s_cselect_b32 s38, s5, s10
	s_delay_alu instid0(SALU_CYCLE_1)
	s_lshl_b32 s10, s38, 5
	s_wait_kmcnt 0x0
	s_cmp_lt_i32 s10, s30
	s_cbranch_scc1 .LBB13_9
; %bb.7:
	v_mbcnt_lo_u32_b32 v1, -1, 0
	s_delay_alu instid0(VALU_DEP_1)
	v_dual_mov_b32 v63, 32 :: v_dual_bitop2_b32 v75, 16, v1 bitop3:0x14
	v_xor_b32_e32 v76, 8, v1
	v_xor_b32_e32 v77, 4, v1
	;; [unrolled: 1-line block ×3, first 2 shown]
	v_dual_lshlrev_b32 v41, 2, v51 :: v_dual_bitop2_b32 v79, 1, v1 bitop3:0x14
	s_and_not1_b32 vcc_lo, exec_lo, s4
	s_cbranch_vccz .LBB13_10
; %bb.8:
	v_dual_mov_b32 v73, 0 :: v_dual_mov_b32 v80, 0
	v_mov_b32_e32 v56, 0xfeffffff
	v_mov_b32_e32 v74, 0
	s_branch .LBB13_30
.LBB13_9:
                                        ; implicit-def: $vgpr1
                                        ; implicit-def: $vgpr63
                                        ; implicit-def: $vgpr75
                                        ; implicit-def: $vgpr76
                                        ; implicit-def: $vgpr77
                                        ; implicit-def: $vgpr78
                                        ; implicit-def: $vgpr79
	v_lshlrev_b32_e32 v41, 2, v51
.LBB13_10:
	s_clause 0x1
	s_load_b64 s[4:5], s[0:1], 0x8c
	s_load_b128 s[24:27], s[0:1], 0x98
	v_dual_add_nc_u32 v1, s31, v60 :: v_dual_lshrrev_b32 v3, 1, v51
	s_mul_f32 s11, s36, 0x4f7ffffe
	s_sub_co_i32 s14, 0, s39
	s_abs_i32 s36, s33
	s_delay_alu instid0(VALU_DEP_1)
	v_mul_hi_u32 v2, s20, v1
	s_cvt_u32_f32 s11, s11
	v_lshrrev_b32_e32 v4, 2, v51
	s_mov_b32 s15, s37
	v_lshl_add_u32 v3, v0, 4, v3
	s_mul_i32 s14, s14, s11
	s_ashr_i32 s42, s33, 31
	s_mul_hi_u32 s14, s11, s14
	s_ashr_i32 s43, s29, 31
	s_add_co_i32 s14, s11, s14
	v_mul_u32_u24_e32 v7, 0x70, v3
	v_add_nc_u32_e32 v5, v1, v2
	v_lshl_add_u32 v6, v0, 3, v4
	v_and_b32_e32 v4, 12, v41
	s_mul_u64 s[14:15], s[36:37], s[14:15]
	s_wait_kmcnt 0x0
	s_ashr_i32 s14, s26, 2
	s_ashr_i32 s26, s4, 2
	v_and_b32_e32 v2, 4, v41
	v_mul_lo_u32 v42, s26, v3
	v_cmp_gt_u32_e32 vcc_lo, 32, v3
	v_dual_lshlrev_b32 v3, 2, v4 :: v_dual_lshrrev_b32 v5, s21, v5
	s_delay_alu instid0(VALU_DEP_4)
	v_lshlrev_b32_e32 v8, 2, v2
	s_ashr_i32 s11, s3, 1
	s_mul_i32 s3, s15, s39
	s_load_b64 s[40:41], s[0:1], 0xa8
	v_mul_lo_u32 v5, v5, s22
	s_sub_co_i32 s3, s36, s3
	s_ashr_i32 s29, s28, 31
	s_xor_b32 s37, s42, s43
	s_add_co_i32 s4, s15, 1
	s_sub_co_i32 s36, s3, s39
	s_cmp_ge_u32 s3, s39
	v_add3_u32 v65, v7, v8, 64
	v_lshrrev_b32_e32 v7, 3, v51
	s_cselect_b32 s4, s4, s15
	s_cselect_b32 s3, s36, s3
	s_add_co_i32 s15, s4, 1
	v_mul_lo_u32 v44, s26, v6
	s_cmp_ge_u32 s3, s39
	v_sub_nc_u32_e32 v1, v1, v5
	v_lshl_add_u32 v5, v0, 2, v7
	v_mul_lo_u32 v48, s14, v6
	s_cselect_b32 s3, s15, s4
	v_lshl_add_u32 v67, v0, 6, 0x1480
	s_xor_b32 s3, s3, s37
	v_mul_lo_u32 v52, s14, v5
	s_sub_co_i32 s3, s3, s37
	v_mul_u32_u24_e32 v0, 0xc0, v6
	v_and_b32_e32 v50, 28, v41
	s_mul_u64 s[24:25], s[24:25], s[28:29]
	s_mul_i32 s4, s3, s5
	s_add_nc_u64 s[6:7], s[6:7], s[24:25]
	s_ashr_i32 s5, s4, 31
	v_ashrrev_i32_e32 v45, 31, v44
	v_mad_u32 v68, v1, s11, v51
	v_dual_ashrrev_i32 v43, 31, v42 :: v_dual_mov_b32 v47, 0
	v_dual_ashrrev_i32 v49, 31, v48 :: v_dual_bitop2_b32 v0, v0, v3 bitop3:0x54
	v_lshlrev_b32_e32 v1, 2, v50
	s_wait_kmcnt 0x0
	s_mul_u64 s[36:37], s[40:41], s[28:29]
	s_add_nc_u64 s[24:25], s[6:7], s[4:5]
	s_mul_i32 s4, s3, s27
	s_add_nc_u64 s[6:7], s[8:9], s[36:37]
	s_ashr_i32 s5, s4, 31
	v_cmp_gt_u32_e64 s3, 32, v6
	s_add_nc_u64 s[8:9], s[6:7], s[4:5]
	v_mul_u32_u24_e32 v64, 0x70, v51
	v_mad_u32_u24 v66, 0x70, v6, v3
	v_lshl_add_u32 v69, v51, 1, v67
	v_cmp_gt_u32_e64 s4, 16, v6
	v_cmp_gt_u32_e64 s5, 16, v5
	v_dual_mov_b32 v63, 32 :: v_dual_add_nc_u32 v70, 0x80, v0
	v_mad_u32_u24 v71, 0xc0, v5, v1
	v_dual_ashrrev_i32 v53, 31, v52 :: v_dual_lshlrev_b32 v46, 2, v2
	v_dual_mov_b32 v81, 0xfeffffff :: v_dual_lshlrev_b32 v54, 2, v4
	v_dual_mov_b32 v74, v47 :: v_dual_mov_b32 v73, v47
	v_mov_b32_e32 v72, v47
	s_ashr_i32 s27, s26, 31
	s_ashr_i32 s15, s14, 31
	s_add_nc_u64 s[20:21], s[0:1], 0xd0
.LBB13_11:                              ; =>This Inner Loop Header: Depth=1
	s_ashr_i32 s11, s10, 31
	s_delay_alu instid0(SALU_CYCLE_1) | instskip(NEXT) | instid1(SALU_CYCLE_1)
	s_mul_u64 s[6:7], s[10:11], s[26:27]
	s_lshl_b64 s[6:7], s[6:7], 2
	s_delay_alu instid0(SALU_CYCLE_1) | instskip(NEXT) | instid1(SALU_CYCLE_1)
	s_add_nc_u64 s[6:7], s[24:25], s[6:7]
	v_lshl_add_u64 v[0:1], v[42:43], 2, s[6:7]
	s_and_saveexec_b32 s29, vcc_lo
	s_cbranch_execz .LBB13_13
; %bb.12:                               ;   in Loop: Header=BB13_11 Depth=1
	s_delay_alu instid0(VALU_DEP_1)
	v_add_nc_u64_e32 v[2:3], v[0:1], v[46:47]
	global_load_b128 v[2:5], v[2:3], off offset:64
	s_wait_loadcnt 0x0
	ds_store_b128 v65, v[2:5]
.LBB13_13:                              ;   in Loop: Header=BB13_11 Depth=1
	s_or_b32 exec_lo, exec_lo, s29
	v_lshl_add_u64 v[2:3], v[44:45], 2, s[6:7]
	s_and_saveexec_b32 s6, s3
	s_cbranch_execz .LBB13_15
; %bb.14:                               ;   in Loop: Header=BB13_11 Depth=1
	v_mov_b32_e32 v55, v47
	s_delay_alu instid0(VALU_DEP_1)
	v_add_nc_u64_e32 v[4:5], v[2:3], v[54:55]
	global_load_b128 v[4:7], v[4:5], off
	s_wait_loadcnt 0x0
	ds_store_b128 v66, v[4:7]
.LBB13_15:                              ;   in Loop: Header=BB13_11 Depth=1
	s_or_b32 exec_lo, exec_lo, s6
	s_wait_dscnt 0x0
	s_barrier_signal -1
	s_barrier_wait -1
	ds_load_b128 v[6:9], v64
	ds_load_b128 v[10:13], v57
	v_mov_b32_e32 v4, 0
	s_wait_dscnt 0x0
	;;#ASMSTART
	v_dot2_f32_f16 v4, v6, v10, v4
	;;#ASMEND
	;;#ASMSTART
	v_dot2_f32_f16 v4, v7, v11, v4
	;;#ASMEND
	;;#ASMSTART
	v_dot2_f32_f16 v4, v8, v12, v4
	;;#ASMEND
	;;#ASMSTART
	v_dot2_f32_f16 v4, v9, v13, v4
	;;#ASMEND
	ds_load_b128 v[6:9], v64 offset:16
	ds_load_b128 v[10:13], v57 offset:16
	s_wait_dscnt 0x0
	;;#ASMSTART
	v_dot2_f32_f16 v4, v6, v10, v4
	;;#ASMEND
	;;#ASMSTART
	v_dot2_f32_f16 v4, v7, v11, v4
	;;#ASMEND
	;;#ASMSTART
	v_dot2_f32_f16 v4, v8, v12, v4
	;;#ASMEND
	;;#ASMSTART
	v_dot2_f32_f16 v4, v9, v13, v4
	;;#ASMEND
	ds_load_b128 v[6:9], v64 offset:32
	ds_load_b128 v[10:13], v57 offset:32
	;; [unrolled: 15-line block ×5, first 2 shown]
	s_wait_dscnt 0x0
	;;#ASMSTART
	v_dot2_f32_f16 v4, v6, v10, v4
	;;#ASMEND
	;;#ASMSTART
	v_dot2_f32_f16 v4, v7, v11, v4
	;;#ASMEND
	;; [unrolled: 3-line block ×4, first 2 shown]
	s_barrier_signal -1
	s_barrier_wait -1
	s_and_saveexec_b32 s6, vcc_lo
	s_cbranch_execz .LBB13_17
; %bb.16:                               ;   in Loop: Header=BB13_11 Depth=1
	v_add_nc_u64_e32 v[0:1], v[0:1], v[46:47]
	global_load_b128 v[6:9], v[0:1], off offset:160
	s_wait_loadcnt 0x0
	ds_store_b128 v65, v[6:9]
.LBB13_17:                              ;   in Loop: Header=BB13_11 Depth=1
	s_or_b32 exec_lo, exec_lo, s6
	s_and_saveexec_b32 s6, s3
	s_cbranch_execz .LBB13_19
; %bb.18:                               ;   in Loop: Header=BB13_11 Depth=1
	v_mov_b32_e32 v55, v47
	s_delay_alu instid0(VALU_DEP_1)
	v_add_nc_u64_e32 v[0:1], v[2:3], v[54:55]
	global_load_b128 v[0:3], v[0:1], off offset:96
	s_wait_loadcnt 0x0
	ds_store_b128 v66, v[0:3]
.LBB13_19:                              ;   in Loop: Header=BB13_11 Depth=1
	s_or_b32 exec_lo, exec_lo, s6
	s_wait_dscnt 0x0
	s_barrier_signal -1
	s_barrier_wait -1
	ds_load_b128 v[0:3], v64
	ds_load_b128 v[6:9], v57 offset:96
	v_dual_add_nc_u32 v5, s10, v68 :: v_dual_bitop2_b32 v75, 16, v62 bitop3:0x14
	v_xor_b32_e32 v77, 4, v62
	v_xor_b32_e32 v79, 1, v62
	;; [unrolled: 1-line block ×3, first 2 shown]
	s_wait_dscnt 0x0
	;;#ASMSTART
	v_dot2_f32_f16 v4, v0, v6, v4
	;;#ASMEND
	;;#ASMSTART
	v_dot2_f32_f16 v4, v1, v7, v4
	;;#ASMEND
	;; [unrolled: 3-line block ×4, first 2 shown]
	ds_load_b128 v[0:3], v64 offset:16
	ds_load_b128 v[6:9], v57 offset:112
	v_cmp_gt_i32_e64 s6, 32, v75
	s_wait_dscnt 0x0
	;;#ASMSTART
	v_dot2_f32_f16 v4, v0, v6, v4
	;;#ASMEND
	;;#ASMSTART
	v_dot2_f32_f16 v4, v1, v7, v4
	;;#ASMEND
	;;#ASMSTART
	v_dot2_f32_f16 v4, v2, v8, v4
	;;#ASMEND
	;;#ASMSTART
	v_dot2_f32_f16 v4, v3, v9, v4
	;;#ASMEND
	ds_load_b128 v[0:3], v64 offset:32
	ds_load_b128 v[6:9], v57 offset:128
	s_wait_dscnt 0x0
	;;#ASMSTART
	v_dot2_f32_f16 v4, v0, v6, v4
	;;#ASMEND
	;;#ASMSTART
	v_dot2_f32_f16 v4, v1, v7, v4
	;;#ASMEND
	;;#ASMSTART
	v_dot2_f32_f16 v4, v2, v8, v4
	;;#ASMEND
	;;#ASMSTART
	v_dot2_f32_f16 v4, v3, v9, v4
	;;#ASMEND
	ds_load_b128 v[0:3], v64 offset:48
	ds_load_b128 v[6:9], v57 offset:144
	;; [unrolled: 15-line block ×4, first 2 shown]
	s_wait_dscnt 0x0
	;;#ASMSTART
	v_dot2_f32_f16 v4, v0, v6, v4
	;;#ASMEND
	;;#ASMSTART
	v_dot2_f32_f16 v4, v1, v7, v4
	;;#ASMEND
	;; [unrolled: 3-line block ×4, first 2 shown]
	global_load_u16 v0, v5, s[34:35] scale_offset
	v_dual_cndmask_b32 v2, v62, v75, s6 :: v_dual_bitop2_b32 v76, 8, v62 bitop3:0x14
	s_wait_loadcnt 0x0
	s_barrier_signal -1
	s_barrier_wait -1
	s_delay_alu instid0(VALU_DEP_1) | instskip(SKIP_2) | instid1(VALU_DEP_1)
	v_cmp_gt_i32_e64 s6, 32, v76
	v_dual_max_num_f32 v1, v81, v81 :: v_dual_lshlrev_b32 v2, 2, v2
	v_cvt_f32_f16_e32 v0, v0
	v_add_f32_e32 v0, v4, v0
	s_delay_alu instid0(VALU_DEP_1) | instskip(NEXT) | instid1(VALU_DEP_1)
	v_add_f32_e32 v3, 0x40051340, v0
	v_dual_max_num_f32 v1, v1, v3 :: v_dual_cndmask_b32 v3, v62, v76, s6
	v_cmp_gt_i32_e64 s6, 32, v77
	ds_bpermute_b32 v2, v2, v1
	s_wait_dscnt 0x0
	v_dual_max_num_f32 v2, v2, v2 :: v_dual_lshlrev_b32 v3, 2, v3
	s_delay_alu instid0(VALU_DEP_1) | instskip(SKIP_4) | instid1(VALU_DEP_2)
	v_max_num_f32_e32 v1, v1, v2
	ds_bpermute_b32 v2, v3, v1
	v_cndmask_b32_e64 v3, v62, v77, s6
	v_cmp_gt_i32_e64 s6, 32, v78
	s_wait_dscnt 0x0
	v_dual_max_num_f32 v2, v2, v2 :: v_dual_lshlrev_b32 v3, 2, v3
	s_delay_alu instid0(VALU_DEP_1) | instskip(SKIP_4) | instid1(VALU_DEP_2)
	v_max_num_f32_e32 v1, v1, v2
	ds_bpermute_b32 v2, v3, v1
	v_cndmask_b32_e64 v3, v62, v78, s6
	v_cmp_gt_i32_e64 s6, 32, v79
	s_wait_dscnt 0x0
	v_dual_max_num_f32 v2, v2, v2 :: v_dual_lshlrev_b32 v3, 2, v3
	s_delay_alu instid0(VALU_DEP_1) | instskip(SKIP_3) | instid1(VALU_DEP_1)
	v_max_num_f32_e32 v1, v1, v2
	ds_bpermute_b32 v2, v3, v1
	v_cndmask_b32_e64 v3, v62, v79, s6
	s_wait_dscnt 0x0
	v_dual_max_num_f32 v2, v2, v2 :: v_dual_lshlrev_b32 v3, 2, v3
	s_delay_alu instid0(VALU_DEP_1) | instskip(SKIP_3) | instid1(VALU_DEP_1)
	v_max_num_f32_e32 v1, v1, v2
	ds_bpermute_b32 v2, v3, v1
	s_wait_dscnt 0x0
	v_max_num_f32_e32 v2, v2, v2
	v_max_num_f32_e32 v56, v1, v2
	s_delay_alu instid0(VALU_DEP_1) | instskip(NEXT) | instid1(VALU_DEP_1)
	v_sub_f32_e32 v0, v0, v56
	v_mul_f32_e32 v1, 0x3fb8aa3b, v0
	v_cmp_ngt_f32_e64 s6, 0xc2ce8ed0, v0
	s_delay_alu instid0(VALU_DEP_2) | instskip(SKIP_1) | instid1(VALU_DEP_1)
	v_fma_f32 v2, 0x3fb8aa3b, v0, -v1
	v_rndne_f32_e32 v3, v1
	v_dual_fmac_f32 v2, 0x32a5705f, v0 :: v_dual_sub_f32 v1, v1, v3
	s_delay_alu instid0(VALU_DEP_1) | instskip(SKIP_1) | instid1(VALU_DEP_2)
	v_add_f32_e32 v1, v1, v2
	v_cvt_i32_f32_e32 v2, v3
	v_exp_f32_e32 v1, v1
	v_nop
	s_delay_alu instid0(TRANS32_DEP_1) | instskip(NEXT) | instid1(VALU_DEP_1)
	v_ldexp_f32 v1, v1, v2
	v_cndmask_b32_e64 v1, 0, v1, s6
	v_cmp_nlt_f32_e64 s6, 0x42b17218, v0
	s_delay_alu instid0(VALU_DEP_1) | instskip(SKIP_1) | instid1(SALU_CYCLE_1)
	v_cndmask_b32_e64 v80, 0x7f800000, v1, s6
	s_mul_u64 s[6:7], s[10:11], s[14:15]
	s_lshl_b64 s[6:7], s[6:7], 2
	s_delay_alu instid0(VALU_DEP_1)
	v_cvt_f16_f32_e32 v0, v80
	s_add_nc_u64 s[6:7], s[8:9], s[6:7]
	ds_store_b16 v69, v0
	s_wait_xcnt 0x0
	s_and_saveexec_b32 s11, s4
	s_cbranch_execz .LBB13_21
; %bb.20:                               ;   in Loop: Header=BB13_11 Depth=1
	v_lshl_add_u64 v[0:1], v[48:49], 2, s[6:7]
	v_mov_b32_e32 v55, v47
	s_delay_alu instid0(VALU_DEP_1)
	v_add_nc_u64_e32 v[0:1], v[0:1], v[54:55]
	global_load_b128 v[0:3], v[0:1], off offset:128
	s_wait_loadcnt 0x0
	ds_store_b128 v70, v[0:3]
.LBB13_21:                              ;   in Loop: Header=BB13_11 Depth=1
	s_or_b32 exec_lo, exec_lo, s11
	v_lshlrev_b32_e32 v58, 2, v50
	s_and_saveexec_b32 s11, s5
	s_cbranch_execz .LBB13_23
; %bb.22:                               ;   in Loop: Header=BB13_11 Depth=1
	v_lshl_add_u64 v[0:1], v[52:53], 2, s[6:7]
	v_mov_b32_e32 v59, v47
	s_delay_alu instid0(VALU_DEP_1)
	v_add_nc_u64_e32 v[0:1], v[0:1], v[58:59]
	global_load_b128 v[0:3], v[0:1], off
	s_wait_loadcnt 0x0
	ds_store_b128 v71, v[0:3]
.LBB13_23:                              ;   in Loop: Header=BB13_11 Depth=1
	s_or_b32 exec_lo, exec_lo, s11
	v_add_nc_u32_e32 v83, 0x400, v61
	v_dual_sub_f32 v81, v81, v56 :: v_dual_add_nc_u32 v82, 0x800, v61
	s_wait_dscnt 0x0
	s_barrier_signal -1
	s_barrier_wait -1
	ds_load_2addr_b64 v[32:35], v61 offset1:24
	ds_load_b128 v[20:23], v67
	ds_load_b128 v[0:3], v67 offset:16
	ds_load_2addr_b64 v[24:27], v61 offset0:48 offset1:72
	ds_load_2addr_b64 v[36:39], v61 offset0:96 offset1:120
	;; [unrolled: 1-line block ×7, first 2 shown]
	s_or_b32 s36, s10, 16
	v_cmp_ngt_f32_e64 s6, 0xc2ce8ed0, v81
	s_ashr_i32 s37, s36, 31
	v_cmp_nlt_f32_e64 s7, 0x42b17218, v81
	s_mul_u64 s[36:37], s[36:37], s[14:15]
	s_wait_dscnt 0x0
	s_lshl_b64 s[36:37], s[36:37], 2
	s_barrier_signal -1
	s_add_nc_u64 s[36:37], s[8:9], s[36:37]
	s_barrier_wait -1
	s_and_saveexec_b32 s11, s4
	s_cbranch_execz .LBB13_25
; %bb.24:                               ;   in Loop: Header=BB13_11 Depth=1
	v_lshl_add_u64 v[84:85], v[48:49], 2, s[36:37]
	v_mov_b32_e32 v55, v47
	s_delay_alu instid0(VALU_DEP_1)
	v_add_nc_u64_e32 v[84:85], v[84:85], v[54:55]
	global_load_b128 v[84:87], v[84:85], off offset:128
	s_wait_loadcnt 0x0
	ds_store_b128 v70, v[84:87]
.LBB13_25:                              ;   in Loop: Header=BB13_11 Depth=1
	s_or_b32 exec_lo, exec_lo, s11
	s_and_saveexec_b32 s11, s5
	s_cbranch_execz .LBB13_27
; %bb.26:                               ;   in Loop: Header=BB13_11 Depth=1
	v_lshl_add_u64 v[84:85], v[52:53], 2, s[36:37]
	v_mov_b32_e32 v59, v47
	s_delay_alu instid0(VALU_DEP_1)
	v_add_nc_u64_e32 v[58:59], v[84:85], v[58:59]
	global_load_b128 v[84:87], v[58:59], off
	s_wait_loadcnt 0x0
	ds_store_b128 v71, v[84:87]
.LBB13_27:                              ;   in Loop: Header=BB13_11 Depth=1
	s_or_b32 exec_lo, exec_lo, s11
	v_mul_f32_e32 v55, 0x3fb8aa3b, v81
	s_wait_dscnt 0x0
	s_barrier_signal -1
	s_barrier_wait -1
	s_delay_alu instid0(VALU_DEP_1) | instskip(SKIP_1) | instid1(VALU_DEP_1)
	v_fma_f32 v58, 0x3fb8aa3b, v81, -v55
	v_rndne_f32_e32 v59, v55
	v_dual_fmac_f32 v58, 0x32a5705f, v81 :: v_dual_sub_f32 v55, v55, v59
	s_delay_alu instid0(VALU_DEP_1) | instskip(SKIP_1) | instid1(VALU_DEP_2)
	v_add_f32_e32 v55, v55, v58
	v_cvt_i32_f32_e32 v58, v59
	v_exp_f32_e32 v55, v55
	v_nop
	s_delay_alu instid0(TRANS32_DEP_1) | instskip(SKIP_1) | instid1(VALU_DEP_2)
	v_ldexp_f32 v55, v55, v58
	v_and_b32_e32 v58, 0xffff, v20
	v_dual_lshrrev_b32 v20, 16, v20 :: v_dual_cndmask_b32 v55, 0, v55, s6
	s_delay_alu instid0(VALU_DEP_2) | instskip(NEXT) | instid1(VALU_DEP_2)
	v_mul_u32_u24_e32 v58, 0x10001, v58
	v_mul_u32_u24_e32 v20, 0x10001, v20
	s_delay_alu instid0(VALU_DEP_3) | instskip(NEXT) | instid1(VALU_DEP_3)
	v_cndmask_b32_e64 v55, 0x7f800000, v55, s7
	v_pk_mul_f16 v32, v32, v58
	v_pk_mul_f16 v33, v33, v58
	v_and_b32_e32 v58, 0xffff, v21
	v_lshrrev_b32_e32 v21, 16, v21
	v_cvt_f16_f32_e32 v59, v55
	v_fmac_f32_e32 v80, v72, v55
	s_delay_alu instid0(VALU_DEP_4) | instskip(NEXT) | instid1(VALU_DEP_4)
	v_mul_u32_u24_e32 v58, 0x10001, v58
	v_mul_u32_u24_e32 v21, 0x10001, v21
	s_delay_alu instid0(VALU_DEP_4) | instskip(NEXT) | instid1(VALU_DEP_1)
	v_and_b32_e32 v59, 0xffff, v59
	v_mul_u32_u24_e32 v59, 0x10001, v59
	s_delay_alu instid0(VALU_DEP_1) | instskip(SKIP_1) | instid1(VALU_DEP_2)
	v_pk_fma_f16 v32, v74, v59, v32
	v_pk_fma_f16 v33, v73, v59, v33
	;; [unrolled: 1-line block ×3, first 2 shown]
	s_delay_alu instid0(VALU_DEP_2) | instskip(SKIP_2) | instid1(VALU_DEP_4)
	v_pk_fma_f16 v20, v35, v20, v33
	v_and_b32_e32 v33, 0xffff, v22
	v_lshrrev_b32_e32 v22, 16, v22
	v_pk_fma_f16 v24, v24, v58, v32
	s_delay_alu instid0(VALU_DEP_4) | instskip(NEXT) | instid1(VALU_DEP_4)
	v_pk_fma_f16 v20, v25, v58, v20
	v_mul_u32_u24_e32 v25, 0x10001, v33
	s_delay_alu instid0(VALU_DEP_4) | instskip(NEXT) | instid1(VALU_DEP_4)
	v_mul_u32_u24_e32 v22, 0x10001, v22
	v_pk_fma_f16 v24, v26, v21, v24
	s_delay_alu instid0(VALU_DEP_4) | instskip(SKIP_2) | instid1(VALU_DEP_4)
	v_pk_fma_f16 v20, v27, v21, v20
	v_and_b32_e32 v21, 0xffff, v23
	v_lshrrev_b32_e32 v23, 16, v23
	v_pk_fma_f16 v24, v36, v25, v24
	s_delay_alu instid0(VALU_DEP_4) | instskip(NEXT) | instid1(VALU_DEP_4)
	v_pk_fma_f16 v20, v37, v25, v20
	v_mul_u32_u24_e32 v21, 0x10001, v21
	s_delay_alu instid0(VALU_DEP_3) | instskip(NEXT) | instid1(VALU_DEP_3)
	v_pk_fma_f16 v24, v38, v22, v24
	v_pk_fma_f16 v20, v39, v22, v20
	v_lshrrev_b32_e32 v22, 16, v0
	v_and_b32_e32 v0, 0xffff, v0
	v_mul_u32_u24_e32 v23, 0x10001, v23
	v_pk_fma_f16 v24, v28, v21, v24
	v_pk_fma_f16 v20, v29, v21, v20
	v_lshrrev_b32_e32 v21, 16, v1
	v_mul_u32_u24_e32 v0, 0x10001, v0
	v_and_b32_e32 v1, 0xffff, v1
	v_pk_fma_f16 v24, v30, v23, v24
	v_pk_fma_f16 v20, v31, v23, v20
	v_mul_u32_u24_e32 v22, 0x10001, v22
	v_and_b32_e32 v23, 0xffff, v2
	v_mul_u32_u24_e32 v1, 0x10001, v1
	v_pk_fma_f16 v16, v16, v0, v24
	v_pk_fma_f16 v0, v17, v0, v20
	s_delay_alu instid0(VALU_DEP_2) | instskip(NEXT) | instid1(VALU_DEP_2)
	v_pk_fma_f16 v20, v18, v22, v16
	v_pk_fma_f16 v0, v19, v22, v0
	ds_load_b128 v[16:19], v67 offset:32
	v_pk_fma_f16 v12, v12, v1, v20
	v_pk_fma_f16 v0, v13, v1, v0
	v_lshrrev_b32_e32 v1, 16, v2
	v_mul_u32_u24_e32 v21, 0x10001, v21
	v_mul_u32_u24_e32 v2, 0x10001, v23
	s_delay_alu instid0(VALU_DEP_3) | instskip(NEXT) | instid1(VALU_DEP_3)
	v_mul_u32_u24_e32 v22, 0x10001, v1
	v_pk_fma_f16 v20, v14, v21, v12
	v_pk_fma_f16 v0, v15, v21, v0
	v_and_b32_e32 v21, 0xffff, v3
	ds_load_2addr_b64 v[12:15], v61 offset1:24
	v_pk_fma_f16 v8, v8, v2, v20
	v_pk_fma_f16 v9, v9, v2, v0
	v_lshrrev_b32_e32 v20, 16, v3
	v_mul_u32_u24_e32 v21, 0x10001, v21
	ds_load_b128 v[0:3], v67 offset:48
	v_pk_fma_f16 v23, v10, v22, v8
	v_pk_fma_f16 v22, v11, v22, v9
	ds_load_2addr_b64 v[8:11], v61 offset0:48 offset1:72
	s_wait_dscnt 0x3
	v_and_b32_e32 v24, 0xffff, v16
	v_lshrrev_b32_e32 v16, 16, v16
	v_mul_u32_u24_e32 v20, 0x10001, v20
	v_pk_fma_f16 v4, v4, v21, v23
	v_pk_fma_f16 v5, v5, v21, v22
	v_mul_u32_u24_e32 v21, 0x10001, v24
	v_and_b32_e32 v23, 0xffff, v17
	v_mul_u32_u24_e32 v16, 0x10001, v16
	v_pk_fma_f16 v22, v6, v20, v4
	v_pk_fma_f16 v20, v7, v20, v5
	ds_load_2addr_b64 v[4:7], v61 offset0:96 offset1:120
	v_lshrrev_b32_e32 v17, 16, v17
	v_and_b32_e32 v24, 0xffff, v18
	s_wait_dscnt 0x3
	v_pk_fma_f16 v12, v12, v21, v22
	v_pk_fma_f16 v13, v13, v21, v20
	v_mul_u32_u24_e32 v20, 0x10001, v23
	v_and_b32_e32 v28, 0xffff, v19
	s_delay_alu instid0(VALU_DEP_4) | instskip(NEXT) | instid1(VALU_DEP_4)
	v_pk_fma_f16 v21, v14, v16, v12
	v_pk_fma_f16 v16, v15, v16, v13
	ds_load_2addr_b64 v[12:15], v61 offset0:144 offset1:168
	s_wait_dscnt 0x2
	v_pk_fma_f16 v8, v8, v20, v21
	v_pk_fma_f16 v9, v9, v20, v16
	v_lshrrev_b32_e32 v16, 16, v18
	v_mul_u32_u24_e32 v17, 0x10001, v17
	v_mul_u32_u24_e32 v18, 0x10001, v24
	ds_load_2addr_b64 v[20:23], v61 offset0:192 offset1:216
	v_mul_u32_u24_e32 v16, 0x10001, v16
	v_pk_fma_f16 v24, v10, v17, v8
	v_pk_fma_f16 v17, v11, v17, v9
	ds_load_2addr_b64 v[8:11], v83 offset0:112 offset1:136
	s_wait_dscnt 0x3
	v_pk_fma_f16 v4, v4, v18, v24
	v_pk_fma_f16 v5, v5, v18, v17
	v_lshrrev_b32_e32 v17, 16, v19
	v_mul_u32_u24_e32 v18, 0x10001, v28
	v_and_b32_e32 v28, 0xffff, v0
	v_pk_fma_f16 v19, v6, v16, v4
	v_pk_fma_f16 v16, v7, v16, v5
	v_lshrrev_b32_e32 v0, 16, v0
	v_mul_u32_u24_e32 v17, 0x10001, v17
	ds_load_2addr_b64 v[24:27], v82 offset0:32 offset1:56
	s_wait_dscnt 0x3
	v_pk_fma_f16 v12, v12, v18, v19
	v_pk_fma_f16 v13, v13, v18, v16
	v_mul_u32_u24_e32 v16, 0x10001, v28
	v_mul_u32_u24_e32 v0, 0x10001, v0
	ds_load_2addr_b64 v[4:7], v82 offset0:80 offset1:104
	v_pk_fma_f16 v12, v14, v17, v12
	v_pk_fma_f16 v13, v15, v17, v13
	v_and_b32_e32 v14, 0xffff, v1
	v_lshrrev_b32_e32 v1, 16, v1
	s_wait_dscnt 0x0
	v_pk_fma_f16 v12, v20, v16, v12
	v_pk_fma_f16 v13, v21, v16, v13
	v_mul_u32_u24_e32 v14, 0x10001, v14
	s_barrier_signal -1
	s_barrier_wait -1
	v_pk_fma_f16 v12, v22, v0, v12
	v_pk_fma_f16 v0, v23, v0, v13
	v_and_b32_e32 v13, 0xffff, v2
	v_lshrrev_b32_e32 v2, 16, v2
	v_mul_u32_u24_e32 v1, 0x10001, v1
	v_pk_fma_f16 v8, v8, v14, v12
	v_pk_fma_f16 v0, v9, v14, v0
	s_load_b32 s6, s[20:21], 0x4
	v_mul_u32_u24_e32 v9, 0x10001, v13
	s_delay_alu instid0(VALU_DEP_3) | instskip(NEXT) | instid1(VALU_DEP_3)
	v_pk_fma_f16 v8, v10, v1, v8
	v_pk_fma_f16 v0, v11, v1, v0
	v_and_b32_e32 v1, 0xffff, v3
	v_mul_u32_u24_e32 v2, 0x10001, v2
	v_lshrrev_b32_e32 v3, 16, v3
	v_pk_fma_f16 v8, v24, v9, v8
	v_pk_fma_f16 v0, v25, v9, v0
	v_mul_u32_u24_e32 v1, 0x10001, v1
	s_delay_alu instid0(VALU_DEP_3) | instskip(NEXT) | instid1(VALU_DEP_3)
	v_pk_fma_f16 v8, v26, v2, v8
	v_pk_fma_f16 v0, v27, v2, v0
	v_mul_u32_u24_e32 v2, 0x10001, v3
	s_delay_alu instid0(VALU_DEP_3) | instskip(NEXT) | instid1(VALU_DEP_3)
	v_pk_fma_f16 v3, v4, v1, v8
	v_pk_fma_f16 v0, v5, v1, v0
	s_wait_kmcnt 0x0
	s_lshl_b32 s6, s6, 5
	s_delay_alu instid0(VALU_DEP_2) | instskip(NEXT) | instid1(VALU_DEP_2)
	v_pk_fma_f16 v74, v6, v2, v3
	v_pk_fma_f16 v73, v7, v2, v0
	s_add_co_i32 s10, s6, s10
	s_delay_alu instid0(SALU_CYCLE_1)
	s_cmp_ge_i32 s10, s30
	s_cbranch_scc1 .LBB13_29
; %bb.28:                               ;   in Loop: Header=BB13_11 Depth=1
	v_dual_mov_b32 v81, v56 :: v_dual_mov_b32 v72, v80
	s_branch .LBB13_11
.LBB13_29:
	v_mov_b32_e32 v1, v62
.LBB13_30:
	v_cmp_lt_i32_e32 vcc_lo, v75, v63
	s_cmp_lg_u64 s[12:13], 0
	s_cselect_b32 s3, -1, 0
	s_cmp_eq_u32 s38, 0
	v_cndmask_b32_e32 v0, v1, v75, vcc_lo
	v_cmp_lt_i32_e32 vcc_lo, v76, v63
	s_cselect_b32 s4, -1, 0
	s_delay_alu instid0(SALU_CYCLE_1) | instskip(SKIP_3) | instid1(VALU_DEP_3)
	s_and_b32 s3, s4, s3
	v_cndmask_b32_e32 v2, v1, v76, vcc_lo
	v_lshlrev_b32_e32 v0, 2, v0
	v_cmp_lt_i32_e32 vcc_lo, v77, v63
	v_lshlrev_b32_e32 v2, 2, v2
	ds_bpermute_b32 v0, v0, v80
	v_cndmask_b32_e32 v3, v1, v77, vcc_lo
	v_cmp_lt_i32_e32 vcc_lo, v78, v63
	s_wait_dscnt 0x0
	v_add_f32_e32 v0, v80, v0
	ds_bpermute_b32 v2, v2, v0
	s_wait_dscnt 0x0
	v_dual_add_f32 v0, v0, v2 :: v_dual_lshlrev_b32 v3, 2, v3
	ds_bpermute_b32 v2, v3, v0
	v_cndmask_b32_e32 v3, v1, v78, vcc_lo
	v_cmp_lt_i32_e32 vcc_lo, v79, v63
	v_cndmask_b32_e32 v1, v1, v79, vcc_lo
	s_delay_alu instid0(VALU_DEP_3)
	v_lshlrev_b32_e32 v3, 2, v3
	s_and_b32 vcc_lo, exec_lo, s3
	s_wait_dscnt 0x0
	v_add_f32_e32 v0, v0, v2
	ds_bpermute_b32 v2, v3, v0
	s_wait_dscnt 0x0
	v_dual_add_f32 v0, v0, v2 :: v_dual_lshlrev_b32 v1, 2, v1
	ds_bpermute_b32 v1, v1, v0
	s_wait_dscnt 0x0
	v_dual_add_f32 v57, v0, v1 :: v_dual_add_nc_u32 v2, s33, v40
	s_cbranch_vccz .LBB13_32
; %bb.31:
	global_load_b32 v1, v2, s[12:13] scale_offset
	s_wait_loadcnt 0x0
	v_dual_max_num_f32 v0, v56, v56 :: v_dual_max_num_f32 v3, v1, v1
	s_delay_alu instid0(VALU_DEP_1) | instskip(NEXT) | instid1(VALU_DEP_1)
	v_max_num_f32_e32 v0, v0, v3
	v_sub_f32_e32 v1, v1, v0
	s_delay_alu instid0(VALU_DEP_1) | instskip(NEXT) | instid1(VALU_DEP_1)
	v_mul_f32_e32 v7, 0x3fb8aa3b, v1
	v_fma_f32 v8, 0x3fb8aa3b, v1, -v7
	v_sub_f32_e32 v3, v56, v0
	v_rndne_f32_e32 v9, v7
	s_delay_alu instid0(VALU_DEP_3) | instskip(NEXT) | instid1(VALU_DEP_3)
	v_fmac_f32_e32 v8, 0x32a5705f, v1
	v_mul_f32_e32 v4, 0x3fb8aa3b, v3
	v_cmp_ngt_f32_e32 vcc_lo, 0xc2ce8ed0, v3
	s_delay_alu instid0(VALU_DEP_2) | instskip(SKIP_1) | instid1(VALU_DEP_1)
	v_fma_f32 v5, 0x3fb8aa3b, v3, -v4
	v_rndne_f32_e32 v6, v4
	v_dual_fmac_f32 v5, 0x32a5705f, v3 :: v_dual_sub_f32 v4, v4, v6
	v_cvt_i32_f32_e32 v6, v6
	s_delay_alu instid0(VALU_DEP_2) | instskip(SKIP_1) | instid1(VALU_DEP_1)
	v_add_f32_e32 v4, v4, v5
	v_sub_f32_e32 v5, v7, v9
	v_add_f32_e32 v5, v5, v8
	s_delay_alu instid0(VALU_DEP_3) | instskip(NEXT) | instid1(VALU_DEP_1)
	v_exp_f32_e32 v4, v4
	v_exp_f32_e32 v5, v5
	s_delay_alu instid0(TRANS32_DEP_2) | instskip(SKIP_1) | instid1(VALU_DEP_2)
	v_ldexp_f32 v4, v4, v6
	v_cvt_i32_f32_e32 v6, v9
	v_cndmask_b32_e32 v4, 0, v4, vcc_lo
	v_cmp_nlt_f32_e32 vcc_lo, 0x42b17218, v3
	s_delay_alu instid0(VALU_DEP_2)
	v_cndmask_b32_e32 v3, 0x7f800000, v4, vcc_lo
	s_delay_alu instid0(TRANS32_DEP_1) | instid1(VALU_DEP_4)
	v_ldexp_f32 v4, v5, v6
	v_cmp_ngt_f32_e32 vcc_lo, 0xc2ce8ed0, v1
	s_delay_alu instid0(VALU_DEP_3) | instskip(NEXT) | instid1(VALU_DEP_3)
	v_cvt_f16_f32_e32 v5, v3
	v_cndmask_b32_e32 v4, 0, v4, vcc_lo
	v_cmp_nlt_f32_e32 vcc_lo, 0x42b17218, v1
	s_delay_alu instid0(VALU_DEP_3) | instskip(NEXT) | instid1(VALU_DEP_3)
	v_and_b32_e32 v5, 0xffff, v5
	v_cndmask_b32_e32 v1, 0x7f800000, v4, vcc_lo
	s_delay_alu instid0(VALU_DEP_2) | instskip(NEXT) | instid1(VALU_DEP_2)
	v_mul_u32_u24_e32 v4, 0x10001, v5
	v_fmac_f32_e32 v1, v57, v3
	s_delay_alu instid0(VALU_DEP_2) | instskip(SKIP_1) | instid1(VALU_DEP_3)
	v_pk_mul_f16 v74, v74, v4
	v_pk_mul_f16 v73, v73, v4
	v_mov_b64_e32 v[56:57], v[0:1]
	s_branch .LBB13_33
.LBB13_32:
	s_delay_alu instid0(VALU_DEP_1)
	v_mov_b32_e32 v1, v57
.LBB13_33:
	s_load_b32 s0, s[0:1], 0xd4
	s_wait_xcnt 0x0
	s_mul_i32 s1, s28, s22
	s_delay_alu instid0(SALU_CYCLE_1) | instskip(NEXT) | instid1(VALU_DEP_1)
	v_add3_u32 v0, s1, s31, v60
	v_mad_u32 v0, v0, s23, v2
	s_wait_kmcnt 0x0
	s_delay_alu instid0(VALU_DEP_1)
	v_mad_u32 v0, s0, v0, s38
	s_cmp_lg_u32 s0, 1
	s_cselect_b32 s0, -1, 0
	s_and_saveexec_b32 s1, s2
	s_cbranch_execz .LBB13_35
; %bb.34:
	v_div_scale_f32 v2, null, v1, v1, 1.0
	v_div_scale_f32 v5, vcc_lo, 1.0, v1, 1.0
	v_lshrrev_b32_e32 v7, 16, v73
	s_delay_alu instid0(VALU_DEP_3) | instskip(NEXT) | instid1(VALU_DEP_1)
	v_rcp_f32_e32 v3, v2
	v_cvt_f32_f16_e32 v7, v7
	s_delay_alu instid0(TRANS32_DEP_1) | instskip(NEXT) | instid1(VALU_DEP_1)
	v_fma_f32 v4, -v2, v3, 1.0
	v_fmac_f32_e32 v3, v4, v3
	s_delay_alu instid0(VALU_DEP_1) | instskip(NEXT) | instid1(VALU_DEP_1)
	v_mul_f32_e32 v4, v5, v3
	v_fma_f32 v6, -v2, v4, v5
	s_delay_alu instid0(VALU_DEP_1) | instskip(SKIP_1) | instid1(VALU_DEP_2)
	v_fmac_f32_e32 v4, v6, v3
	v_cvt_f32_f16_e32 v6, v73
	v_dual_fma_f32 v2, -v2, v4, v5 :: v_dual_lshrrev_b32 v5, 16, v74
	s_delay_alu instid0(VALU_DEP_1) | instskip(SKIP_2) | instid1(VALU_DEP_4)
	v_div_fmas_f32 v4, v2, v3, v4
	v_mad_u32 v2, 0x60, v0, v41
	v_mov_b32_e32 v3, 0
	v_cvt_f32_f16_e32 v5, v5
	s_delay_alu instid0(VALU_DEP_4) | instskip(SKIP_1) | instid1(VALU_DEP_2)
	v_div_fixup_f32 v1, v4, v1, 1.0
	v_cvt_f32_f16_e32 v4, v74
	v_cndmask_b32_e64 v8, v1, 1.0, s0
	v_lshl_add_u64 v[10:11], v[2:3], 2, s[16:17]
	s_delay_alu instid0(VALU_DEP_2)
	v_pk_mul_f32 v[2:3], v[8:9], v[4:5] op_sel_hi:[0,1]
	v_pk_mul_f32 v[4:5], v[8:9], v[6:7] op_sel_hi:[0,1]
	global_store_b128 v[10:11], v[2:5], off
.LBB13_35:
	s_wait_xcnt 0x0
	s_or_b32 exec_lo, exec_lo, s1
	v_cmp_eq_u32_e32 vcc_lo, 0, v51
	s_and_b32 s0, vcc_lo, s0
	s_delay_alu instid0(SALU_CYCLE_1)
	s_and_saveexec_b32 s1, s0
	s_cbranch_execz .LBB13_37
; %bb.36:
	global_store_b64 v0, v[56:57], s[18:19] scale_offset
.LBB13_37:
	s_sendmsg sendmsg(MSG_DEALLOC_VGPRS)
	s_endpgm
	.section	.rodata,"a",@progbits
	.p2align	6, 0x0
	.amdhsa_kernel _ZL15flash_attn_tileILi96ELi96ELi1ELi8ELb0EEvPKcS1_S1_S1_S1_PKiPfP15HIP_vector_typeIfLj2EEffffjfiS5_IjLj3EEiiiiiiiiiiiliiliiiiil
		.amdhsa_group_segment_fixed_size 5760
		.amdhsa_private_segment_fixed_size 0
		.amdhsa_kernarg_size 464
		.amdhsa_user_sgpr_count 2
		.amdhsa_user_sgpr_dispatch_ptr 0
		.amdhsa_user_sgpr_queue_ptr 0
		.amdhsa_user_sgpr_kernarg_segment_ptr 1
		.amdhsa_user_sgpr_dispatch_id 0
		.amdhsa_user_sgpr_kernarg_preload_length 0
		.amdhsa_user_sgpr_kernarg_preload_offset 0
		.amdhsa_user_sgpr_private_segment_size 0
		.amdhsa_wavefront_size32 1
		.amdhsa_uses_dynamic_stack 0
		.amdhsa_enable_private_segment 0
		.amdhsa_system_sgpr_workgroup_id_x 1
		.amdhsa_system_sgpr_workgroup_id_y 1
		.amdhsa_system_sgpr_workgroup_id_z 1
		.amdhsa_system_sgpr_workgroup_info 0
		.amdhsa_system_vgpr_workitem_id 1
		.amdhsa_next_free_vgpr 88
		.amdhsa_next_free_sgpr 46
		.amdhsa_named_barrier_count 0
		.amdhsa_reserve_vcc 1
		.amdhsa_float_round_mode_32 0
		.amdhsa_float_round_mode_16_64 0
		.amdhsa_float_denorm_mode_32 3
		.amdhsa_float_denorm_mode_16_64 3
		.amdhsa_fp16_overflow 0
		.amdhsa_memory_ordered 1
		.amdhsa_forward_progress 1
		.amdhsa_inst_pref_size 41
		.amdhsa_round_robin_scheduling 0
		.amdhsa_exception_fp_ieee_invalid_op 0
		.amdhsa_exception_fp_denorm_src 0
		.amdhsa_exception_fp_ieee_div_zero 0
		.amdhsa_exception_fp_ieee_overflow 0
		.amdhsa_exception_fp_ieee_underflow 0
		.amdhsa_exception_fp_ieee_inexact 0
		.amdhsa_exception_int_div_zero 0
	.end_amdhsa_kernel
	.section	.text._ZL15flash_attn_tileILi96ELi96ELi1ELi8ELb0EEvPKcS1_S1_S1_S1_PKiPfP15HIP_vector_typeIfLj2EEffffjfiS5_IjLj3EEiiiiiiiiiiiliiliiiiil,"axG",@progbits,_ZL15flash_attn_tileILi96ELi96ELi1ELi8ELb0EEvPKcS1_S1_S1_S1_PKiPfP15HIP_vector_typeIfLj2EEffffjfiS5_IjLj3EEiiiiiiiiiiiliiliiiiil,comdat
.Lfunc_end13:
	.size	_ZL15flash_attn_tileILi96ELi96ELi1ELi8ELb0EEvPKcS1_S1_S1_S1_PKiPfP15HIP_vector_typeIfLj2EEffffjfiS5_IjLj3EEiiiiiiiiiiiliiliiiiil, .Lfunc_end13-_ZL15flash_attn_tileILi96ELi96ELi1ELi8ELb0EEvPKcS1_S1_S1_S1_PKiPfP15HIP_vector_typeIfLj2EEffffjfiS5_IjLj3EEiiiiiiiiiiiliiliiiiil
                                        ; -- End function
	.set _ZL15flash_attn_tileILi96ELi96ELi1ELi8ELb0EEvPKcS1_S1_S1_S1_PKiPfP15HIP_vector_typeIfLj2EEffffjfiS5_IjLj3EEiiiiiiiiiiiliiliiiiil.num_vgpr, 88
	.set _ZL15flash_attn_tileILi96ELi96ELi1ELi8ELb0EEvPKcS1_S1_S1_S1_PKiPfP15HIP_vector_typeIfLj2EEffffjfiS5_IjLj3EEiiiiiiiiiiiliiliiiiil.num_agpr, 0
	.set _ZL15flash_attn_tileILi96ELi96ELi1ELi8ELb0EEvPKcS1_S1_S1_S1_PKiPfP15HIP_vector_typeIfLj2EEffffjfiS5_IjLj3EEiiiiiiiiiiiliiliiiiil.numbered_sgpr, 46
	.set _ZL15flash_attn_tileILi96ELi96ELi1ELi8ELb0EEvPKcS1_S1_S1_S1_PKiPfP15HIP_vector_typeIfLj2EEffffjfiS5_IjLj3EEiiiiiiiiiiiliiliiiiil.num_named_barrier, 0
	.set _ZL15flash_attn_tileILi96ELi96ELi1ELi8ELb0EEvPKcS1_S1_S1_S1_PKiPfP15HIP_vector_typeIfLj2EEffffjfiS5_IjLj3EEiiiiiiiiiiiliiliiiiil.private_seg_size, 0
	.set _ZL15flash_attn_tileILi96ELi96ELi1ELi8ELb0EEvPKcS1_S1_S1_S1_PKiPfP15HIP_vector_typeIfLj2EEffffjfiS5_IjLj3EEiiiiiiiiiiiliiliiiiil.uses_vcc, 1
	.set _ZL15flash_attn_tileILi96ELi96ELi1ELi8ELb0EEvPKcS1_S1_S1_S1_PKiPfP15HIP_vector_typeIfLj2EEffffjfiS5_IjLj3EEiiiiiiiiiiiliiliiiiil.uses_flat_scratch, 0
	.set _ZL15flash_attn_tileILi96ELi96ELi1ELi8ELb0EEvPKcS1_S1_S1_S1_PKiPfP15HIP_vector_typeIfLj2EEffffjfiS5_IjLj3EEiiiiiiiiiiiliiliiiiil.has_dyn_sized_stack, 0
	.set _ZL15flash_attn_tileILi96ELi96ELi1ELi8ELb0EEvPKcS1_S1_S1_S1_PKiPfP15HIP_vector_typeIfLj2EEffffjfiS5_IjLj3EEiiiiiiiiiiiliiliiiiil.has_recursion, 0
	.set _ZL15flash_attn_tileILi96ELi96ELi1ELi8ELb0EEvPKcS1_S1_S1_S1_PKiPfP15HIP_vector_typeIfLj2EEffffjfiS5_IjLj3EEiiiiiiiiiiiliiliiiiil.has_indirect_call, 0
	.section	.AMDGPU.csdata,"",@progbits
; Kernel info:
; codeLenInByte = 5196
; TotalNumSgprs: 48
; NumVgprs: 88
; ScratchSize: 0
; MemoryBound: 0
; FloatMode: 240
; IeeeMode: 1
; LDSByteSize: 5760 bytes/workgroup (compile time only)
; SGPRBlocks: 0
; VGPRBlocks: 5
; NumSGPRsForWavesPerEU: 48
; NumVGPRsForWavesPerEU: 88
; NamedBarCnt: 0
; Occupancy: 10
; WaveLimiterHint : 1
; COMPUTE_PGM_RSRC2:SCRATCH_EN: 0
; COMPUTE_PGM_RSRC2:USER_SGPR: 2
; COMPUTE_PGM_RSRC2:TRAP_HANDLER: 0
; COMPUTE_PGM_RSRC2:TGID_X_EN: 1
; COMPUTE_PGM_RSRC2:TGID_Y_EN: 1
; COMPUTE_PGM_RSRC2:TGID_Z_EN: 1
; COMPUTE_PGM_RSRC2:TIDIG_COMP_CNT: 1
	.section	.text._ZL25flash_attn_mask_to_KV_maxILi1EEvPK7__half2Piiii,"axG",@progbits,_ZL25flash_attn_mask_to_KV_maxILi1EEvPK7__half2Piiii,comdat
	.globl	_ZL25flash_attn_mask_to_KV_maxILi1EEvPK7__half2Piiii ; -- Begin function _ZL25flash_attn_mask_to_KV_maxILi1EEvPK7__half2Piiii
	.p2align	8
	.type	_ZL25flash_attn_mask_to_KV_maxILi1EEvPK7__half2Piiii,@function
_ZL25flash_attn_mask_to_KV_maxILi1EEvPK7__half2Piiii: ; @_ZL25flash_attn_mask_to_KV_maxILi1EEvPK7__half2Piiii
; %bb.0:
	s_load_b128 s[4:7], s[0:1], 0x0
	s_mov_b32 s2, exec_lo
	v_cmpx_gt_u32_e32 32, v0
; %bb.1:
	v_dual_mov_b32 v2, 1 :: v_dual_lshlrev_b32 v1, 2, v0
	ds_store_b32 v1, v2
; %bb.2:
	s_or_b32 exec_lo, exec_lo, s2
	s_clause 0x1
	s_load_b96 s[8:10], s[0:1], 0x10
	s_load_b32 s11, s[0:1], 0x20
	s_wait_xcnt 0x0
	s_bfe_u32 s1, ttmp6, 0x4000c
	s_bfe_u32 s2, ttmp6, 0x40010
	s_add_co_i32 s1, s1, 1
	s_add_co_i32 s2, s2, 1
	s_and_b32 s0, ttmp6, 15
	s_bfe_u32 s3, ttmp6, 0x40004
	s_mul_i32 s1, ttmp9, s1
	s_mul_i32 s2, ttmp7, s2
	s_getreg_b32 s12, hwreg(HW_REG_IB_STS2, 6, 4)
	s_add_co_i32 s0, s0, s1
	s_add_co_i32 s3, s3, s2
	s_cmp_eq_u32 s12, 0
	v_dual_lshrrev_b32 v1, 3, v0 :: v_dual_bitop2_b32 v2, 31, v0 bitop3:0x40
	s_cselect_b32 s1, ttmp7, s3
	s_cselect_b32 s12, ttmp9, s0
	s_wait_dscnt 0x0
	s_barrier_signal -1
	s_wait_kmcnt 0x0
	s_mul_i32 s0, s10, s1
	s_mul_i32 s2, s9, s12
	s_barrier_wait -1
	s_add_co_i32 s2, s0, s2
	v_cmp_eq_u32_e64 s0, 0, v2
	s_ashr_i32 s3, s2, 31
	v_lshlrev_b32_e32 v2, 2, v2
	s_lshl_b64 s[2:3], s[2:3], 2
	s_delay_alu instid0(SALU_CYCLE_1)
	s_add_nc_u64 s[2:3], s[4:5], s[2:3]
	s_lshl_b32 s5, s8, 8
	s_branch .LBB14_4
.LBB14_3:                               ;   in Loop: Header=BB14_4 Depth=1
	s_or_b32 exec_lo, exec_lo, s9
	s_wait_dscnt 0x0
	s_barrier_signal -1
	s_barrier_wait -1
	ds_load_b32 v3, v2
	s_wait_dscnt 0x0
	s_barrier_signal -1
	s_barrier_wait -1
	v_cmp_ne_u32_e32 vcc_lo, 0, v3
	s_cmp_lg_u32 vcc_lo, exec_lo
	s_cselect_b32 s8, -1, 0
	s_delay_alu instid0(SALU_CYCLE_1)
	s_and_b32 vcc_lo, exec_lo, s8
	s_cbranch_vccnz .LBB14_8
.LBB14_4:                               ; =>This Inner Loop Header: Depth=1
	s_mov_b32 s4, s5
	s_addk_co_i32 s5, 0xff00
	s_delay_alu instid0(SALU_CYCLE_1)
	s_cmp_lt_i32 s5, 0
	s_cbranch_scc1 .LBB14_7
; %bb.5:                                ;   in Loop: Header=BB14_4 Depth=1
	s_lshr_b32 s9, s5, 1
	s_mov_b32 s8, exec_lo
	v_add_nc_u32_e32 v3, s9, v0
	global_load_b32 v3, v3, s[2:3] scale_offset
	s_wait_loadcnt 0x0
	v_lshrrev_b32_e32 v4, 16, v3
	v_cmp_class_f16_e64 s9, v3, 0x204
	s_delay_alu instid0(VALU_DEP_2) | instskip(SKIP_1) | instid1(SALU_CYCLE_1)
	v_cmp_class_f16_e64 s10, v4, 0x204
	s_and_b32 s9, s9, s10
	v_cndmask_b32_e64 v3, 0, 1, s9
	s_delay_alu instid0(VALU_DEP_1)
	v_cmp_ne_u32_e32 vcc_lo, 0, v3
	s_and_saveexec_b32 s9, s0
	s_cbranch_execz .LBB14_3
; %bb.6:                                ;   in Loop: Header=BB14_4 Depth=1
	s_cmp_eq_u32 vcc_lo, s8
	s_cselect_b32 s8, -1, 0
	s_delay_alu instid0(SALU_CYCLE_1)
	v_cndmask_b32_e64 v3, 0, 1, s8
	ds_store_b32 v1, v3
	s_branch .LBB14_3
.LBB14_7:                               ;   in Loop: Header=BB14_4 Depth=1
	s_cbranch_execz .LBB14_4
.LBB14_8:
	s_mov_b32 s0, exec_lo
	v_cmpx_eq_u32_e32 0, v0
	s_cbranch_execz .LBB14_10
; %bb.9:
	s_mul_i32 s0, s11, s1
	v_mov_b32_e32 v1, s4
	s_add_co_i32 s0, s0, s12
	s_delay_alu instid0(SALU_CYCLE_1)
	v_mov_b32_e32 v0, s0
	global_store_b32 v0, v1, s[6:7] scale_offset
.LBB14_10:
	s_endpgm
	.section	.rodata,"a",@progbits
	.p2align	6, 0x0
	.amdhsa_kernel _ZL25flash_attn_mask_to_KV_maxILi1EEvPK7__half2Piiii
		.amdhsa_group_segment_fixed_size 128
		.amdhsa_private_segment_fixed_size 0
		.amdhsa_kernarg_size 288
		.amdhsa_user_sgpr_count 2
		.amdhsa_user_sgpr_dispatch_ptr 0
		.amdhsa_user_sgpr_queue_ptr 0
		.amdhsa_user_sgpr_kernarg_segment_ptr 1
		.amdhsa_user_sgpr_dispatch_id 0
		.amdhsa_user_sgpr_kernarg_preload_length 0
		.amdhsa_user_sgpr_kernarg_preload_offset 0
		.amdhsa_user_sgpr_private_segment_size 0
		.amdhsa_wavefront_size32 1
		.amdhsa_uses_dynamic_stack 0
		.amdhsa_enable_private_segment 0
		.amdhsa_system_sgpr_workgroup_id_x 1
		.amdhsa_system_sgpr_workgroup_id_y 1
		.amdhsa_system_sgpr_workgroup_id_z 0
		.amdhsa_system_sgpr_workgroup_info 0
		.amdhsa_system_vgpr_workitem_id 0
		.amdhsa_next_free_vgpr 5
		.amdhsa_next_free_sgpr 13
		.amdhsa_named_barrier_count 0
		.amdhsa_reserve_vcc 1
		.amdhsa_float_round_mode_32 0
		.amdhsa_float_round_mode_16_64 0
		.amdhsa_float_denorm_mode_32 3
		.amdhsa_float_denorm_mode_16_64 3
		.amdhsa_fp16_overflow 0
		.amdhsa_memory_ordered 1
		.amdhsa_forward_progress 1
		.amdhsa_inst_pref_size 4
		.amdhsa_round_robin_scheduling 0
		.amdhsa_exception_fp_ieee_invalid_op 0
		.amdhsa_exception_fp_denorm_src 0
		.amdhsa_exception_fp_ieee_div_zero 0
		.amdhsa_exception_fp_ieee_overflow 0
		.amdhsa_exception_fp_ieee_underflow 0
		.amdhsa_exception_fp_ieee_inexact 0
		.amdhsa_exception_int_div_zero 0
	.end_amdhsa_kernel
	.section	.text._ZL25flash_attn_mask_to_KV_maxILi1EEvPK7__half2Piiii,"axG",@progbits,_ZL25flash_attn_mask_to_KV_maxILi1EEvPK7__half2Piiii,comdat
.Lfunc_end14:
	.size	_ZL25flash_attn_mask_to_KV_maxILi1EEvPK7__half2Piiii, .Lfunc_end14-_ZL25flash_attn_mask_to_KV_maxILi1EEvPK7__half2Piiii
                                        ; -- End function
	.set _ZL25flash_attn_mask_to_KV_maxILi1EEvPK7__half2Piiii.num_vgpr, 5
	.set _ZL25flash_attn_mask_to_KV_maxILi1EEvPK7__half2Piiii.num_agpr, 0
	.set _ZL25flash_attn_mask_to_KV_maxILi1EEvPK7__half2Piiii.numbered_sgpr, 13
	.set _ZL25flash_attn_mask_to_KV_maxILi1EEvPK7__half2Piiii.num_named_barrier, 0
	.set _ZL25flash_attn_mask_to_KV_maxILi1EEvPK7__half2Piiii.private_seg_size, 0
	.set _ZL25flash_attn_mask_to_KV_maxILi1EEvPK7__half2Piiii.uses_vcc, 1
	.set _ZL25flash_attn_mask_to_KV_maxILi1EEvPK7__half2Piiii.uses_flat_scratch, 0
	.set _ZL25flash_attn_mask_to_KV_maxILi1EEvPK7__half2Piiii.has_dyn_sized_stack, 0
	.set _ZL25flash_attn_mask_to_KV_maxILi1EEvPK7__half2Piiii.has_recursion, 0
	.set _ZL25flash_attn_mask_to_KV_maxILi1EEvPK7__half2Piiii.has_indirect_call, 0
	.section	.AMDGPU.csdata,"",@progbits
; Kernel info:
; codeLenInByte = 456
; TotalNumSgprs: 15
; NumVgprs: 5
; ScratchSize: 0
; MemoryBound: 0
; FloatMode: 240
; IeeeMode: 1
; LDSByteSize: 128 bytes/workgroup (compile time only)
; SGPRBlocks: 0
; VGPRBlocks: 0
; NumSGPRsForWavesPerEU: 15
; NumVGPRsForWavesPerEU: 5
; NamedBarCnt: 0
; Occupancy: 16
; WaveLimiterHint : 0
; COMPUTE_PGM_RSRC2:SCRATCH_EN: 0
; COMPUTE_PGM_RSRC2:USER_SGPR: 2
; COMPUTE_PGM_RSRC2:TRAP_HANDLER: 0
; COMPUTE_PGM_RSRC2:TGID_X_EN: 1
; COMPUTE_PGM_RSRC2:TGID_Y_EN: 1
; COMPUTE_PGM_RSRC2:TGID_Z_EN: 0
; COMPUTE_PGM_RSRC2:TIDIG_COMP_CNT: 0
	.section	.text._ZL33flash_attn_stream_k_fixup_uniformILi96ELi1ELi8EEvPfPK15HIP_vector_typeIfLj2EEiiiiiiS1_IjLj3EES5_S5_,"axG",@progbits,_ZL33flash_attn_stream_k_fixup_uniformILi96ELi1ELi8EEvPfPK15HIP_vector_typeIfLj2EEiiiiiiS1_IjLj3EES5_S5_,comdat
	.globl	_ZL33flash_attn_stream_k_fixup_uniformILi96ELi1ELi8EEvPfPK15HIP_vector_typeIfLj2EEiiiiiiS1_IjLj3EES5_S5_ ; -- Begin function _ZL33flash_attn_stream_k_fixup_uniformILi96ELi1ELi8EEvPfPK15HIP_vector_typeIfLj2EEiiiiiiS1_IjLj3EES5_S5_
	.p2align	8
	.type	_ZL33flash_attn_stream_k_fixup_uniformILi96ELi1ELi8EEvPfPK15HIP_vector_typeIfLj2EEiiiiiiS1_IjLj3EES5_S5_,@function
_ZL33flash_attn_stream_k_fixup_uniformILi96ELi1ELi8EEvPfPK15HIP_vector_typeIfLj2EEiiiiiiS1_IjLj3EES5_S5_: ; @_ZL33flash_attn_stream_k_fixup_uniformILi96ELi1ELi8EEvPfPK15HIP_vector_typeIfLj2EEiiiiiiS1_IjLj3EES5_S5_
; %bb.0:
	s_load_b256 s[4:11], s[0:1], 0x1c
	s_bfe_u32 s2, ttmp6, 0x40014
	s_lshr_b32 s3, ttmp7, 16
	s_add_co_i32 s2, s2, 1
	s_bfe_u32 s13, ttmp6, 0x40010
	s_mul_i32 s2, s3, s2
	s_bfe_u32 s12, ttmp6, 0x40008
	s_and_b32 s15, ttmp7, 0xffff
	s_add_co_i32 s13, s13, 1
	s_bfe_u32 s14, ttmp6, 0x4000c
	s_add_co_i32 s12, s12, s2
	s_mul_i32 s2, s15, s13
	s_bfe_u32 s13, ttmp6, 0x40004
	s_add_co_i32 s14, s14, 1
	s_add_co_i32 s13, s13, s2
	s_and_b32 s2, ttmp6, 15
	s_mul_i32 s14, ttmp9, s14
	s_getreg_b32 s20, hwreg(HW_REG_IB_STS2, 6, 4)
	s_add_co_i32 s2, s2, s14
	s_load_b128 s[16:19], s[0:1], 0x3c
	s_cmp_eq_u32 s20, 0
	s_cselect_b32 s14, ttmp9, s2
	s_cselect_b32 s13, s15, s13
	s_wait_kmcnt 0x0
	s_mul_hi_u32 s2, s7, s14
	s_cselect_b32 s12, s3, s12
	s_add_co_i32 s2, s14, s2
	s_delay_alu instid0(SALU_CYCLE_1) | instskip(NEXT) | instid1(SALU_CYCLE_1)
	s_lshr_b32 s7, s2, s8
	s_mul_i32 s2, s7, s9
	s_delay_alu instid0(SALU_CYCLE_1) | instskip(SKIP_2) | instid1(SALU_CYCLE_1)
	s_sub_co_i32 s8, s14, s2
	s_load_b64 s[2:3], s[0:1], 0x10
	s_mul_hi_u32 s9, s8, s10
	s_add_co_i32 s9, s8, s9
	s_delay_alu instid0(SALU_CYCLE_1) | instskip(NEXT) | instid1(SALU_CYCLE_1)
	s_lshr_b32 s15, s9, s11
	s_mul_i32 s9, s15, s16
	s_delay_alu instid0(SALU_CYCLE_1) | instskip(NEXT) | instid1(SALU_CYCLE_1)
	s_sub_co_i32 s8, s8, s9
	s_mul_hi_u32 s9, s8, s17
	s_delay_alu instid0(SALU_CYCLE_1) | instskip(NEXT) | instid1(SALU_CYCLE_1)
	s_add_co_i32 s9, s8, s9
	s_lshr_b32 s9, s9, s18
	s_delay_alu instid0(SALU_CYCLE_1) | instskip(SKIP_2) | instid1(SALU_CYCLE_1)
	s_mul_i32 s10, s9, s19
	s_lshl_b32 s17, s9, 3
	s_sub_co_i32 s16, s8, s10
	s_add_co_i32 s16, s16, s13
	s_wait_kmcnt 0x0
	s_cmp_lt_i32 s16, s2
	s_cselect_b32 s8, -1, 0
	s_add_co_i32 s17, s17, s12
	s_delay_alu instid0(SALU_CYCLE_1) | instskip(SKIP_1) | instid1(SALU_CYCLE_1)
	s_cmp_lt_i32 s17, s5
	s_cselect_b32 s9, -1, 0
	s_and_b32 s8, s8, s9
	s_delay_alu instid0(SALU_CYCLE_1)
	s_and_not1_b32 vcc_lo, exec_lo, s8
	s_cbranch_vccnz .LBB15_6
; %bb.1:
	s_load_b128 s[8:11], s[0:1], 0x0
	s_mul_i32 s7, s7, s2
	s_mul_i32 s15, s15, s5
	s_wait_xcnt 0x0
	s_add_co_i32 s0, s16, s7
	s_add_co_i32 s1, s17, s15
	s_mul_i32 s0, s0, s3
	s_mul_i32 s7, s6, s14
	s_add_co_i32 s1, s1, s0
	s_add_co_i32 s5, s7, s6
	v_mad_u32 v4, 0x60, s1, v0
	s_add_co_i32 s0, s13, s5
	s_add_co_i32 s2, s5, -2
	s_lshl_b32 s0, s0, 3
	s_delay_alu instid0(SALU_CYCLE_1) | instskip(NEXT) | instid1(SALU_CYCLE_1)
	s_add_co_i32 s0, s0, s12
	s_add_co_i32 s0, s0, -8
	s_delay_alu instid0(SALU_CYCLE_1) | instskip(NEXT) | instid1(SALU_CYCLE_1)
	s_ashr_i32 s1, s0, 31
	s_lshl_b64 s[0:1], s[0:1], 3
	s_wait_kmcnt 0x0
	global_load_b32 v3, v4, s[8:9] scale_offset
	s_add_nc_u64 s[0:1], s[10:11], s[0:1]
	v_ashrrev_i32_e32 v5, 31, v4
	s_load_b32 s15, s[0:1], 0x4
	s_cmp_lt_i32 s2, s7
	s_cbranch_scc1 .LBB15_4
; %bb.2:
	s_wait_xcnt 0x0
	s_load_b32 s0, s[0:1], 0x0
	s_add_co_i32 s14, s14, 1
	s_lshl_b32 s2, s4, 5
	s_wait_xcnt 0x0
	s_mul_i32 s1, s6, s14
	s_mul_i32 s6, s13, 0x300
	;; [unrolled: 1-line block ×3, first 2 shown]
	s_add_co_i32 s4, s13, s4
	s_mulk_i32 s1, 0x300
	s_add_co_i32 s6, s14, s6
	s_add_co_i32 s4, s4, s5
	;; [unrolled: 1-line block ×3, first 2 shown]
	s_ashr_i32 s3, s2, 31
	s_lshl_b32 s1, s4, 3
	v_add3_u32 v0, s6, v0, 0xfffffa00
	s_wait_kmcnt 0x0
	v_mov_b32_e32 v2, s15
	s_lshl_b64 s[2:3], s[2:3], 2
	s_add_co_i32 s4, s12, s1
	s_add_nc_u64 s[2:3], s[10:11], s[2:3]
	s_add_co_i32 s1, s5, -1
	s_add_co_i32 s4, s4, -16
.LBB15_3:                               ; =>This Inner Loop Header: Depth=1
	global_load_b32 v7, v0, s[2:3] scale_offset
	s_ashr_i32 s5, s4, 31
	v_max_num_f32_e64 v1, s0, s0
	s_lshl_b64 s[12:13], s[4:5], 3
	s_delay_alu instid0(SALU_CYCLE_1) | instskip(SKIP_1) | instid1(VALU_DEP_1)
	s_add_nc_u64 s[12:13], s[10:11], s[12:13]
	s_load_b64 s[12:13], s[12:13], 0x0
	v_readfirstlane_b32 s5, v1
	v_add_nc_u32_e32 v0, 0xfffffd00, v0
	s_wait_kmcnt 0x0
	v_max_num_f32_e64 v1, s12, s12
	s_delay_alu instid0(VALU_DEP_1) | instskip(SKIP_1) | instid1(SALU_CYCLE_3)
	v_readfirstlane_b32 s6, v1
	s_max_num_f32 s5, s5, s6
	s_sub_f32 s0, s0, s5
	s_sub_f32 s6, s12, s5
	s_delay_alu instid0(SALU_CYCLE_2) | instskip(NEXT) | instid1(SALU_CYCLE_2)
	s_mul_f32 s12, s0, 0x3fb8aa3b
	s_mul_f32 s14, s6, 0x3fb8aa3b
	s_delay_alu instid0(SALU_CYCLE_2)
	s_xor_b32 s15, s12, 0x80000000
	s_rndne_f32 s16, s12
	s_fmamk_f32 s15, s0, 0x3fb8aa3b, s15
	s_cmp_nlt_f32 s0, 0xc2ce8ed0
	s_rndne_f32 s17, s14
	s_sub_f32 s12, s12, s16
	s_fmamk_f32 s15, s0, 0x32a5705f, s15
	s_cselect_b32 vcc_lo, -1, 0
	s_cmp_ngt_f32 s0, 0x42b17218
	s_delay_alu instid0(SALU_CYCLE_1) | instskip(SKIP_2) | instid1(SALU_CYCLE_1)
	s_add_f32 s12, s12, s15
	s_cvt_i32_f32 s15, s16
	s_sub_f32 s16, s14, s17
	v_s_exp_f32 s12, s12
	v_nop
	s_delay_alu instid0(TRANS32_DEP_1) | instskip(SKIP_1) | instid1(VALU_DEP_1)
	v_ldexp_f32 v1, s12, s15
	s_cvt_i32_f32 s12, s17
	v_cndmask_b32_e32 v1, 0, v1, vcc_lo
	s_cselect_b32 vcc_lo, -1, 0
	s_cmp_ge_f32 s0, 0xc1a00000
	s_delay_alu instid0(VALU_DEP_1)
	v_cndmask_b32_e32 v1, 0x7f800000, v1, vcc_lo
	s_cselect_b32 vcc_lo, -1, 0
	s_xor_b32 s0, s14, 0x80000000
	s_cmp_nlt_f32 s6, 0xc2ce8ed0
	s_fmamk_f32 s0, s6, 0x3fb8aa3b, s0
	v_cndmask_b32_e32 v10, 0, v1, vcc_lo
	s_delay_alu instid0(SALU_CYCLE_2) | instskip(NEXT) | instid1(SALU_CYCLE_3)
	s_fmamk_f32 s0, s6, 0x32a5705f, s0
	s_add_f32 s0, s16, s0
	s_delay_alu instid0(SALU_CYCLE_3) | instskip(SKIP_1) | instid1(TRANS32_DEP_1)
	v_s_exp_f32 s0, s0
	v_nop
	v_ldexp_f32 v6, s0, s12
	s_cselect_b32 s0, -1, 0
	s_cmp_ngt_f32 s6, 0x42b17218
	s_delay_alu instid0(VALU_DEP_1) | instskip(SKIP_2) | instid1(VALU_DEP_1)
	v_cndmask_b32_e64 v6, 0, v6, s0
	s_cselect_b32 s0, -1, 0
	s_cmp_ge_f32 s6, 0xc1a00000
	v_cndmask_b32_e64 v8, 0x7f800000, v6, s0
	s_cselect_b32 s0, -1, 0
	v_mov_b32_e32 v6, s13
	s_add_co_i32 s1, s1, -1
	s_add_co_i32 s4, s4, -8
	v_cndmask_b32_e64 v8, 0, v8, s0
	s_cmp_le_i32 s1, s7
	s_mov_b32 s0, s5
	s_wait_loadcnt 0x0
	s_delay_alu instid0(VALU_DEP_1) | instskip(NEXT) | instid1(VALU_DEP_1)
	v_pk_mul_f32 v[6:7], v[6:7], v[8:9] op_sel_hi:[1,0]
	v_pk_fma_f32 v[2:3], v[2:3], v[10:11], v[6:7] op_sel_hi:[1,0,1]
	s_cbranch_scc0 .LBB15_3
	s_branch .LBB15_5
.LBB15_4:
	s_wait_kmcnt 0x0
	v_mov_b32_e32 v2, s15
.LBB15_5:
	v_lshl_add_u64 v[0:1], v[4:5], 2, s[8:9]
	s_wait_loadcnt 0x0
	s_delay_alu instid0(VALU_DEP_2) | instskip(NEXT) | instid1(VALU_DEP_1)
	v_div_scale_f32 v4, null, v2, v2, v3
	v_rcp_f32_e32 v5, v4
	v_nop
	s_delay_alu instid0(TRANS32_DEP_1) | instskip(NEXT) | instid1(VALU_DEP_1)
	v_fma_f32 v6, -v4, v5, 1.0
	v_fmac_f32_e32 v5, v6, v5
	v_div_scale_f32 v6, vcc_lo, v3, v2, v3
	s_delay_alu instid0(VALU_DEP_1) | instskip(NEXT) | instid1(VALU_DEP_1)
	v_mul_f32_e32 v7, v6, v5
	v_fma_f32 v8, -v4, v7, v6
	s_delay_alu instid0(VALU_DEP_1) | instskip(NEXT) | instid1(VALU_DEP_1)
	v_fmac_f32_e32 v7, v8, v5
	v_fma_f32 v4, -v4, v7, v6
	s_delay_alu instid0(VALU_DEP_1) | instskip(NEXT) | instid1(VALU_DEP_1)
	v_div_fmas_f32 v4, v4, v5, v7
	v_div_fixup_f32 v2, v4, v2, v3
	global_store_b32 v[0:1], v2, off
.LBB15_6:
	s_endpgm
	.section	.rodata,"a",@progbits
	.p2align	6, 0x0
	.amdhsa_kernel _ZL33flash_attn_stream_k_fixup_uniformILi96ELi1ELi8EEvPfPK15HIP_vector_typeIfLj2EEiiiiiiS1_IjLj3EES5_S5_
		.amdhsa_group_segment_fixed_size 0
		.amdhsa_private_segment_fixed_size 0
		.amdhsa_kernarg_size 76
		.amdhsa_user_sgpr_count 2
		.amdhsa_user_sgpr_dispatch_ptr 0
		.amdhsa_user_sgpr_queue_ptr 0
		.amdhsa_user_sgpr_kernarg_segment_ptr 1
		.amdhsa_user_sgpr_dispatch_id 0
		.amdhsa_user_sgpr_kernarg_preload_length 0
		.amdhsa_user_sgpr_kernarg_preload_offset 0
		.amdhsa_user_sgpr_private_segment_size 0
		.amdhsa_wavefront_size32 1
		.amdhsa_uses_dynamic_stack 0
		.amdhsa_enable_private_segment 0
		.amdhsa_system_sgpr_workgroup_id_x 1
		.amdhsa_system_sgpr_workgroup_id_y 1
		.amdhsa_system_sgpr_workgroup_id_z 1
		.amdhsa_system_sgpr_workgroup_info 0
		.amdhsa_system_vgpr_workitem_id 0
		.amdhsa_next_free_vgpr 12
		.amdhsa_next_free_sgpr 21
		.amdhsa_named_barrier_count 0
		.amdhsa_reserve_vcc 1
		.amdhsa_float_round_mode_32 0
		.amdhsa_float_round_mode_16_64 0
		.amdhsa_float_denorm_mode_32 3
		.amdhsa_float_denorm_mode_16_64 3
		.amdhsa_fp16_overflow 0
		.amdhsa_memory_ordered 1
		.amdhsa_forward_progress 1
		.amdhsa_inst_pref_size 9
		.amdhsa_round_robin_scheduling 0
		.amdhsa_exception_fp_ieee_invalid_op 0
		.amdhsa_exception_fp_denorm_src 0
		.amdhsa_exception_fp_ieee_div_zero 0
		.amdhsa_exception_fp_ieee_overflow 0
		.amdhsa_exception_fp_ieee_underflow 0
		.amdhsa_exception_fp_ieee_inexact 0
		.amdhsa_exception_int_div_zero 0
	.end_amdhsa_kernel
	.section	.text._ZL33flash_attn_stream_k_fixup_uniformILi96ELi1ELi8EEvPfPK15HIP_vector_typeIfLj2EEiiiiiiS1_IjLj3EES5_S5_,"axG",@progbits,_ZL33flash_attn_stream_k_fixup_uniformILi96ELi1ELi8EEvPfPK15HIP_vector_typeIfLj2EEiiiiiiS1_IjLj3EES5_S5_,comdat
.Lfunc_end15:
	.size	_ZL33flash_attn_stream_k_fixup_uniformILi96ELi1ELi8EEvPfPK15HIP_vector_typeIfLj2EEiiiiiiS1_IjLj3EES5_S5_, .Lfunc_end15-_ZL33flash_attn_stream_k_fixup_uniformILi96ELi1ELi8EEvPfPK15HIP_vector_typeIfLj2EEiiiiiiS1_IjLj3EES5_S5_
                                        ; -- End function
	.set _ZL33flash_attn_stream_k_fixup_uniformILi96ELi1ELi8EEvPfPK15HIP_vector_typeIfLj2EEiiiiiiS1_IjLj3EES5_S5_.num_vgpr, 12
	.set _ZL33flash_attn_stream_k_fixup_uniformILi96ELi1ELi8EEvPfPK15HIP_vector_typeIfLj2EEiiiiiiS1_IjLj3EES5_S5_.num_agpr, 0
	.set _ZL33flash_attn_stream_k_fixup_uniformILi96ELi1ELi8EEvPfPK15HIP_vector_typeIfLj2EEiiiiiiS1_IjLj3EES5_S5_.numbered_sgpr, 21
	.set _ZL33flash_attn_stream_k_fixup_uniformILi96ELi1ELi8EEvPfPK15HIP_vector_typeIfLj2EEiiiiiiS1_IjLj3EES5_S5_.num_named_barrier, 0
	.set _ZL33flash_attn_stream_k_fixup_uniformILi96ELi1ELi8EEvPfPK15HIP_vector_typeIfLj2EEiiiiiiS1_IjLj3EES5_S5_.private_seg_size, 0
	.set _ZL33flash_attn_stream_k_fixup_uniformILi96ELi1ELi8EEvPfPK15HIP_vector_typeIfLj2EEiiiiiiS1_IjLj3EES5_S5_.uses_vcc, 1
	.set _ZL33flash_attn_stream_k_fixup_uniformILi96ELi1ELi8EEvPfPK15HIP_vector_typeIfLj2EEiiiiiiS1_IjLj3EES5_S5_.uses_flat_scratch, 0
	.set _ZL33flash_attn_stream_k_fixup_uniformILi96ELi1ELi8EEvPfPK15HIP_vector_typeIfLj2EEiiiiiiS1_IjLj3EES5_S5_.has_dyn_sized_stack, 0
	.set _ZL33flash_attn_stream_k_fixup_uniformILi96ELi1ELi8EEvPfPK15HIP_vector_typeIfLj2EEiiiiiiS1_IjLj3EES5_S5_.has_recursion, 0
	.set _ZL33flash_attn_stream_k_fixup_uniformILi96ELi1ELi8EEvPfPK15HIP_vector_typeIfLj2EEiiiiiiS1_IjLj3EES5_S5_.has_indirect_call, 0
	.section	.AMDGPU.csdata,"",@progbits
; Kernel info:
; codeLenInByte = 1076
; TotalNumSgprs: 23
; NumVgprs: 12
; ScratchSize: 0
; MemoryBound: 0
; FloatMode: 240
; IeeeMode: 1
; LDSByteSize: 0 bytes/workgroup (compile time only)
; SGPRBlocks: 0
; VGPRBlocks: 0
; NumSGPRsForWavesPerEU: 23
; NumVGPRsForWavesPerEU: 12
; NamedBarCnt: 0
; Occupancy: 16
; WaveLimiterHint : 0
; COMPUTE_PGM_RSRC2:SCRATCH_EN: 0
; COMPUTE_PGM_RSRC2:USER_SGPR: 2
; COMPUTE_PGM_RSRC2:TRAP_HANDLER: 0
; COMPUTE_PGM_RSRC2:TGID_X_EN: 1
; COMPUTE_PGM_RSRC2:TGID_Y_EN: 1
; COMPUTE_PGM_RSRC2:TGID_Z_EN: 1
; COMPUTE_PGM_RSRC2:TIDIG_COMP_CNT: 0
	.section	.text._ZL33flash_attn_stream_k_fixup_generalILi96ELi1ELi8EEvPfPK15HIP_vector_typeIfLj2EEiiiiS1_IjLj3EES5_S5_S5_,"axG",@progbits,_ZL33flash_attn_stream_k_fixup_generalILi96ELi1ELi8EEvPfPK15HIP_vector_typeIfLj2EEiiiiS1_IjLj3EES5_S5_S5_,comdat
	.globl	_ZL33flash_attn_stream_k_fixup_generalILi96ELi1ELi8EEvPfPK15HIP_vector_typeIfLj2EEiiiiS1_IjLj3EES5_S5_S5_ ; -- Begin function _ZL33flash_attn_stream_k_fixup_generalILi96ELi1ELi8EEvPfPK15HIP_vector_typeIfLj2EEiiiiS1_IjLj3EES5_S5_S5_
	.p2align	8
	.type	_ZL33flash_attn_stream_k_fixup_generalILi96ELi1ELi8EEvPfPK15HIP_vector_typeIfLj2EEiiiiS1_IjLj3EES5_S5_S5_,@function
_ZL33flash_attn_stream_k_fixup_generalILi96ELi1ELi8EEvPfPK15HIP_vector_typeIfLj2EEiiiiS1_IjLj3EES5_S5_S5_: ; @_ZL33flash_attn_stream_k_fixup_generalILi96ELi1ELi8EEvPfPK15HIP_vector_typeIfLj2EEiiiiS1_IjLj3EES5_S5_S5_
; %bb.0:
	s_clause 0x1
	s_load_b128 s[4:7], s[0:1], 0x10
	s_load_b32 s16, s[0:1], 0x50
	s_bfe_u32 s2, ttmp6, 0x4000c
	s_and_b32 s3, ttmp6, 15
	s_add_co_i32 s2, s2, 1
	s_getreg_b32 s15, hwreg(HW_REG_IB_STS2, 6, 4)
	s_mul_i32 s2, ttmp9, s2
	s_mov_b32 s17, 0
	s_add_co_i32 s3, s3, s2
	s_cmp_eq_u32 s15, 0
	s_cselect_b32 s2, ttmp9, s3
	s_delay_alu instid0(SALU_CYCLE_1) | instskip(SKIP_3) | instid1(SALU_CYCLE_1)
	s_ashr_i32 s3, s2, 31
	s_wait_kmcnt 0x0
	s_ashr_i32 s19, s7, 31
	s_mov_b32 s18, s7
	s_mul_u64 s[8:9], s[18:19], s[2:3]
	s_delay_alu instid0(SALU_CYCLE_1) | instskip(NEXT) | instid1(SALU_CYCLE_1)
	s_and_b64 s[10:11], s[8:9], 0xffffffff00000000
	s_cmp_lg_u64 s[10:11], 0
	s_cbranch_scc0 .LBB16_21
; %bb.1:
	s_add_nc_u64 s[10:11], s[16:17], 0
	s_mov_b32 s23, s17
	s_xor_b64 s[10:11], s[10:11], 0
	s_mov_b32 s27, s17
	s_cvt_f32_u32 s3, s10
	s_cvt_f32_u32 s7, s11
	s_sub_nc_u64 s[20:21], 0, s[10:11]
	s_delay_alu instid0(SALU_CYCLE_2) | instskip(NEXT) | instid1(SALU_CYCLE_3)
	s_fmamk_f32 s3, s7, 0x4f800000, s3
	v_s_rcp_f32 s3, s3
	s_delay_alu instid0(TRANS32_DEP_1) | instskip(NEXT) | instid1(SALU_CYCLE_3)
	s_mul_f32 s3, s3, 0x5f7ffffc
	s_mul_f32 s7, s3, 0x2f800000
	s_delay_alu instid0(SALU_CYCLE_3) | instskip(NEXT) | instid1(SALU_CYCLE_3)
	s_trunc_f32 s7, s7
	s_fmamk_f32 s3, s7, 0xcf800000, s3
	s_cvt_u32_f32 s13, s7
	s_delay_alu instid0(SALU_CYCLE_2) | instskip(NEXT) | instid1(SALU_CYCLE_3)
	s_cvt_u32_f32 s12, s3
	s_mul_u64 s[24:25], s[20:21], s[12:13]
	s_delay_alu instid0(SALU_CYCLE_1)
	s_mul_hi_u32 s29, s12, s25
	s_mul_i32 s28, s12, s25
	s_mul_hi_u32 s22, s12, s24
	s_mul_i32 s7, s13, s24
	s_add_nc_u64 s[22:23], s[22:23], s[28:29]
	s_mul_hi_u32 s3, s13, s24
	s_mul_hi_u32 s14, s13, s25
	s_add_co_u32 s7, s22, s7
	s_add_co_ci_u32 s26, s23, s3
	s_mul_i32 s24, s13, s25
	s_add_co_ci_u32 s25, s14, 0
	s_delay_alu instid0(SALU_CYCLE_1) | instskip(SKIP_3) | instid1(SALU_CYCLE_1)
	s_add_nc_u64 s[22:23], s[26:27], s[24:25]
	s_mov_b32 s25, s17
	s_add_co_u32 s12, s12, s22
	s_cselect_b32 s3, -1, 0
	s_cmp_lg_u32 s3, 0
	s_add_co_ci_u32 s13, s13, s23
	s_mov_b32 s23, s17
	s_mul_u64 s[20:21], s[20:21], s[12:13]
	s_delay_alu instid0(SALU_CYCLE_1)
	s_mul_hi_u32 s27, s12, s21
	s_mul_i32 s26, s12, s21
	s_mul_hi_u32 s22, s12, s20
	s_mul_i32 s7, s13, s20
	s_add_nc_u64 s[22:23], s[22:23], s[26:27]
	s_mul_hi_u32 s3, s13, s20
	s_mul_hi_u32 s14, s13, s21
	s_add_co_u32 s7, s22, s7
	s_add_co_ci_u32 s24, s23, s3
	s_mul_i32 s20, s13, s21
	s_add_co_ci_u32 s21, s14, 0
	s_mov_b32 s23, s17
	s_add_nc_u64 s[20:21], s[24:25], s[20:21]
	s_delay_alu instid0(SALU_CYCLE_1) | instskip(SKIP_1) | instid1(SALU_CYCLE_1)
	s_add_co_u32 s3, s12, s20
	s_cselect_b32 s7, -1, 0
	s_cmp_lg_u32 s7, 0
	s_add_co_ci_u32 s7, s13, s21
	s_ashr_i32 s12, s9, 31
	s_delay_alu instid0(SALU_CYCLE_1) | instskip(NEXT) | instid1(SALU_CYCLE_1)
	s_mov_b32 s13, s12
	s_add_nc_u64 s[20:21], s[8:9], s[12:13]
	s_delay_alu instid0(SALU_CYCLE_1) | instskip(NEXT) | instid1(SALU_CYCLE_1)
	s_xor_b64 s[20:21], s[20:21], s[12:13]
	s_mul_hi_u32 s27, s20, s7
	s_mul_i32 s26, s20, s7
	s_mul_hi_u32 s22, s20, s3
	s_mul_hi_u32 s14, s21, s3
	s_mul_i32 s3, s21, s3
	s_add_nc_u64 s[22:23], s[22:23], s[26:27]
	s_mul_hi_u32 s9, s21, s7
	s_add_co_u32 s3, s22, s3
	s_add_co_ci_u32 s24, s23, s14
	s_mul_i32 s26, s21, s7
	s_add_co_ci_u32 s27, s9, 0
	s_delay_alu instid0(SALU_CYCLE_1) | instskip(NEXT) | instid1(SALU_CYCLE_1)
	s_add_nc_u64 s[22:23], s[24:25], s[26:27]
	s_and_b64 s[24:25], s[22:23], 0xffffffff00000000
	s_delay_alu instid0(SALU_CYCLE_1) | instskip(NEXT) | instid1(SALU_CYCLE_1)
	s_or_b32 s24, s24, s22
	s_mul_u64 s[22:23], s[10:11], s[24:25]
	s_add_nc_u64 s[26:27], s[24:25], 1
	s_sub_co_u32 s3, s20, s22
	s_cselect_b32 s7, -1, 0
	s_sub_co_i32 s9, s21, s23
	s_cmp_lg_u32 s7, 0
	s_add_nc_u64 s[28:29], s[24:25], 2
	s_sub_co_ci_u32 s9, s9, s11
	s_sub_co_u32 s14, s3, s10
	s_cselect_b32 s20, -1, 0
	s_delay_alu instid0(SALU_CYCLE_1) | instskip(SKIP_1) | instid1(SALU_CYCLE_1)
	s_cmp_lg_u32 s20, 0
	s_sub_co_ci_u32 s9, s9, 0
	s_cmp_ge_u32 s9, s11
	s_cselect_b32 s20, -1, 0
	s_cmp_ge_u32 s14, s10
	s_cselect_b32 s14, -1, 0
	s_cmp_eq_u32 s9, s11
	s_cselect_b32 s9, s14, s20
	s_delay_alu instid0(SALU_CYCLE_1) | instskip(SKIP_4) | instid1(SALU_CYCLE_1)
	s_cmp_lg_u32 s9, 0
	s_cselect_b32 s9, s28, s26
	s_cselect_b32 s14, s29, s27
	s_cmp_lg_u32 s7, 0
	s_sub_co_ci_u32 s7, s21, s23
	s_cmp_ge_u32 s7, s11
	s_cselect_b32 s20, -1, 0
	s_cmp_ge_u32 s3, s10
	s_cselect_b32 s3, -1, 0
	s_cmp_eq_u32 s7, s11
	s_cselect_b32 s3, s3, s20
	s_delay_alu instid0(SALU_CYCLE_1) | instskip(SKIP_4) | instid1(SALU_CYCLE_1)
	s_cmp_lg_u32 s3, 0
	s_mov_b32 s3, s17
	s_cselect_b32 s11, s14, s25
	s_cselect_b32 s10, s9, s24
	s_xor_b64 s[12:13], s[12:13], 0
	s_xor_b64 s[10:11], s[10:11], s[12:13]
	s_delay_alu instid0(SALU_CYCLE_1)
	s_sub_nc_u64 s[20:21], s[10:11], s[12:13]
	s_and_not1_b32 vcc_lo, exec_lo, s3
	s_cbranch_vccnz .LBB16_3
.LBB16_2:
	v_cvt_f32_u32_e32 v1, s16
	s_sub_co_i32 s7, 0, s16
	s_mov_b32 s21, 0
	s_delay_alu instid0(VALU_DEP_1) | instskip(SKIP_1) | instid1(TRANS32_DEP_1)
	v_rcp_iflag_f32_e32 v1, v1
	v_nop
	v_mul_f32_e32 v1, 0x4f7ffffe, v1
	s_delay_alu instid0(VALU_DEP_1) | instskip(NEXT) | instid1(VALU_DEP_1)
	v_cvt_u32_f32_e32 v1, v1
	v_readfirstlane_b32 s3, v1
	s_mul_i32 s7, s7, s3
	s_delay_alu instid0(SALU_CYCLE_1) | instskip(NEXT) | instid1(SALU_CYCLE_1)
	s_mul_hi_u32 s7, s3, s7
	s_add_co_i32 s3, s3, s7
	s_delay_alu instid0(SALU_CYCLE_1) | instskip(NEXT) | instid1(SALU_CYCLE_1)
	s_mul_hi_u32 s3, s8, s3
	s_mul_i32 s7, s3, s16
	s_delay_alu instid0(SALU_CYCLE_1)
	s_sub_co_i32 s7, s8, s7
	s_add_co_i32 s8, s3, 1
	s_sub_co_i32 s9, s7, s16
	s_cmp_ge_u32 s7, s16
	s_cselect_b32 s3, s8, s3
	s_cselect_b32 s7, s9, s7
	s_add_co_i32 s8, s3, 1
	s_cmp_ge_u32 s7, s16
	s_cselect_b32 s20, s8, s3
.LBB16_3:
	s_add_co_i32 s8, s2, 1
	s_delay_alu instid0(SALU_CYCLE_1) | instskip(NEXT) | instid1(SALU_CYCLE_1)
	s_ashr_i32 s9, s8, 31
	s_mul_u64 s[8:9], s[18:19], s[8:9]
	s_delay_alu instid0(SALU_CYCLE_1) | instskip(NEXT) | instid1(SALU_CYCLE_1)
	s_and_b64 s[10:11], s[8:9], 0xffffffff00000000
	s_cmp_lg_u64 s[10:11], 0
	s_cbranch_scc0 .LBB16_22
; %bb.4:
	s_add_nc_u64 s[10:11], s[16:17], 0
	s_delay_alu instid0(SALU_CYCLE_1) | instskip(SKIP_4) | instid1(SALU_CYCLE_2)
	s_xor_b64 s[12:13], s[10:11], 0
	s_mov_b32 s11, 0
	s_cvt_f32_u32 s3, s12
	s_cvt_f32_u32 s7, s13
	s_sub_nc_u64 s[24:25], 0, s[12:13]
	s_fmamk_f32 s3, s7, 0x4f800000, s3
	s_delay_alu instid0(SALU_CYCLE_3) | instskip(NEXT) | instid1(TRANS32_DEP_1)
	v_s_rcp_f32 s3, s3
	s_mul_f32 s3, s3, 0x5f7ffffc
	s_delay_alu instid0(SALU_CYCLE_3) | instskip(NEXT) | instid1(SALU_CYCLE_3)
	s_mul_f32 s7, s3, 0x2f800000
	s_trunc_f32 s7, s7
	s_delay_alu instid0(SALU_CYCLE_3) | instskip(SKIP_1) | instid1(SALU_CYCLE_2)
	s_fmamk_f32 s3, s7, 0xcf800000, s3
	s_cvt_u32_f32 s23, s7
	s_cvt_u32_f32 s22, s3
	s_delay_alu instid0(SALU_CYCLE_3) | instskip(NEXT) | instid1(SALU_CYCLE_1)
	s_mul_u64 s[26:27], s[24:25], s[22:23]
	s_mul_hi_u32 s29, s22, s27
	s_mul_i32 s28, s22, s27
	s_mul_hi_u32 s10, s22, s26
	s_mul_i32 s7, s23, s26
	s_add_nc_u64 s[28:29], s[10:11], s[28:29]
	s_mul_hi_u32 s3, s23, s26
	s_mul_hi_u32 s14, s23, s27
	s_add_co_u32 s7, s28, s7
	s_add_co_ci_u32 s10, s29, s3
	s_mul_i32 s26, s23, s27
	s_add_co_ci_u32 s27, s14, 0
	s_delay_alu instid0(SALU_CYCLE_1) | instskip(NEXT) | instid1(SALU_CYCLE_1)
	s_add_nc_u64 s[26:27], s[10:11], s[26:27]
	s_add_co_u32 s22, s22, s26
	s_cselect_b32 s3, -1, 0
	s_delay_alu instid0(SALU_CYCLE_1) | instskip(SKIP_1) | instid1(SALU_CYCLE_1)
	s_cmp_lg_u32 s3, 0
	s_add_co_ci_u32 s23, s23, s27
	s_mul_u64 s[24:25], s[24:25], s[22:23]
	s_delay_alu instid0(SALU_CYCLE_1)
	s_mul_hi_u32 s27, s22, s25
	s_mul_i32 s26, s22, s25
	s_mul_hi_u32 s10, s22, s24
	s_mul_i32 s7, s23, s24
	s_add_nc_u64 s[26:27], s[10:11], s[26:27]
	s_mul_hi_u32 s3, s23, s24
	s_mul_hi_u32 s14, s23, s25
	s_add_co_u32 s7, s26, s7
	s_add_co_ci_u32 s10, s27, s3
	s_mul_i32 s24, s23, s25
	s_add_co_ci_u32 s25, s14, 0
	s_delay_alu instid0(SALU_CYCLE_1) | instskip(NEXT) | instid1(SALU_CYCLE_1)
	s_add_nc_u64 s[24:25], s[10:11], s[24:25]
	s_add_co_u32 s3, s22, s24
	s_cselect_b32 s7, -1, 0
	s_delay_alu instid0(SALU_CYCLE_1) | instskip(SKIP_2) | instid1(SALU_CYCLE_1)
	s_cmp_lg_u32 s7, 0
	s_add_co_ci_u32 s7, s23, s25
	s_ashr_i32 s22, s9, 31
	s_mov_b32 s23, s22
	s_delay_alu instid0(SALU_CYCLE_1) | instskip(NEXT) | instid1(SALU_CYCLE_1)
	s_add_nc_u64 s[24:25], s[8:9], s[22:23]
	s_xor_b64 s[24:25], s[24:25], s[22:23]
	s_delay_alu instid0(SALU_CYCLE_1)
	s_mul_hi_u32 s27, s24, s7
	s_mul_i32 s26, s24, s7
	s_mul_hi_u32 s10, s24, s3
	s_mul_hi_u32 s14, s25, s3
	s_mul_i32 s3, s25, s3
	s_add_nc_u64 s[26:27], s[10:11], s[26:27]
	s_mul_hi_u32 s9, s25, s7
	s_add_co_u32 s3, s26, s3
	s_add_co_ci_u32 s10, s27, s14
	s_mul_i32 s28, s25, s7
	s_add_co_ci_u32 s29, s9, 0
	s_delay_alu instid0(SALU_CYCLE_1) | instskip(NEXT) | instid1(SALU_CYCLE_1)
	s_add_nc_u64 s[26:27], s[10:11], s[28:29]
	s_and_b64 s[28:29], s[26:27], 0xffffffff00000000
	s_delay_alu instid0(SALU_CYCLE_1) | instskip(NEXT) | instid1(SALU_CYCLE_1)
	s_or_b32 s28, s28, s26
	s_mul_u64 s[26:27], s[12:13], s[28:29]
	s_add_nc_u64 s[30:31], s[28:29], 1
	s_sub_co_u32 s3, s24, s26
	s_cselect_b32 s7, -1, 0
	s_sub_co_i32 s9, s25, s27
	s_cmp_lg_u32 s7, 0
	s_add_nc_u64 s[34:35], s[28:29], 2
	s_sub_co_ci_u32 s9, s9, s13
	s_sub_co_u32 s10, s3, s12
	s_cselect_b32 s14, -1, 0
	s_delay_alu instid0(SALU_CYCLE_1) | instskip(SKIP_1) | instid1(SALU_CYCLE_1)
	s_cmp_lg_u32 s14, 0
	s_sub_co_ci_u32 s9, s9, 0
	s_cmp_ge_u32 s9, s13
	s_cselect_b32 s14, -1, 0
	s_cmp_ge_u32 s10, s12
	s_cselect_b32 s10, -1, 0
	s_cmp_eq_u32 s9, s13
	s_cselect_b32 s9, s10, s14
	s_delay_alu instid0(SALU_CYCLE_1) | instskip(SKIP_4) | instid1(SALU_CYCLE_1)
	s_cmp_lg_u32 s9, 0
	s_cselect_b32 s9, s34, s30
	s_cselect_b32 s10, s35, s31
	s_cmp_lg_u32 s7, 0
	s_sub_co_ci_u32 s7, s25, s27
	s_cmp_ge_u32 s7, s13
	s_cselect_b32 s14, -1, 0
	s_cmp_ge_u32 s3, s12
	s_cselect_b32 s3, -1, 0
	s_cmp_eq_u32 s7, s13
	s_cselect_b32 s3, s3, s14
	s_delay_alu instid0(SALU_CYCLE_1) | instskip(SKIP_3) | instid1(SALU_CYCLE_1)
	s_cmp_lg_u32 s3, 0
	s_cselect_b32 s13, s10, s29
	s_cselect_b32 s12, s9, s28
	s_xor_b64 s[22:23], s[22:23], 0
	s_xor_b64 s[12:13], s[12:13], s[22:23]
	s_delay_alu instid0(SALU_CYCLE_1)
	s_sub_nc_u64 s[24:25], s[12:13], s[22:23]
	s_load_b96 s[12:14], s[0:1], 0x44
	s_cbranch_execnz .LBB16_6
.LBB16_5:
	v_cvt_f32_u32_e32 v1, s16
	s_sub_co_i32 s7, 0, s16
	s_delay_alu instid0(VALU_DEP_1) | instskip(SKIP_1) | instid1(TRANS32_DEP_1)
	v_rcp_iflag_f32_e32 v1, v1
	v_nop
	v_mul_f32_e32 v1, 0x4f7ffffe, v1
	s_delay_alu instid0(VALU_DEP_1) | instskip(NEXT) | instid1(VALU_DEP_1)
	v_cvt_u32_f32_e32 v1, v1
	v_readfirstlane_b32 s3, v1
	s_mul_i32 s7, s7, s3
	s_delay_alu instid0(SALU_CYCLE_1) | instskip(NEXT) | instid1(SALU_CYCLE_1)
	s_mul_hi_u32 s7, s3, s7
	s_add_co_i32 s3, s3, s7
	s_delay_alu instid0(SALU_CYCLE_1) | instskip(NEXT) | instid1(SALU_CYCLE_1)
	s_mul_hi_u32 s3, s8, s3
	s_mul_i32 s7, s3, s16
	s_delay_alu instid0(SALU_CYCLE_1)
	s_sub_co_i32 s7, s8, s7
	s_add_co_i32 s8, s3, 1
	s_sub_co_i32 s9, s7, s16
	s_cmp_ge_u32 s7, s16
	s_cselect_b32 s3, s8, s3
	s_cselect_b32 s7, s9, s7
	s_add_co_i32 s8, s3, 1
	s_cmp_ge_u32 s7, s16
	s_cselect_b32 s24, s8, s3
.LBB16_6:
	s_delay_alu instid0(SALU_CYCLE_1)
	s_cmp_eq_u32 s20, s24
	s_mov_b64 s[8:9], 0xffffffff
	s_cselect_b32 s3, -1, 0
	s_and_b64 s[8:9], s[20:21], s[8:9]
	s_mov_b32 s23, 0
	s_wait_kmcnt 0x0
	s_mov_b32 s22, s12
	s_mov_b32 s25, s23
	s_mul_u64 s[10:11], s[8:9], s[22:23]
	s_delay_alu instid0(SALU_CYCLE_1) | instskip(SKIP_2) | instid1(SALU_CYCLE_1)
	s_add_co_i32 s7, s11, s20
	s_mul_u64 s[10:11], s[24:25], s[22:23]
	s_lshr_b32 s12, s7, s13
	s_mul_i32 s7, s12, s14
	s_delay_alu instid0(SALU_CYCLE_1) | instskip(SKIP_2) | instid1(SALU_CYCLE_1)
	s_cmp_eq_u32 s7, s20
	s_cselect_b32 s7, -1, 0
	s_add_co_i32 s10, s11, s24
	s_lshr_b32 s10, s10, s13
	s_delay_alu instid0(SALU_CYCLE_1)
	s_cmp_eq_u32 s12, s10
	s_mul_i32 s10, s10, s14
	s_cselect_b32 s11, -1, 0
	s_cmp_lg_u32 s10, s24
	s_cselect_b32 s10, -1, 0
	s_or_b32 s3, s3, s7
	s_and_b32 s10, s11, s10
	s_delay_alu instid0(SALU_CYCLE_1) | instskip(NEXT) | instid1(SALU_CYCLE_1)
	s_or_b32 s3, s3, s10
	s_and_b32 vcc_lo, exec_lo, s3
	s_cbranch_vccnz .LBB16_24
; %bb.7:
	s_load_b256 s[24:31], s[0:1], 0x20
	s_bfe_u32 s3, ttmp6, 0x40014
	s_bfe_u32 s33, ttmp6, 0x40010
	s_lshr_b32 s7, ttmp7, 16
	s_add_co_i32 s3, s3, 1
	s_and_b32 s21, ttmp7, 0xffff
	s_add_co_i32 s33, s33, 1
	s_bfe_u32 s10, ttmp6, 0x40008
	s_mul_i32 s3, s7, s3
	s_bfe_u32 s34, ttmp6, 0x40004
	s_mul_i32 s33, s21, s33
	s_mov_b32 s11, s23
	s_add_co_i32 s35, s10, s3
	s_add_co_i32 s34, s34, s33
	s_cmp_eq_u32 s15, 0
	s_cselect_b32 s3, s21, s34
	s_cselect_b32 s15, s7, s35
	s_wait_kmcnt 0x0
	s_mov_b32 s10, s24
	s_delay_alu instid0(SALU_CYCLE_1) | instskip(SKIP_2) | instid1(SALU_CYCLE_1)
	s_mul_u64 s[8:9], s[8:9], s[10:11]
	s_load_b32 s8, s[0:1], 0x40
	s_add_co_i32 s7, s9, s20
	s_lshr_b32 s7, s7, s25
	s_delay_alu instid0(SALU_CYCLE_1) | instskip(NEXT) | instid1(SALU_CYCLE_1)
	s_mul_i32 s9, s7, s26
	s_sub_co_i32 s9, s20, s9
	s_delay_alu instid0(SALU_CYCLE_1) | instskip(NEXT) | instid1(SALU_CYCLE_1)
	s_mul_hi_u32 s10, s9, s27
	s_add_co_i32 s10, s9, s10
	s_delay_alu instid0(SALU_CYCLE_1) | instskip(NEXT) | instid1(SALU_CYCLE_1)
	s_lshr_b32 s21, s10, s28
	s_mul_i32 s10, s21, s29
	s_delay_alu instid0(SALU_CYCLE_1) | instskip(NEXT) | instid1(SALU_CYCLE_1)
	s_sub_co_i32 s10, s9, s10
	s_mul_hi_u32 s9, s10, s30
	s_delay_alu instid0(SALU_CYCLE_1) | instskip(NEXT) | instid1(SALU_CYCLE_1)
	s_add_co_i32 s9, s10, s9
	s_lshr_b32 s25, s9, s31
	s_mov_b32 s9, s23
	s_wait_kmcnt 0x0
	s_mul_i32 s8, s25, s8
	s_lshl_b32 s25, s25, 3
	s_sub_co_i32 s8, s10, s8
	s_delay_alu instid0(SALU_CYCLE_1) | instskip(NEXT) | instid1(SALU_CYCLE_1)
	s_mul_u64 s[10:11], s[8:9], s[22:23]
	s_add_co_i32 s8, s8, s11
	s_delay_alu instid0(SALU_CYCLE_1) | instskip(NEXT) | instid1(SALU_CYCLE_1)
	s_lshr_b32 s24, s8, s13
	s_add_co_i32 s24, s24, s3
	s_delay_alu instid0(SALU_CYCLE_1) | instskip(SKIP_2) | instid1(SALU_CYCLE_1)
	s_cmp_lt_i32 s24, s4
	s_cselect_b32 s8, -1, 0
	s_add_co_i32 s25, s25, s15
	s_cmp_lt_i32 s25, s6
	s_cselect_b32 s9, -1, 0
	s_delay_alu instid0(SALU_CYCLE_1) | instskip(NEXT) | instid1(SALU_CYCLE_1)
	s_and_b32 s8, s8, s9
	s_and_not1_b32 vcc_lo, exec_lo, s8
	s_cbranch_vccnz .LBB16_24
; %bb.8:
	s_load_b128 s[8:11], s[0:1], 0x0
	s_mul_i32 s7, s7, s4
	s_mul_i32 s21, s21, s6
	s_wait_xcnt 0x0
	s_add_co_i32 s0, s24, s7
	s_add_co_i32 s1, s25, s21
	s_mul_i32 s0, s0, s5
	s_add_co_i32 s4, s3, s2
	s_add_co_i32 s1, s1, s0
	s_lshl_b32 s4, s4, 3
	v_mad_u32 v2, 0x60, s1, v0
	s_add_nc_u64 s[0:1], s[16:17], 0
	v_cvt_f32_u32_e32 v4, s16
	s_xor_b64 s[6:7], s[0:1], 0
	s_add_co_i32 s0, s4, s15
	s_cvt_f32_u32 s4, s6
	s_cvt_f32_u32 s5, s7
	s_ashr_i32 s1, s0, 31
	v_rcp_iflag_f32_e32 v4, v4
	s_lshl_b64 s[0:1], s[0:1], 3
	s_fmamk_f32 s4, s5, 0x4f800000, s4
	s_wait_kmcnt 0x0
	global_load_b32 v1, v2, s[8:9] scale_offset
	s_add_nc_u64 s[0:1], s[10:11], s[0:1]
	s_lshl_b32 s24, s16, 5
	s_load_b64 s[28:29], s[0:1], 0x0
	s_wait_xcnt 0x0
	v_s_rcp_f32 s0, s4
	s_lshl_b32 s1, s3, 3
	s_mov_b32 s25, 0
	s_add_co_i32 s4, s1, s15
	v_dual_mul_f32 v4, 0x4f7ffffe, v4 :: v_dual_ashrrev_i32 v3, 31, v2
	v_mad_u32 v6, 0x60, s4, v0
	s_add_co_i32 s36, s2, -1
	s_delay_alu instid0(TRANS32_DEP_1)
	s_mul_f32 s5, s0, 0x5f7ffffc
	s_lshl_b64 s[0:1], s[24:25], 2
	v_lshl_add_u64 v[2:3], v[2:3], 2, s[8:9]
	s_add_nc_u64 s[26:27], s[10:11], s[0:1]
	s_mul_f32 s17, s5, 0x2f800000
	v_cvt_u32_f32_e32 v7, v4
	s_mov_b64 s[8:9], 0xffffffff
	s_sub_nc_u64 s[34:35], 0, s[6:7]
	s_trunc_f32 s0, s17
	s_add_co_i32 s17, s16, s3
	s_wait_kmcnt 0x0
	v_mov_b32_e32 v0, s29
	s_fmamk_f32 s1, s0, 0xcf800000, s5
	s_cvt_u32_f32 s31, s0
	s_delay_alu instid0(SALU_CYCLE_2)
	s_cvt_u32_f32 s30, s1
.LBB16_9:                               ; =>This Inner Loop Header: Depth=1
	s_ashr_i32 s37, s36, 31
                                        ; implicit-def: $sgpr40_sgpr41
	s_delay_alu instid0(SALU_CYCLE_1) | instskip(NEXT) | instid1(SALU_CYCLE_1)
	s_mul_u64 s[0:1], s[36:37], s[18:19]
	s_and_b64 s[2:3], s[0:1], 0xffffffff00000000
	s_delay_alu instid0(SALU_CYCLE_1)
	s_cmp_lg_u64 s[2:3], 0
	s_mov_b32 s2, -1
	s_cbranch_scc0 .LBB16_11
; %bb.10:                               ;   in Loop: Header=BB16_9 Depth=1
	s_mul_u64 s[2:3], s[34:35], s[30:31]
	s_delay_alu instid0(SALU_CYCLE_1)
	s_mul_hi_u32 s5, s30, s3
	s_mul_i32 s4, s30, s3
	s_mul_hi_u32 s24, s30, s2
	s_mul_hi_u32 s21, s31, s2
	s_add_nc_u64 s[4:5], s[24:25], s[4:5]
	s_mul_i32 s2, s31, s2
	s_mul_hi_u32 s29, s31, s3
	s_add_co_u32 s2, s4, s2
	s_add_co_ci_u32 s24, s5, s21
	s_add_co_ci_u32 s5, s29, 0
	s_mul_i32 s4, s31, s3
	s_delay_alu instid0(SALU_CYCLE_1) | instskip(NEXT) | instid1(SALU_CYCLE_1)
	s_add_nc_u64 s[2:3], s[24:25], s[4:5]
	s_add_co_u32 s2, s30, s2
	s_cselect_b32 s4, -1, 0
	s_delay_alu instid0(SALU_CYCLE_1) | instskip(SKIP_1) | instid1(SALU_CYCLE_1)
	s_cmp_lg_u32 s4, 0
	s_add_co_ci_u32 s3, s31, s3
	s_mul_u64 s[4:5], s[34:35], s[2:3]
	s_delay_alu instid0(SALU_CYCLE_1)
	s_mul_hi_u32 s39, s2, s5
	s_mul_i32 s38, s2, s5
	s_mul_hi_u32 s24, s2, s4
	s_mul_hi_u32 s21, s3, s4
	s_mul_i32 s4, s3, s4
	s_add_nc_u64 s[38:39], s[24:25], s[38:39]
	s_mul_hi_u32 s29, s3, s5
	s_add_co_u32 s4, s38, s4
	s_add_co_ci_u32 s24, s39, s21
	s_mul_i32 s4, s3, s5
	s_add_co_ci_u32 s5, s29, 0
	s_delay_alu instid0(SALU_CYCLE_1) | instskip(NEXT) | instid1(SALU_CYCLE_1)
	s_add_nc_u64 s[4:5], s[24:25], s[4:5]
	s_add_co_u32 s21, s2, s4
	s_cselect_b32 s2, -1, 0
	s_delay_alu instid0(SALU_CYCLE_1) | instskip(SKIP_2) | instid1(SALU_CYCLE_1)
	s_cmp_lg_u32 s2, 0
	s_add_co_ci_u32 s29, s3, s5
	s_ashr_i32 s2, s1, 31
	s_mov_b32 s3, s2
	s_delay_alu instid0(SALU_CYCLE_1) | instskip(NEXT) | instid1(SALU_CYCLE_1)
	s_add_nc_u64 s[4:5], s[0:1], s[2:3]
	s_xor_b64 s[4:5], s[4:5], s[2:3]
	s_delay_alu instid0(SALU_CYCLE_1)
	s_mul_hi_u32 s39, s4, s29
	s_mul_i32 s38, s4, s29
	s_mul_hi_u32 s24, s4, s21
	s_mul_hi_u32 s33, s5, s21
	s_mul_i32 s21, s5, s21
	s_add_nc_u64 s[38:39], s[24:25], s[38:39]
	s_mul_hi_u32 s1, s5, s29
	s_add_co_u32 s21, s38, s21
	s_add_co_ci_u32 s24, s39, s33
	s_mul_i32 s40, s5, s29
	s_add_co_ci_u32 s41, s1, 0
	s_delay_alu instid0(SALU_CYCLE_1) | instskip(NEXT) | instid1(SALU_CYCLE_1)
	s_add_nc_u64 s[38:39], s[24:25], s[40:41]
	s_and_b64 s[40:41], s[38:39], 0xffffffff00000000
	s_delay_alu instid0(SALU_CYCLE_1) | instskip(NEXT) | instid1(SALU_CYCLE_1)
	s_or_b32 s40, s40, s38
	s_mul_u64 s[38:39], s[6:7], s[40:41]
	s_add_nc_u64 s[42:43], s[40:41], 1
	s_sub_co_u32 s1, s4, s38
	s_cselect_b32 s4, -1, 0
	s_sub_co_i32 s21, s5, s39
	s_cmp_lg_u32 s4, 0
	s_add_nc_u64 s[44:45], s[40:41], 2
	s_sub_co_ci_u32 s21, s21, s7
	s_sub_co_u32 s24, s1, s6
	s_cselect_b32 s29, -1, 0
	s_delay_alu instid0(SALU_CYCLE_1) | instskip(SKIP_1) | instid1(SALU_CYCLE_1)
	s_cmp_lg_u32 s29, 0
	s_sub_co_ci_u32 s21, s21, 0
	s_cmp_ge_u32 s21, s7
	s_cselect_b32 s29, -1, 0
	s_cmp_ge_u32 s24, s6
	s_cselect_b32 s24, -1, 0
	s_cmp_eq_u32 s21, s7
	s_cselect_b32 s21, s24, s29
	s_delay_alu instid0(SALU_CYCLE_1) | instskip(SKIP_4) | instid1(SALU_CYCLE_1)
	s_cmp_lg_u32 s21, 0
	s_cselect_b32 s21, s44, s42
	s_cselect_b32 s24, s45, s43
	s_cmp_lg_u32 s4, 0
	s_sub_co_ci_u32 s4, s5, s39
	s_cmp_ge_u32 s4, s7
	s_cselect_b32 s5, -1, 0
	s_cmp_ge_u32 s1, s6
	s_cselect_b32 s1, -1, 0
	s_cmp_eq_u32 s4, s7
	s_cselect_b32 s1, s1, s5
	s_delay_alu instid0(SALU_CYCLE_1) | instskip(SKIP_3) | instid1(SALU_CYCLE_1)
	s_cmp_lg_u32 s1, 0
	s_cselect_b32 s5, s24, s41
	s_cselect_b32 s4, s21, s40
	s_xor_b64 s[2:3], s[2:3], 0
	s_xor_b64 s[4:5], s[4:5], s[2:3]
	s_delay_alu instid0(SALU_CYCLE_1)
	s_sub_nc_u64 s[40:41], s[4:5], s[2:3]
	s_mov_b32 s2, 0
.LBB16_11:                              ;   in Loop: Header=BB16_9 Depth=1
	s_delay_alu instid0(SALU_CYCLE_1)
	s_and_not1_b32 vcc_lo, exec_lo, s2
	s_cbranch_vccnz .LBB16_13
; %bb.12:                               ;   in Loop: Header=BB16_9 Depth=1
	v_readfirstlane_b32 s1, v7
	s_sub_co_i32 s2, 0, s16
	s_delay_alu instid0(SALU_CYCLE_1) | instskip(NEXT) | instid1(SALU_CYCLE_1)
	s_mul_i32 s2, s2, s1
	s_mul_hi_u32 s2, s1, s2
	s_delay_alu instid0(SALU_CYCLE_1) | instskip(NEXT) | instid1(SALU_CYCLE_1)
	s_add_co_i32 s1, s1, s2
	s_mul_hi_u32 s1, s0, s1
	s_delay_alu instid0(SALU_CYCLE_1) | instskip(NEXT) | instid1(SALU_CYCLE_1)
	s_mul_i32 s2, s1, s16
	s_sub_co_i32 s0, s0, s2
	s_add_co_i32 s2, s1, 1
	s_sub_co_i32 s3, s0, s16
	s_cmp_ge_u32 s0, s16
	s_cselect_b32 s1, s2, s1
	s_cselect_b32 s0, s3, s0
	s_add_co_i32 s2, s1, 1
	s_cmp_ge_u32 s0, s16
	s_cselect_b32 s24, s2, s1
	s_delay_alu instid0(SALU_CYCLE_1)
	s_mov_b64 s[40:41], s[24:25]
.LBB16_13:                              ;   in Loop: Header=BB16_9 Depth=1
	s_delay_alu instid0(SALU_CYCLE_1)
	s_cmp_lg_u32 s20, s40
	s_mov_b32 s0, -1
                                        ; implicit-def: $vgpr4_vgpr5
                                        ; implicit-def: $sgpr29
                                        ; implicit-def: $sgpr21
                                        ; implicit-def: $sgpr24
                                        ; implicit-def: $sgpr33
	s_cbranch_scc0 .LBB16_18
; %bb.14:                               ;   in Loop: Header=BB16_9 Depth=1
	s_add_co_i32 s0, s17, s36
	v_max_num_f32_e64 v4, s28, s28
	s_lshl_b32 s0, s0, 3
	s_mov_b32 s33, s20
	s_add_co_i32 s0, s0, s15
	s_load_b64 s[38:39], s[10:11], s0 offset:0x0 scale_offset
	s_wait_xcnt 0x0
	v_readfirstlane_b32 s0, v4
	s_wait_kmcnt 0x0
	v_max_num_f32_e64 v5, s38, s38
	s_delay_alu instid0(VALU_DEP_1) | instskip(SKIP_1) | instid1(SALU_CYCLE_3)
	v_readfirstlane_b32 s1, v5
	s_max_num_f32 s21, s0, s1
	s_sub_f32 s37, s28, s21
	s_sub_f32 s38, s38, s21
	s_delay_alu instid0(SALU_CYCLE_2)
	s_cmp_nlt_f32 s37, 0xc2ce8ed0
	s_cselect_b32 s1, -1, 0
	s_cmp_ngt_f32 s37, 0x42b17218
	s_cselect_b32 s2, -1, 0
	s_cmp_ge_f32 s37, 0xc1a00000
	s_cselect_b32 s0, -1, 0
	s_cmp_nlt_f32 s38, 0xc2ce8ed0
	s_cselect_b32 s3, -1, 0
	s_cmp_ngt_f32 s38, 0x42b17218
	s_cselect_b32 s4, -1, 0
	s_cmp_ge_f32 s38, 0xc1a00000
	s_cselect_b32 s5, -1, 0
	s_and_b64 s[42:43], s[40:41], s[8:9]
	s_delay_alu instid0(SALU_CYCLE_1) | instskip(NEXT) | instid1(SALU_CYCLE_1)
	s_mul_u64 s[42:43], s[42:43], s[22:23]
	s_add_co_i32 s24, s43, s40
	s_delay_alu instid0(SALU_CYCLE_1) | instskip(NEXT) | instid1(SALU_CYCLE_1)
	s_lshr_b32 s24, s24, s13
	s_mul_i32 s29, s24, s14
	s_delay_alu instid0(SALU_CYCLE_1) | instskip(SKIP_3) | instid1(SALU_CYCLE_1)
	s_cmp_eq_u32 s29, s40
	s_cselect_b32 s29, -1, 0
	s_cmp_lt_u32 s24, s12
	s_cselect_b32 s24, -1, 0
	s_or_b32 s24, s24, s29
	s_mov_b32 s29, -1
	s_and_b32 vcc_lo, exec_lo, s24
	s_mov_b32 s24, s36
	s_cbranch_vccnz .LBB16_16
; %bb.15:                               ;   in Loop: Header=BB16_9 Depth=1
	s_add_co_i32 s24, s36, -1
	s_mov_b32 s29, 0
	s_mov_b32 s33, s40
.LBB16_16:                              ;   in Loop: Header=BB16_9 Depth=1
	v_mad_u32 v4, 0x300, s36, v6
	s_mul_f32 s41, s37, 0x3fb8aa3b
	s_mul_f32 s40, s38, 0x3fb8aa3b
	s_delay_alu instid0(SALU_CYCLE_2)
	s_xor_b32 s43, s41, 0x80000000
	s_rndne_f32 s45, s41
	s_fmamk_f32 s43, s37, 0x3fb8aa3b, s43
	s_xor_b32 s42, s40, 0x80000000
	s_rndne_f32 s44, s40
	s_sub_f32 s41, s41, s45
	global_load_b32 v5, v4, s[26:27] scale_offset
	s_fmamk_f32 s37, s37, 0x32a5705f, s43
	s_fmamk_f32 s42, s38, 0x3fb8aa3b, s42
	s_sub_f32 s40, s40, s44
	s_delay_alu instid0(SALU_CYCLE_1) | instskip(NEXT) | instid1(SALU_CYCLE_1)
	s_add_f32 s37, s41, s37
	s_fmamk_f32 s38, s38, 0x32a5705f, s42
	s_cvt_i32_f32 s41, s45
	s_delay_alu instid0(SALU_CYCLE_1) | instskip(NEXT) | instid1(SALU_CYCLE_1)
	v_s_exp_f32 s37, s37
	s_add_f32 s38, s40, s38
	s_cvt_i32_f32 s40, s44
	s_delay_alu instid0(SALU_CYCLE_2) | instskip(NEXT) | instid1(TRANS32_DEP_2)
	v_s_exp_f32 s38, s38
	v_ldexp_f32 v8, s37, s41
	s_wait_xcnt 0x0
	s_delay_alu instid0(TRANS32_DEP_1) | instskip(NEXT) | instid1(VALU_DEP_2)
	v_ldexp_f32 v4, s38, s40
	v_cndmask_b32_e64 v8, 0, v8, s1
	s_delay_alu instid0(VALU_DEP_1) | instskip(NEXT) | instid1(VALU_DEP_1)
	v_cndmask_b32_e64 v9, 0x7f800000, v8, s2
	v_dual_cndmask_b32 v4, 0, v4, s3 :: v_dual_cndmask_b32 v10, 0, v9, s0
	s_delay_alu instid0(VALU_DEP_1) | instskip(NEXT) | instid1(VALU_DEP_1)
	v_cndmask_b32_e64 v4, 0x7f800000, v4, s4
	v_dual_cndmask_b32 v8, 0, v4, s5 :: v_dual_mov_b32 v4, s39
	s_wait_loadcnt 0x0
	s_delay_alu instid0(VALU_DEP_1) | instskip(NEXT) | instid1(VALU_DEP_1)
	v_pk_mul_f32 v[4:5], v[4:5], v[8:9] op_sel_hi:[1,0]
	v_pk_fma_f32 v[4:5], v[0:1], v[10:11], v[4:5] op_sel_hi:[1,0,1]
	s_cbranch_execz .LBB16_19
.LBB16_17:                              ;   in Loop: Header=BB16_9 Depth=1
	s_and_not1_b32 vcc_lo, exec_lo, s29
	s_cbranch_vccnz .LBB16_20
	s_branch .LBB16_23
.LBB16_18:                              ;   in Loop: Header=BB16_9 Depth=1
	s_and_not1_b32 vcc_lo, exec_lo, s0
	s_cbranch_vccnz .LBB16_17
.LBB16_19:                              ;   in Loop: Header=BB16_9 Depth=1
	s_wait_loadcnt 0x0
	v_mov_b64_e32 v[4:5], v[0:1]
	s_add_co_i32 s24, s36, -1
	s_mov_b32 s33, s20
	s_mov_b32 s21, s28
	s_cbranch_execz .LBB16_23
.LBB16_20:                              ;   in Loop: Header=BB16_9 Depth=1
	s_wait_loadcnt 0x0
	s_delay_alu instid0(VALU_DEP_1)
	v_mov_b64_e32 v[0:1], v[4:5]
	s_mov_b32 s20, s33
	s_mov_b32 s36, s24
	;; [unrolled: 1-line block ×3, first 2 shown]
	s_branch .LBB16_9
.LBB16_21:
                                        ; implicit-def: $sgpr20_sgpr21
	s_branch .LBB16_2
.LBB16_22:
                                        ; implicit-def: $sgpr24_sgpr25
	s_load_b96 s[12:14], s[0:1], 0x44
	s_branch .LBB16_5
.LBB16_23:
	s_delay_alu instid0(VALU_DEP_1) | instskip(SKIP_1) | instid1(VALU_DEP_1)
	v_div_scale_f32 v0, null, v4, v4, v5
	s_wait_loadcnt 0x0
	v_rcp_f32_e32 v1, v0
	v_nop
	s_delay_alu instid0(TRANS32_DEP_1) | instskip(NEXT) | instid1(VALU_DEP_1)
	v_fma_f32 v6, -v0, v1, 1.0
	v_fmac_f32_e32 v1, v6, v1
	v_div_scale_f32 v6, vcc_lo, v5, v4, v5
	s_delay_alu instid0(VALU_DEP_1) | instskip(NEXT) | instid1(VALU_DEP_1)
	v_mul_f32_e32 v7, v6, v1
	v_fma_f32 v8, -v0, v7, v6
	s_delay_alu instid0(VALU_DEP_1) | instskip(NEXT) | instid1(VALU_DEP_1)
	v_fmac_f32_e32 v7, v8, v1
	v_fma_f32 v0, -v0, v7, v6
	s_delay_alu instid0(VALU_DEP_1) | instskip(NEXT) | instid1(VALU_DEP_1)
	v_div_fmas_f32 v0, v0, v1, v7
	v_div_fixup_f32 v0, v0, v4, v5
	global_store_b32 v[2:3], v0, off
.LBB16_24:
	s_endpgm
	.section	.rodata,"a",@progbits
	.p2align	6, 0x0
	.amdhsa_kernel _ZL33flash_attn_stream_k_fixup_generalILi96ELi1ELi8EEvPfPK15HIP_vector_typeIfLj2EEiiiiS1_IjLj3EES5_S5_S5_
		.amdhsa_group_segment_fixed_size 0
		.amdhsa_private_segment_fixed_size 0
		.amdhsa_kernarg_size 336
		.amdhsa_user_sgpr_count 2
		.amdhsa_user_sgpr_dispatch_ptr 0
		.amdhsa_user_sgpr_queue_ptr 0
		.amdhsa_user_sgpr_kernarg_segment_ptr 1
		.amdhsa_user_sgpr_dispatch_id 0
		.amdhsa_user_sgpr_kernarg_preload_length 0
		.amdhsa_user_sgpr_kernarg_preload_offset 0
		.amdhsa_user_sgpr_private_segment_size 0
		.amdhsa_wavefront_size32 1
		.amdhsa_uses_dynamic_stack 0
		.amdhsa_enable_private_segment 0
		.amdhsa_system_sgpr_workgroup_id_x 1
		.amdhsa_system_sgpr_workgroup_id_y 1
		.amdhsa_system_sgpr_workgroup_id_z 1
		.amdhsa_system_sgpr_workgroup_info 0
		.amdhsa_system_vgpr_workitem_id 0
		.amdhsa_next_free_vgpr 12
		.amdhsa_next_free_sgpr 46
		.amdhsa_named_barrier_count 0
		.amdhsa_reserve_vcc 1
		.amdhsa_float_round_mode_32 0
		.amdhsa_float_round_mode_16_64 0
		.amdhsa_float_denorm_mode_32 3
		.amdhsa_float_denorm_mode_16_64 3
		.amdhsa_fp16_overflow 0
		.amdhsa_memory_ordered 1
		.amdhsa_forward_progress 1
		.amdhsa_inst_pref_size 27
		.amdhsa_round_robin_scheduling 0
		.amdhsa_exception_fp_ieee_invalid_op 0
		.amdhsa_exception_fp_denorm_src 0
		.amdhsa_exception_fp_ieee_div_zero 0
		.amdhsa_exception_fp_ieee_overflow 0
		.amdhsa_exception_fp_ieee_underflow 0
		.amdhsa_exception_fp_ieee_inexact 0
		.amdhsa_exception_int_div_zero 0
	.end_amdhsa_kernel
	.section	.text._ZL33flash_attn_stream_k_fixup_generalILi96ELi1ELi8EEvPfPK15HIP_vector_typeIfLj2EEiiiiS1_IjLj3EES5_S5_S5_,"axG",@progbits,_ZL33flash_attn_stream_k_fixup_generalILi96ELi1ELi8EEvPfPK15HIP_vector_typeIfLj2EEiiiiS1_IjLj3EES5_S5_S5_,comdat
.Lfunc_end16:
	.size	_ZL33flash_attn_stream_k_fixup_generalILi96ELi1ELi8EEvPfPK15HIP_vector_typeIfLj2EEiiiiS1_IjLj3EES5_S5_S5_, .Lfunc_end16-_ZL33flash_attn_stream_k_fixup_generalILi96ELi1ELi8EEvPfPK15HIP_vector_typeIfLj2EEiiiiS1_IjLj3EES5_S5_S5_
                                        ; -- End function
	.set _ZL33flash_attn_stream_k_fixup_generalILi96ELi1ELi8EEvPfPK15HIP_vector_typeIfLj2EEiiiiS1_IjLj3EES5_S5_S5_.num_vgpr, 12
	.set _ZL33flash_attn_stream_k_fixup_generalILi96ELi1ELi8EEvPfPK15HIP_vector_typeIfLj2EEiiiiS1_IjLj3EES5_S5_S5_.num_agpr, 0
	.set _ZL33flash_attn_stream_k_fixup_generalILi96ELi1ELi8EEvPfPK15HIP_vector_typeIfLj2EEiiiiS1_IjLj3EES5_S5_S5_.numbered_sgpr, 46
	.set _ZL33flash_attn_stream_k_fixup_generalILi96ELi1ELi8EEvPfPK15HIP_vector_typeIfLj2EEiiiiS1_IjLj3EES5_S5_S5_.num_named_barrier, 0
	.set _ZL33flash_attn_stream_k_fixup_generalILi96ELi1ELi8EEvPfPK15HIP_vector_typeIfLj2EEiiiiS1_IjLj3EES5_S5_S5_.private_seg_size, 0
	.set _ZL33flash_attn_stream_k_fixup_generalILi96ELi1ELi8EEvPfPK15HIP_vector_typeIfLj2EEiiiiS1_IjLj3EES5_S5_S5_.uses_vcc, 1
	.set _ZL33flash_attn_stream_k_fixup_generalILi96ELi1ELi8EEvPfPK15HIP_vector_typeIfLj2EEiiiiS1_IjLj3EES5_S5_S5_.uses_flat_scratch, 0
	.set _ZL33flash_attn_stream_k_fixup_generalILi96ELi1ELi8EEvPfPK15HIP_vector_typeIfLj2EEiiiiS1_IjLj3EES5_S5_S5_.has_dyn_sized_stack, 0
	.set _ZL33flash_attn_stream_k_fixup_generalILi96ELi1ELi8EEvPfPK15HIP_vector_typeIfLj2EEiiiiS1_IjLj3EES5_S5_S5_.has_recursion, 0
	.set _ZL33flash_attn_stream_k_fixup_generalILi96ELi1ELi8EEvPfPK15HIP_vector_typeIfLj2EEiiiiS1_IjLj3EES5_S5_S5_.has_indirect_call, 0
	.section	.AMDGPU.csdata,"",@progbits
; Kernel info:
; codeLenInByte = 3348
; TotalNumSgprs: 48
; NumVgprs: 12
; ScratchSize: 0
; MemoryBound: 0
; FloatMode: 240
; IeeeMode: 1
; LDSByteSize: 0 bytes/workgroup (compile time only)
; SGPRBlocks: 0
; VGPRBlocks: 0
; NumSGPRsForWavesPerEU: 48
; NumVGPRsForWavesPerEU: 12
; NamedBarCnt: 0
; Occupancy: 16
; WaveLimiterHint : 0
; COMPUTE_PGM_RSRC2:SCRATCH_EN: 0
; COMPUTE_PGM_RSRC2:USER_SGPR: 2
; COMPUTE_PGM_RSRC2:TRAP_HANDLER: 0
; COMPUTE_PGM_RSRC2:TGID_X_EN: 1
; COMPUTE_PGM_RSRC2:TGID_Y_EN: 1
; COMPUTE_PGM_RSRC2:TGID_Z_EN: 1
; COMPUTE_PGM_RSRC2:TIDIG_COMP_CNT: 0
	.section	.text._ZL15flash_attn_tileILi96ELi96ELi16ELi4ELb0EEvPKcS1_S1_S1_S1_PKiPfP15HIP_vector_typeIfLj2EEffffjfiS5_IjLj3EEiiiiiiiiiiiliiliiiiil,"axG",@progbits,_ZL15flash_attn_tileILi96ELi96ELi16ELi4ELb0EEvPKcS1_S1_S1_S1_PKiPfP15HIP_vector_typeIfLj2EEffffjfiS5_IjLj3EEiiiiiiiiiiiliiliiiiil,comdat
	.globl	_ZL15flash_attn_tileILi96ELi96ELi16ELi4ELb0EEvPKcS1_S1_S1_S1_PKiPfP15HIP_vector_typeIfLj2EEffffjfiS5_IjLj3EEiiiiiiiiiiiliiliiiiil ; -- Begin function _ZL15flash_attn_tileILi96ELi96ELi16ELi4ELb0EEvPKcS1_S1_S1_S1_PKiPfP15HIP_vector_typeIfLj2EEffffjfiS5_IjLj3EEiiiiiiiiiiiliiliiiiil
	.p2align	8
	.type	_ZL15flash_attn_tileILi96ELi96ELi16ELi4ELb0EEvPKcS1_S1_S1_S1_PKiPfP15HIP_vector_typeIfLj2EEffffjfiS5_IjLj3EEiiiiiiiiiiiliiliiiiil,@function
_ZL15flash_attn_tileILi96ELi96ELi16ELi4ELb0EEvPKcS1_S1_S1_S1_PKiPfP15HIP_vector_typeIfLj2EEffffjfiS5_IjLj3EEiiiiiiiiiiiliiliiiiil: ; @_ZL15flash_attn_tileILi96ELi96ELi16ELi4ELb0EEvPKcS1_S1_S1_S1_PKiPfP15HIP_vector_typeIfLj2EEffffjfiS5_IjLj3EEiiiiiiiiiiiliiliiiiil
; %bb.0:
	s_clause 0x1
	s_load_b128 s[36:39], s[0:1], 0x5c
	s_load_b64 s[42:43], s[0:1], 0x80
	s_bfe_u32 s5, ttmp6, 0x40014
	s_lshr_b32 s4, ttmp7, 16
	s_add_co_i32 s5, s5, 1
	s_bfe_u32 s6, ttmp6, 0x40008
	s_mul_i32 s5, s4, s5
	s_getreg_b32 s46, hwreg(HW_REG_IB_STS2, 6, 4)
	s_add_co_i32 s6, s6, s5
	s_load_b512 s[16:31], s[0:1], 0x0
	s_mov_b64 s[44:45], 0
	s_wait_kmcnt 0x0
	s_ashr_i32 s2, s39, 31
	s_delay_alu instid0(SALU_CYCLE_1) | instskip(NEXT) | instid1(SALU_CYCLE_1)
	s_lshr_b32 s2, s2, 30
	s_add_co_i32 s2, s39, s2
	s_delay_alu instid0(SALU_CYCLE_1) | instskip(NEXT) | instid1(SALU_CYCLE_1)
	s_ashr_i32 s2, s2, 2
	s_cvt_f32_u32 s3, s2
	s_sub_co_i32 s7, 0, s2
	s_delay_alu instid0(SALU_CYCLE_2) | instskip(SKIP_1) | instid1(TRANS32_DEP_1)
	v_rcp_iflag_f32_e32 v1, s3
	v_nop
	v_readfirstlane_b32 s3, v1
	s_mul_f32 s3, s3, 0x4f7ffffe
	s_delay_alu instid0(SALU_CYCLE_3) | instskip(NEXT) | instid1(SALU_CYCLE_3)
	s_cvt_u32_f32 s3, s3
	s_mul_i32 s7, s7, s3
	s_delay_alu instid0(SALU_CYCLE_1) | instskip(NEXT) | instid1(SALU_CYCLE_1)
	s_mul_hi_u32 s7, s3, s7
	s_add_co_i32 s3, s3, s7
	s_cmp_eq_u32 s46, 0
	s_cselect_b32 s4, s4, s6
	s_delay_alu instid0(SALU_CYCLE_1) | instskip(NEXT) | instid1(SALU_CYCLE_1)
	s_mul_hi_u32 s3, s4, s3
	s_mul_i32 s5, s3, s2
	s_add_co_i32 s6, s3, 1
	s_sub_co_i32 s5, s4, s5
	s_delay_alu instid0(SALU_CYCLE_1)
	s_sub_co_i32 s7, s5, s2
	s_cmp_ge_u32 s5, s2
	s_cselect_b32 s3, s6, s3
	s_cselect_b32 s5, s7, s5
	s_add_co_i32 s6, s3, 1
	s_cmp_ge_u32 s5, s2
	s_cselect_b32 s40, s6, s3
	s_abs_i32 s2, s43
	s_abs_i32 s7, s39
	s_cvt_f32_u32 s3, s2
	s_sub_co_i32 s5, 0, s2
	s_lshl_b32 s4, s4, 2
	s_mul_i32 s6, s40, s39
	v_rcp_iflag_f32_e32 v1, s3
	s_sub_co_i32 s34, s4, s6
	s_xor_b32 s4, s39, s43
	s_delay_alu instid0(SALU_CYCLE_1) | instskip(SKIP_1) | instid1(TRANS32_DEP_1)
	s_ashr_i32 s4, s4, 31
	v_nop
	v_readfirstlane_b32 s3, v1
	s_mul_f32 s3, s3, 0x4f7ffffe
	s_delay_alu instid0(SALU_CYCLE_3) | instskip(NEXT) | instid1(SALU_CYCLE_3)
	s_cvt_u32_f32 s3, s3
	s_mul_i32 s5, s5, s3
	s_delay_alu instid0(SALU_CYCLE_1) | instskip(NEXT) | instid1(SALU_CYCLE_1)
	s_mul_hi_u32 s5, s3, s5
	s_add_co_i32 s3, s3, s5
	s_delay_alu instid0(SALU_CYCLE_1) | instskip(NEXT) | instid1(SALU_CYCLE_1)
	s_mul_hi_u32 s3, s7, s3
	s_mul_i32 s5, s3, s2
	s_add_co_i32 s6, s3, 1
	s_sub_co_i32 s5, s7, s5
	s_delay_alu instid0(SALU_CYCLE_1)
	s_sub_co_i32 s7, s5, s2
	s_cmp_ge_u32 s5, s2
	s_cselect_b32 s3, s6, s3
	s_cselect_b32 s5, s7, s5
	s_add_co_i32 s6, s3, 1
	s_cmp_ge_u32 s5, s2
	s_mov_b32 s7, 0
	s_cselect_b32 s2, s6, s3
	s_delay_alu instid0(SALU_CYCLE_1) | instskip(SKIP_2) | instid1(SALU_CYCLE_1)
	s_xor_b32 s5, s2, s4
	s_load_b64 s[2:3], s[0:1], 0xb8
	s_sub_co_i32 s9, s5, s4
	s_abs_i32 s35, s9
	s_cmp_eq_u64 s[22:23], 0
	s_cvt_f32_u32 s4, s35
	s_delay_alu instid0(SALU_CYCLE_3) | instskip(SKIP_1) | instid1(TRANS32_DEP_1)
	v_rcp_iflag_f32_e32 v1, s4
	v_nop
	v_readfirstlane_b32 s41, v1
	s_cbranch_scc1 .LBB17_2
; %bb.1:
	s_wait_kmcnt 0x0
	s_abs_i32 s2, s2
	s_abs_i32 s6, s40
	s_cvt_f32_u32 s4, s2
	s_sub_co_i32 s5, 0, s2
	s_delay_alu instid0(SALU_CYCLE_2) | instskip(SKIP_1) | instid1(TRANS32_DEP_1)
	v_rcp_iflag_f32_e32 v1, s4
	v_nop
	v_readfirstlane_b32 s4, v1
	s_mul_f32 s4, s4, 0x4f7ffffe
	s_delay_alu instid0(SALU_CYCLE_3) | instskip(NEXT) | instid1(SALU_CYCLE_3)
	s_cvt_u32_f32 s4, s4
	s_mul_i32 s5, s5, s4
	s_delay_alu instid0(SALU_CYCLE_1) | instskip(NEXT) | instid1(SALU_CYCLE_1)
	s_mul_hi_u32 s5, s4, s5
	s_add_co_i32 s4, s4, s5
	s_delay_alu instid0(SALU_CYCLE_1) | instskip(SKIP_2) | instid1(SALU_CYCLE_1)
	s_mul_hi_u32 s8, s6, s4
	s_load_b64 s[4:5], s[0:1], 0xc8
	s_mul_i32 s8, s8, s2
	s_sub_co_i32 s6, s6, s8
	s_ashr_i32 s8, s40, 31
	s_sub_co_i32 s10, s6, s2
	s_cmp_ge_u32 s6, s2
	s_cselect_b32 s6, s10, s6
	s_delay_alu instid0(SALU_CYCLE_1) | instskip(SKIP_2) | instid1(SALU_CYCLE_1)
	s_sub_co_i32 s10, s6, s2
	s_cmp_ge_u32 s6, s2
	s_cselect_b32 s2, s10, s6
	s_xor_b32 s2, s2, s8
	s_delay_alu instid0(SALU_CYCLE_1) | instskip(NEXT) | instid1(SALU_CYCLE_1)
	s_sub_co_i32 s10, s2, s8
	s_ashr_i32 s11, s10, 31
	s_wait_kmcnt 0x0
	s_mul_u64 s[4:5], s[4:5], s[10:11]
	s_delay_alu instid0(SALU_CYCLE_1)
	s_add_nc_u64 s[44:45], s[22:23], s[4:5]
.LBB17_2:
	s_clause 0x1
	s_load_b96 s[4:6], s[0:1], 0x70
	s_load_b32 s8, s[0:1], 0x40
	s_bfe_u32 s10, ttmp6, 0x4000c
	v_and_b32_e32 v140, 0x3ff, v0
	s_add_co_i32 s10, s10, 1
	s_wait_kmcnt 0x0
	s_and_b32 s2, ttmp6, 15
	s_mul_i32 s10, ttmp9, s10
	v_bfe_u32 v141, v0, 10, 10
	s_add_co_i32 s10, s2, s10
	s_cmp_eq_u32 s46, 0
	v_dual_mov_b32 v105, 0 :: v_dual_lshlrev_b32 v115, 2, v140
	s_cselect_b32 s22, ttmp9, s10
	v_cmp_gt_u32_e64 s2, 24, v140
	s_lshl_b32 s33, s22, 4
	v_dual_lshlrev_b32 v142, 3, v140 :: v_dual_lshlrev_b32 v0, 2, v115
	v_lshl_add_u32 v104, v141, 1, s33
	s_mul_i32 s10, s40, s6
	s_mul_i32 s12, s34, s5
	s_ashr_i32 s15, s5, 31
	s_mov_b32 s14, s5
	s_ashr_i32 s11, s10, 31
	s_ashr_i32 s5, s4, 31
	;; [unrolled: 1-line block ×3, first 2 shown]
	s_add_nc_u64 s[10:11], s[16:17], s[10:11]
	s_lshr_b64 s[14:15], s[14:15], 2
	s_add_nc_u64 s[10:11], s[10:11], s[12:13]
	s_mov_b32 s6, s36
	s_lshr_b64 s[4:5], s[4:5], 2
	s_mul_u64 s[12:13], s[14:15], 12
	s_and_saveexec_b32 s16, s2
	s_cbranch_execz .LBB17_4
; %bb.3:
	v_mul_u64_e32 v[2:3], s[6:7], v[104:105]
	s_lshl_b64 s[48:49], s[14:15], 2
	s_lshl_b64 s[50:51], s[14:15], 3
	s_add_nc_u64 s[48:49], s[10:11], s[48:49]
	s_delay_alu instid0(VALU_DEP_1) | instskip(NEXT) | instid1(VALU_DEP_1)
	v_dual_add_nc_u32 v1, v104, v3 :: v_dual_mov_b32 v3, v105
	v_lshrrev_b32_e32 v1, s37, v1
	s_delay_alu instid0(VALU_DEP_1) | instskip(NEXT) | instid1(VALU_DEP_1)
	v_mul_lo_u32 v1, v1, s38
	v_dual_mov_b32 v1, v105 :: v_dual_sub_nc_u32 v2, v104, v1
	s_delay_alu instid0(VALU_DEP_1) | instskip(NEXT) | instid1(VALU_DEP_1)
	v_mul_u64_e32 v[2:3], s[4:5], v[2:3]
	v_lshlrev_b64_e32 v[2:3], 2, v[2:3]
	s_delay_alu instid0(VALU_DEP_1) | instskip(SKIP_4) | instid1(SALU_CYCLE_1)
	v_add_nc_u64_e32 v[6:7], s[48:49], v[2:3]
	s_add_nc_u64 s[48:49], s[10:11], s[50:51]
	v_add_nc_u64_e32 v[4:5], s[10:11], v[2:3]
	v_add_nc_u64_e32 v[8:9], s[48:49], v[2:3]
	s_add_nc_u64 s[48:49], s[10:11], s[12:13]
	v_add_nc_u64_e32 v[10:11], s[48:49], v[2:3]
	s_delay_alu instid0(VALU_DEP_4) | instskip(NEXT) | instid1(VALU_DEP_4)
	v_add_nc_u64_e32 v[6:7], v[6:7], v[0:1]
	v_add_nc_u64_e32 v[4:5], v[4:5], v[0:1]
	s_delay_alu instid0(VALU_DEP_4) | instskip(NEXT) | instid1(VALU_DEP_4)
	v_add_nc_u64_e32 v[18:19], v[8:9], v[0:1]
	v_add_nc_u64_e32 v[20:21], v[10:11], v[0:1]
	global_load_b128 v[6:9], v[6:7], off
	v_mad_u32_u24 v1, 0x600, v141, v142
	s_clause 0x2
	global_load_b128 v[2:5], v[4:5], off
	global_load_b128 v[10:13], v[18:19], off
	;; [unrolled: 1-line block ×3, first 2 shown]
	s_wait_loadcnt 0x3
	s_wait_xcnt 0x3
	v_fma_mixlo_f16 v6, s8, v6, 0
	v_fma_mixlo_f16 v7, s8, v7, 0
	s_wait_loadcnt 0x2
	v_fma_mixlo_f16 v2, s8, v2, 0
	v_fma_mixlo_f16 v3, s8, v3, 0
	;; [unrolled: 1-line block ×6, first 2 shown]
	s_wait_loadcnt 0x1
	v_fma_mixlo_f16 v10, s8, v10, 0
	v_fma_mixlo_f16 v11, s8, v11, 0
	;; [unrolled: 1-line block ×3, first 2 shown]
	s_wait_loadcnt 0x0
	v_fma_mixlo_f16 v14, s8, v14, 0
	v_fma_mixlo_f16 v15, s8, v15, 0
	;; [unrolled: 1-line block ×3, first 2 shown]
	v_lshlrev_b32_e32 v3, 16, v3
	v_and_b32_e32 v2, 0xffff, v2
	v_dual_lshlrev_b32 v5, 16, v5 :: v_dual_lshlrev_b32 v7, 16, v7
	v_and_b32_e32 v4, 0xffff, v4
	v_and_b32_e32 v6, 0xffff, v6
	v_fma_mixlo_f16 v12, s8, v12, 0
	v_fma_mixlo_f16 v16, s8, v16, 0
	v_dual_lshlrev_b32 v9, 16, v9 :: v_dual_lshlrev_b32 v11, 16, v11
	v_and_b32_e32 v8, 0xffff, v8
	v_and_b32_e32 v10, 0xffff, v10
	v_dual_lshlrev_b32 v13, 16, v13 :: v_dual_lshlrev_b32 v15, 16, v15
	v_and_b32_e32 v14, 0xffff, v14
	v_dual_lshlrev_b32 v17, 16, v17 :: v_dual_bitop2_b32 v2, v3, v2 bitop3:0x54
	v_or3_b32 v3, v5, v4, 0
	v_or_b32_e32 v4, v7, v6
	v_and_b32_e32 v12, 0xffff, v12
	v_and_b32_e32 v16, 0xffff, v16
	v_or3_b32 v5, v9, v8, 0
	v_or_b32_e32 v6, v11, v10
	v_or_b32_e32 v8, v15, v14
	v_or3_b32 v2, 0, 0, v2
	v_or3_b32 v4, 0, 0, v4
	;; [unrolled: 1-line block ×6, first 2 shown]
	ds_store_2addr_b64 v1, v[2:3], v[4:5] offset1:24
	ds_store_2addr_b64 v1, v[6:7], v[8:9] offset0:48 offset1:72
.LBB17_4:
	s_or_b32 exec_lo, exec_lo, s16
	v_lshlrev_b32_e32 v2, 3, v141
	s_delay_alu instid0(VALU_DEP_1) | instskip(NEXT) | instid1(VALU_DEP_1)
	v_or_b32_e32 v3, 4, v2
	v_lshrrev_b32_e32 v139, 2, v3
	s_and_saveexec_b32 s16, s2
	s_cbranch_execnz .LBB17_14
; %bb.5:
	s_or_b32 exec_lo, exec_lo, s16
	v_or_b32_e32 v138, 5, v2
	s_and_saveexec_b32 s16, s2
	s_cbranch_execnz .LBB17_15
.LBB17_6:
	s_or_b32 exec_lo, exec_lo, s16
	v_or_b32_e32 v137, 6, v2
	s_and_saveexec_b32 s16, s2
	s_cbranch_execnz .LBB17_16
.LBB17_7:
	s_or_b32 exec_lo, exec_lo, s16
	v_or_b32_e32 v136, 7, v2
	s_and_saveexec_b32 s14, s2
	s_cbranch_execz .LBB17_9
.LBB17_8:
	s_delay_alu instid0(VALU_DEP_1) | instskip(NEXT) | instid1(VALU_DEP_1)
	v_dual_lshrrev_b32 v1, 2, v136 :: v_dual_mov_b32 v5, 0
	v_add_nc_u32_e32 v4, s33, v1
	s_delay_alu instid0(VALU_DEP_1) | instskip(NEXT) | instid1(VALU_DEP_1)
	v_mul_u64_e32 v[6:7], s[6:7], v[4:5]
	v_add_nc_u32_e32 v1, v4, v7
	s_delay_alu instid0(VALU_DEP_1) | instskip(NEXT) | instid1(VALU_DEP_1)
	v_lshrrev_b32_e32 v1, s37, v1
	v_mul_lo_u32 v1, v1, s38
	s_delay_alu instid0(VALU_DEP_1) | instskip(NEXT) | instid1(VALU_DEP_1)
	v_dual_mov_b32 v1, v5 :: v_dual_sub_nc_u32 v4, v4, v1
	v_mul_u64_e32 v[6:7], s[4:5], v[4:5]
	s_add_nc_u64 s[4:5], s[10:11], s[12:13]
	s_delay_alu instid0(VALU_DEP_1) | instid1(SALU_CYCLE_1)
	v_lshl_add_u64 v[4:5], v[6:7], 2, s[4:5]
	s_delay_alu instid0(VALU_DEP_1) | instskip(SKIP_4) | instid1(VALU_DEP_2)
	v_add_nc_u64_e32 v[0:1], v[4:5], v[0:1]
	global_load_b128 v[4:7], v[0:1], off
	s_wait_loadcnt 0x0
	v_fma_mixlo_f16 v3, s8, v4, 0
	v_mov_b32_e32 v4, v7
	v_and_b32_e32 v3, 0xffff, v3
	s_delay_alu instid0(VALU_DEP_2) | instskip(NEXT) | instid1(VALU_DEP_1)
	v_pk_mul_f32 v[0:1], s[8:9], v[4:5] op_sel_hi:[0,1]
	v_cvt_pk_f16_f32 v0, v0, v1
	v_fma_mixlo_f16 v1, s8, v6, 0
	s_delay_alu instid0(VALU_DEP_2) | instskip(NEXT) | instid1(VALU_DEP_2)
	v_and_b32_e32 v4, 0xffff0000, v0
	v_and_b32_e32 v1, 0xffff, v1
	s_delay_alu instid0(VALU_DEP_2) | instskip(SKIP_1) | instid1(VALU_DEP_2)
	v_dual_lshlrev_b32 v0, 16, v0 :: v_dual_bitop2_b32 v3, v4, v3 bitop3:0x54
	v_mad_u32_u24 v4, 0xc0, v136, v142
	v_or3_b32 v1, v0, v1, 0
	s_delay_alu instid0(VALU_DEP_3)
	v_or3_b32 v0, 0, 0, v3
	ds_store_b64 v4, v[0:1]
.LBB17_9:
	s_or_b32 exec_lo, exec_lo, s14
	s_cmp_eq_u64 s[26:27], 0
	s_wait_dscnt 0x0
	s_barrier_signal -1
	s_barrier_wait -1
	s_cbranch_scc1 .LBB17_11
; %bb.10:
	s_load_b32 s4, s[0:1], 0xd0
	s_wait_kmcnt 0x0
	s_mul_i32 s4, s4, s40
	s_delay_alu instid0(SALU_CYCLE_1)
	s_add_co_i32 s4, s4, s22
	s_load_b32 s42, s[26:27], s4 offset:0x0 scale_offset
.LBB17_11:
	s_wait_xcnt 0x0
	s_bfe_u32 s4, ttmp6, 0x40010
	s_and_b32 s5, ttmp7, 0xffff
	s_add_co_i32 s4, s4, 1
	s_bfe_u32 s8, ttmp6, 0x40004
	s_mul_i32 s4, s5, s4
	v_mbcnt_lo_u32_b32 v144, -1, 0
	s_add_co_i32 s8, s8, s4
	s_cmp_eq_u32 s46, 0
	s_mov_b32 s4, 0
	s_cselect_b32 s43, s5, s8
	s_delay_alu instid0(SALU_CYCLE_1)
	s_lshl_b32 s22, s43, 5
	s_wait_kmcnt 0x0
	s_cmp_lt_i32 s22, s42
	s_cbranch_scc1 .LBB17_17
; %bb.12:
	v_mbcnt_lo_u32_b32 v8, -1, 0
	s_delay_alu instid0(VALU_DEP_1)
	v_dual_mov_b32 v143, 32 :: v_dual_bitop2_b32 v171, 16, v8 bitop3:0x14
	v_xor_b32_e32 v172, 8, v8
	v_xor_b32_e32 v173, 4, v8
	;; [unrolled: 1-line block ×4, first 2 shown]
	s_and_not1_b32 vcc_lo, exec_lo, s4
	s_cbranch_vccz .LBB17_18
; %bb.13:
	v_dual_mov_b32 v169, 0 :: v_dual_mov_b32 v109, 0
	v_dual_mov_b32 v7, 0xfeffffff :: v_dual_mov_b32 v6, 0xfeffffff
	;; [unrolled: 1-line block ×16, first 2 shown]
	s_branch .LBB17_38
.LBB17_14:
	s_delay_alu instid0(VALU_DEP_1) | instskip(SKIP_1) | instid1(VALU_DEP_2)
	v_dual_mov_b32 v5, 0 :: v_dual_add_nc_u32 v4, s33, v139
	v_mad_u32_u24 v3, 0xc0, v3, v142
	v_mul_u64_e32 v[6:7], s[6:7], v[4:5]
	s_delay_alu instid0(VALU_DEP_1) | instskip(NEXT) | instid1(VALU_DEP_1)
	v_add_nc_u32_e32 v1, v4, v7
	v_lshrrev_b32_e32 v1, s37, v1
	s_delay_alu instid0(VALU_DEP_1) | instskip(NEXT) | instid1(VALU_DEP_1)
	v_mul_lo_u32 v1, v1, s38
	v_dual_mov_b32 v1, v5 :: v_dual_sub_nc_u32 v4, v4, v1
	s_delay_alu instid0(VALU_DEP_1) | instskip(NEXT) | instid1(VALU_DEP_1)
	v_mul_u64_e32 v[6:7], s[4:5], v[4:5]
	v_lshl_add_u64 v[4:5], v[6:7], 2, s[10:11]
	s_delay_alu instid0(VALU_DEP_1) | instskip(SKIP_4) | instid1(VALU_DEP_2)
	v_add_nc_u64_e32 v[4:5], v[4:5], v[0:1]
	global_load_b128 v[4:7], v[4:5], off
	s_wait_loadcnt 0x0
	v_fma_mixlo_f16 v1, s8, v4, 0
	v_mov_b32_e32 v4, v7
	v_and_b32_e32 v1, 0xffff, v1
	s_delay_alu instid0(VALU_DEP_2) | instskip(NEXT) | instid1(VALU_DEP_1)
	v_pk_mul_f32 v[4:5], s[8:9], v[4:5] op_sel_hi:[0,1]
	v_cvt_pk_f16_f32 v4, v4, v5
	v_fma_mixlo_f16 v5, s8, v6, 0
	s_delay_alu instid0(VALU_DEP_2) | instskip(NEXT) | instid1(VALU_DEP_2)
	v_and_b32_e32 v6, 0xffff0000, v4
	v_and_b32_e32 v5, 0xffff, v5
	s_delay_alu instid0(VALU_DEP_2) | instskip(NEXT) | instid1(VALU_DEP_1)
	v_dual_lshlrev_b32 v4, 16, v4 :: v_dual_bitop2_b32 v1, v6, v1 bitop3:0x54
	v_or3_b32 v5, v4, v5, 0
	s_delay_alu instid0(VALU_DEP_2)
	v_or3_b32 v4, 0, 0, v1
	ds_store_b64 v3, v[4:5]
	s_or_b32 exec_lo, exec_lo, s16
	v_or_b32_e32 v138, 5, v2
	s_and_saveexec_b32 s16, s2
	s_cbranch_execz .LBB17_6
.LBB17_15:
	s_delay_alu instid0(VALU_DEP_1) | instskip(SKIP_1) | instid1(SALU_CYCLE_1)
	v_dual_lshrrev_b32 v1, 2, v138 :: v_dual_mov_b32 v5, 0
	s_lshl_b64 s[48:49], s[14:15], 2
	s_add_nc_u64 s[48:49], s[10:11], s[48:49]
	s_delay_alu instid0(VALU_DEP_1) | instskip(NEXT) | instid1(VALU_DEP_1)
	v_add_nc_u32_e32 v4, s33, v1
	v_mul_u64_e32 v[6:7], s[6:7], v[4:5]
	s_delay_alu instid0(VALU_DEP_1) | instskip(NEXT) | instid1(VALU_DEP_1)
	v_add_nc_u32_e32 v1, v4, v7
	v_lshrrev_b32_e32 v1, s37, v1
	s_delay_alu instid0(VALU_DEP_1) | instskip(NEXT) | instid1(VALU_DEP_1)
	v_mul_lo_u32 v1, v1, s38
	v_dual_mov_b32 v1, v5 :: v_dual_sub_nc_u32 v4, v4, v1
	s_delay_alu instid0(VALU_DEP_1) | instskip(NEXT) | instid1(VALU_DEP_1)
	v_mul_u64_e32 v[6:7], s[4:5], v[4:5]
	v_lshl_add_u64 v[4:5], v[6:7], 2, s[48:49]
	s_delay_alu instid0(VALU_DEP_1) | instskip(SKIP_4) | instid1(VALU_DEP_2)
	v_add_nc_u64_e32 v[4:5], v[4:5], v[0:1]
	global_load_b128 v[4:7], v[4:5], off
	s_wait_loadcnt 0x0
	v_fma_mixlo_f16 v1, s8, v4, 0
	v_mov_b32_e32 v4, v7
	v_and_b32_e32 v1, 0xffff, v1
	s_delay_alu instid0(VALU_DEP_2) | instskip(NEXT) | instid1(VALU_DEP_1)
	v_pk_mul_f32 v[4:5], s[8:9], v[4:5] op_sel_hi:[0,1]
	v_cvt_pk_f16_f32 v3, v4, v5
	v_fma_mixlo_f16 v4, s8, v6, 0
	v_mad_u32_u24 v6, 0xc0, v138, v142
	s_delay_alu instid0(VALU_DEP_3) | instskip(NEXT) | instid1(VALU_DEP_3)
	v_and_b32_e32 v5, 0xffff0000, v3
	v_and_b32_e32 v4, 0xffff, v4
	s_delay_alu instid0(VALU_DEP_2) | instskip(NEXT) | instid1(VALU_DEP_1)
	v_dual_lshlrev_b32 v3, 16, v3 :: v_dual_bitop2_b32 v1, v5, v1 bitop3:0x54
	v_or3_b32 v5, v3, v4, 0
	s_delay_alu instid0(VALU_DEP_2)
	v_or3_b32 v4, 0, 0, v1
	ds_store_b64 v6, v[4:5]
	s_or_b32 exec_lo, exec_lo, s16
	v_or_b32_e32 v137, 6, v2
	s_and_saveexec_b32 s16, s2
	s_cbranch_execz .LBB17_7
.LBB17_16:
	s_delay_alu instid0(VALU_DEP_1) | instskip(SKIP_1) | instid1(SALU_CYCLE_1)
	v_dual_lshrrev_b32 v1, 2, v137 :: v_dual_mov_b32 v5, 0
	s_lshl_b64 s[14:15], s[14:15], 3
	s_add_nc_u64 s[14:15], s[10:11], s[14:15]
	s_delay_alu instid0(VALU_DEP_1) | instskip(NEXT) | instid1(VALU_DEP_1)
	v_add_nc_u32_e32 v4, s33, v1
	v_mul_u64_e32 v[6:7], s[6:7], v[4:5]
	s_delay_alu instid0(VALU_DEP_1) | instskip(NEXT) | instid1(VALU_DEP_1)
	v_add_nc_u32_e32 v1, v4, v7
	v_lshrrev_b32_e32 v1, s37, v1
	s_delay_alu instid0(VALU_DEP_1) | instskip(NEXT) | instid1(VALU_DEP_1)
	v_mul_lo_u32 v1, v1, s38
	v_dual_mov_b32 v1, v5 :: v_dual_sub_nc_u32 v4, v4, v1
	s_delay_alu instid0(VALU_DEP_1) | instskip(NEXT) | instid1(VALU_DEP_1)
	v_mul_u64_e32 v[6:7], s[4:5], v[4:5]
	v_lshl_add_u64 v[4:5], v[6:7], 2, s[14:15]
	s_delay_alu instid0(VALU_DEP_1) | instskip(SKIP_4) | instid1(VALU_DEP_2)
	v_add_nc_u64_e32 v[4:5], v[4:5], v[0:1]
	global_load_b128 v[4:7], v[4:5], off
	s_wait_loadcnt 0x0
	v_fma_mixlo_f16 v1, s8, v4, 0
	v_mov_b32_e32 v4, v7
	v_and_b32_e32 v1, 0xffff, v1
	s_delay_alu instid0(VALU_DEP_2) | instskip(NEXT) | instid1(VALU_DEP_1)
	v_pk_mul_f32 v[4:5], s[8:9], v[4:5] op_sel_hi:[0,1]
	v_cvt_pk_f16_f32 v3, v4, v5
	v_fma_mixlo_f16 v4, s8, v6, 0
	v_mad_u32_u24 v6, 0xc0, v137, v142
	s_delay_alu instid0(VALU_DEP_3) | instskip(NEXT) | instid1(VALU_DEP_3)
	v_and_b32_e32 v5, 0xffff0000, v3
	v_and_b32_e32 v4, 0xffff, v4
	s_delay_alu instid0(VALU_DEP_2) | instskip(NEXT) | instid1(VALU_DEP_1)
	v_dual_lshlrev_b32 v3, 16, v3 :: v_dual_bitop2_b32 v1, v5, v1 bitop3:0x54
	v_or3_b32 v5, v3, v4, 0
	s_delay_alu instid0(VALU_DEP_2)
	v_or3_b32 v4, 0, 0, v1
	ds_store_b64 v6, v[4:5]
	s_or_b32 exec_lo, exec_lo, s16
	v_or_b32_e32 v136, 7, v2
	s_and_saveexec_b32 s14, s2
	s_cbranch_execnz .LBB17_8
	s_branch .LBB17_9
.LBB17_17:
                                        ; implicit-def: $vgpr8
                                        ; implicit-def: $vgpr143
                                        ; implicit-def: $vgpr171
                                        ; implicit-def: $vgpr172
                                        ; implicit-def: $vgpr173
                                        ; implicit-def: $vgpr174
                                        ; implicit-def: $vgpr175
.LBB17_18:
	v_dual_mov_b32 v105, 0 :: v_dual_lshrrev_b32 v3, 1, v140
	v_lshrrev_b32_e32 v5, 2, v140
	s_ashr_i32 s26, s9, 31
	s_clause 0x2
	s_load_b64 s[12:13], s[0:1], 0x8c
	s_load_b128 s[8:11], s[0:1], 0x98
	s_load_b64 s[16:17], s[0:1], 0xa8
	v_mul_u64_e32 v[0:1], s[6:7], v[104:105]
	v_and_b32_e32 v0, 4, v115
	v_lshl_add_u32 v14, v141, 4, v3
	v_dual_lshlrev_b32 v6, 4, v140 :: v_dual_bitop2_b32 v4, 12, v115 bitop3:0x40
	v_lshl_add_u32 v147, v141, 9, 0x3000
	s_mul_f32 s4, s41, 0x4f7ffffe
	s_delay_alu instid0(VALU_DEP_2) | instskip(SKIP_1) | instid1(VALU_DEP_2)
	v_dual_mov_b32 v177, 0xfeffffff :: v_dual_lshlrev_b32 v16, 2, v4
	s_ashr_i32 s23, s34, 31
	v_dual_add_nc_u32 v150, v147, v6 :: v_dual_mov_b32 v148, v105
	s_xor_b32 s23, s23, s26
	s_cvt_u32_f32 s26, s4
	s_sub_co_i32 s5, 0, s35
	v_dual_lshrrev_b32 v7, 3, v140 :: v_dual_bitop2_b32 v114, 28, v115 bitop3:0x40
	s_wait_kmcnt 0x0
	s_ashr_i32 s36, s12, 2
	s_mul_i32 s5, s5, s26
	v_mul_lo_u32 v118, s36, v14
	v_lshl_add_u32 v7, v141, 2, v7
	s_abs_i32 s14, s34
	s_mov_b32 s15, s7
	s_mov_b32 s27, s7
	s_ashr_i32 s50, s3, 1
	s_ashr_i32 s41, s40, 31
	v_dual_lshlrev_b32 v17, 2, v114 :: v_dual_lshlrev_b32 v116, 2, v4
	v_mul_u32_u24_e32 v18, 0xc0, v7
	s_mul_u64 s[8:9], s[8:9], s[40:41]
	v_mul_u32_u24_e32 v145, 0x70, v140
	v_mul_u32_u24_e32 v146, 0x600, v141
	v_dual_add_nc_u32 v1, v104, v1 :: v_dual_add_nc_u32 v5, v5, v2
	v_dual_mov_b32 v8, 0xfeffffff :: v_dual_lshlrev_b32 v15, 2, v0
	s_delay_alu instid0(VALU_DEP_2) | instskip(NEXT) | instid1(VALU_DEP_3)
	v_dual_mov_b32 v143, 32 :: v_dual_lshrrev_b32 v1, s37, v1
	v_mul_u32_u24_e32 v6, 0xc0, v5
	v_mul_lo_u32 v120, s36, v5
	v_mul_u32_u24_e32 v4, 0x70, v5
	v_dual_mov_b32 v13, 0xfeffffff :: v_dual_mov_b32 v12, 0xfeffffff
	v_mul_lo_u32 v1, v1, s38
	v_dual_mov_b32 v11, 0xfeffffff :: v_dual_mov_b32 v10, 0xfeffffff
	v_dual_mov_b32 v9, 0xfeffffff :: v_dual_mov_b32 v176, 0xfeffffff
	;; [unrolled: 1-line block ×5, first 2 shown]
	v_dual_sub_nc_u32 v1, v104, v1 :: v_dual_add_nc_u32 v104, 1, v104
	v_dual_mov_b32 v161, v105 :: v_dual_mov_b32 v163, v105
	v_dual_mov_b32 v164, v105 :: v_dual_mov_b32 v165, v105
	s_delay_alu instid0(VALU_DEP_3)
	v_mul_u64_e32 v[2:3], s[6:7], v[104:105]
	v_mul_u32_u24_e32 v2, 0x70, v14
	s_mul_hi_u32 s6, s26, s5
	v_mul_lo_u32 v157, v1, s50
	s_add_co_i32 s26, s26, s6
	v_dual_mov_b32 v166, v105 :: v_dual_mov_b32 v168, v105
	v_add3_u32 v151, v2, v15, 0x4040
	v_or_b32_e32 v2, v6, v16
	s_mul_u64 s[6:7], s[14:15], s[26:27]
	s_ashr_i32 s26, s10, 2
	s_mul_i32 s6, s7, s35
	v_mul_lo_u32 v124, s26, v7
	s_sub_co_i32 s6, s14, s6
	s_add_co_i32 s27, s7, 1
	s_sub_co_i32 s10, s6, s35
	s_cmp_ge_u32 s6, s35
	v_mul_lo_u32 v122, s26, v5
	s_cselect_b32 s7, s27, s7
	s_cselect_b32 s6, s10, s6
	s_add_co_i32 s10, s7, 1
	s_cmp_ge_u32 s6, s35
	s_mul_u64 s[14:15], s[16:17], s[40:41]
	s_cselect_b32 s10, s10, s7
	v_dual_mov_b32 v167, v105 :: v_dual_mov_b32 v170, v105
	s_xor_b32 s10, s10, s23
	v_dual_mov_b32 v169, v105 :: v_dual_mov_b32 v106, v105
	s_sub_co_i32 s12, s10, s23
	v_cmp_gt_u32_e64 s3, 32, v5
	s_mul_i32 s10, s12, s13
	v_add_nc_u32_e32 v3, v104, v3
	v_dual_mov_b32 v107, v105 :: v_dual_add_nc_u32 v156, 0x4080, v2
	v_ashrrev_i32_e32 v119, 31, v118
	s_mul_i32 s12, s12, s11
	s_delay_alu instid0(VALU_DEP_3)
	v_lshrrev_b32_e32 v3, s37, v3
	v_cmp_gt_u32_e64 s4, 16, v5
	v_cmp_gt_u32_e64 s5, 16, v7
	v_add3_u32 v152, v4, v16, 0x4000
	v_add3_u32 v153, v18, v17, 0x4000
	v_mul_lo_u32 v2, v3, s38
	v_ashrrev_i32_e32 v125, 31, v124
	v_dual_ashrrev_i32 v121, 31, v120 :: v_dual_ashrrev_i32 v123, 31, v122
	v_dual_mov_b32 v113, v105 :: v_dual_mov_b32 v110, v105
	v_dual_mov_b32 v111, v105 :: v_dual_mov_b32 v108, v105
	;; [unrolled: 1-line block ×3, first 2 shown]
	s_add_nc_u64 s[6:7], s[18:19], s[8:9]
	v_dual_sub_nc_u32 v2, v104, v2 :: v_dual_lshlrev_b32 v104, 2, v0
	s_add_nc_u64 s[8:9], s[20:21], s[14:15]
	s_ashr_i32 s11, s10, 31
	s_ashr_i32 s13, s12, 31
	s_delay_alu instid0(VALU_DEP_1)
	v_mul_lo_u32 v158, v2, s50
	s_add_nc_u64 s[46:47], s[6:7], s[10:11]
	s_add_nc_u64 s[48:49], s[8:9], s[12:13]
	s_ashr_i32 s37, s36, 31
	s_ashr_i32 s27, s26, 31
	s_add_nc_u64 s[50:51], s[0:1], 0xd0
	v_cmp_gt_u32_e32 vcc_lo, 32, v14
.LBB17_19:                              ; =>This Inner Loop Header: Depth=1
	s_ashr_i32 s23, s22, 31
	s_delay_alu instid0(SALU_CYCLE_1) | instskip(NEXT) | instid1(SALU_CYCLE_1)
	s_mul_u64 s[6:7], s[22:23], s[36:37]
	s_lshl_b64 s[6:7], s[6:7], 2
	s_delay_alu instid0(SALU_CYCLE_1) | instskip(NEXT) | instid1(SALU_CYCLE_1)
	s_add_nc_u64 s[6:7], s[46:47], s[6:7]
	v_lshl_add_u64 v[0:1], v[118:119], 2, s[6:7]
	s_and_saveexec_b32 s8, vcc_lo
	s_cbranch_execz .LBB17_21
; %bb.20:                               ;   in Loop: Header=BB17_19 Depth=1
	s_delay_alu instid0(VALU_DEP_1)
	v_add_nc_u64_e32 v[2:3], v[0:1], v[104:105]
	global_load_b128 v[2:5], v[2:3], off offset:64
	s_wait_loadcnt 0x0
	ds_store_b128 v151, v[2:5]
.LBB17_21:                              ;   in Loop: Header=BB17_19 Depth=1
	s_or_b32 exec_lo, exec_lo, s8
	v_lshl_add_u64 v[2:3], v[120:121], 2, s[6:7]
	s_and_saveexec_b32 s6, s3
	s_cbranch_execz .LBB17_23
; %bb.22:                               ;   in Loop: Header=BB17_19 Depth=1
	v_mov_b32_e32 v117, v105
	s_delay_alu instid0(VALU_DEP_1)
	v_add_nc_u64_e32 v[4:5], v[2:3], v[116:117]
	global_load_b128 v[4:7], v[4:5], off
	s_wait_loadcnt 0x0
	ds_store_b128 v152, v[4:7]
.LBB17_23:                              ;   in Loop: Header=BB17_19 Depth=1
	s_or_b32 exec_lo, exec_lo, s6
	s_wait_dscnt 0x0
	s_barrier_signal -1
	s_barrier_wait -1
	ds_load_b128 v[18:21], v145 offset:16384
	ds_load_b128 v[14:17], v146
	ds_load_b128 v[22:25], v146 offset:192
	ds_load_b128 v[26:29], v146 offset:384
	;; [unrolled: 1-line block ×6, first 2 shown]
	v_dual_mov_b32 v4, 0 :: v_dual_mov_b32 v5, 0
	ds_load_b128 v[46:49], v146 offset:1344
	v_dual_mov_b32 v6, 0 :: v_dual_mov_b32 v7, 0
	s_wait_dscnt 0x7
	;;#ASMSTART
	v_dot2_f32_f16 v4, v18, v14, v4
	;;#ASMEND
	;;#ASMSTART
	v_dot2_f32_f16 v4, v19, v15, v4
	;;#ASMEND
	;;#ASMSTART
	v_dot2_f32_f16 v4, v20, v16, v4
	;;#ASMEND
	;;#ASMSTART
	v_dot2_f32_f16 v4, v21, v17, v4
	;;#ASMEND
	s_wait_dscnt 0x6
	;;#ASMSTART
	v_dot2_f32_f16 v5, v18, v22, v5
	;;#ASMEND
	;;#ASMSTART
	v_dot2_f32_f16 v5, v19, v23, v5
	;;#ASMEND
	;;#ASMSTART
	v_dot2_f32_f16 v5, v20, v24, v5
	;;#ASMEND
	;;#ASMSTART
	v_dot2_f32_f16 v5, v21, v25, v5
	;;#ASMEND
	;; [unrolled: 13-line block ×3, first 2 shown]
	s_wait_dscnt 0x4
	;;#ASMSTART
	v_dot2_f32_f16 v7, v18, v30, v7
	;;#ASMEND
	;;#ASMSTART
	v_dot2_f32_f16 v7, v19, v31, v7
	;;#ASMEND
	v_dual_mov_b32 v14, 0 :: v_dual_mov_b32 v15, 0
	;;#ASMSTART
	v_dot2_f32_f16 v7, v20, v32, v7
	;;#ASMEND
	;;#ASMSTART
	v_dot2_f32_f16 v7, v21, v33, v7
	;;#ASMEND
	s_wait_dscnt 0x3
	;;#ASMSTART
	v_dot2_f32_f16 v14, v18, v34, v14
	;;#ASMEND
	;;#ASMSTART
	v_dot2_f32_f16 v14, v19, v35, v14
	;;#ASMEND
	;; [unrolled: 3-line block ×4, first 2 shown]
	s_wait_dscnt 0x2
	;;#ASMSTART
	v_dot2_f32_f16 v15, v18, v38, v15
	;;#ASMEND
	;;#ASMSTART
	v_dot2_f32_f16 v15, v19, v39, v15
	;;#ASMEND
	v_dual_mov_b32 v16, 0 :: v_dual_mov_b32 v17, 0
	;;#ASMSTART
	v_dot2_f32_f16 v15, v20, v40, v15
	;;#ASMEND
	;;#ASMSTART
	v_dot2_f32_f16 v15, v21, v41, v15
	;;#ASMEND
	s_wait_dscnt 0x1
	;;#ASMSTART
	v_dot2_f32_f16 v16, v18, v42, v16
	;;#ASMEND
	;;#ASMSTART
	v_dot2_f32_f16 v16, v19, v43, v16
	;;#ASMEND
	;; [unrolled: 3-line block ×4, first 2 shown]
	s_wait_dscnt 0x0
	;;#ASMSTART
	v_dot2_f32_f16 v17, v18, v46, v17
	;;#ASMEND
	;;#ASMSTART
	v_dot2_f32_f16 v17, v19, v47, v17
	;;#ASMEND
	;; [unrolled: 3-line block ×4, first 2 shown]
	ds_load_b128 v[18:21], v145 offset:16400
	ds_load_b128 v[22:25], v146 offset:16
	;; [unrolled: 1-line block ×9, first 2 shown]
	s_wait_dscnt 0x7
	;;#ASMSTART
	v_dot2_f32_f16 v4, v18, v22, v4
	;;#ASMEND
	;;#ASMSTART
	v_dot2_f32_f16 v4, v19, v23, v4
	;;#ASMEND
	;;#ASMSTART
	v_dot2_f32_f16 v4, v20, v24, v4
	;;#ASMEND
	;;#ASMSTART
	v_dot2_f32_f16 v4, v21, v25, v4
	;;#ASMEND
	s_wait_dscnt 0x6
	;;#ASMSTART
	v_dot2_f32_f16 v5, v18, v26, v5
	;;#ASMEND
	;;#ASMSTART
	v_dot2_f32_f16 v5, v19, v27, v5
	;;#ASMEND
	;;#ASMSTART
	v_dot2_f32_f16 v5, v20, v28, v5
	;;#ASMEND
	;;#ASMSTART
	v_dot2_f32_f16 v5, v21, v29, v5
	;;#ASMEND
	;; [unrolled: 13-line block ×8, first 2 shown]
	ds_load_b128 v[18:21], v145 offset:16416
	ds_load_b128 v[22:25], v146 offset:32
	;; [unrolled: 1-line block ×9, first 2 shown]
	s_wait_dscnt 0x7
	;;#ASMSTART
	v_dot2_f32_f16 v4, v18, v22, v4
	;;#ASMEND
	;;#ASMSTART
	v_dot2_f32_f16 v4, v19, v23, v4
	;;#ASMEND
	;;#ASMSTART
	v_dot2_f32_f16 v4, v20, v24, v4
	;;#ASMEND
	;;#ASMSTART
	v_dot2_f32_f16 v4, v21, v25, v4
	;;#ASMEND
	s_wait_dscnt 0x6
	;;#ASMSTART
	v_dot2_f32_f16 v5, v18, v26, v5
	;;#ASMEND
	;;#ASMSTART
	v_dot2_f32_f16 v5, v19, v27, v5
	;;#ASMEND
	;;#ASMSTART
	v_dot2_f32_f16 v5, v20, v28, v5
	;;#ASMEND
	;;#ASMSTART
	v_dot2_f32_f16 v5, v21, v29, v5
	;;#ASMEND
	;; [unrolled: 13-line block ×8, first 2 shown]
	ds_load_b128 v[18:21], v145 offset:16432
	ds_load_b128 v[22:25], v146 offset:48
	;; [unrolled: 1-line block ×9, first 2 shown]
	s_wait_dscnt 0x7
	;;#ASMSTART
	v_dot2_f32_f16 v4, v18, v22, v4
	;;#ASMEND
	;;#ASMSTART
	v_dot2_f32_f16 v4, v19, v23, v4
	;;#ASMEND
	;;#ASMSTART
	v_dot2_f32_f16 v4, v20, v24, v4
	;;#ASMEND
	;;#ASMSTART
	v_dot2_f32_f16 v4, v21, v25, v4
	;;#ASMEND
	s_wait_dscnt 0x6
	;;#ASMSTART
	v_dot2_f32_f16 v5, v18, v26, v5
	;;#ASMEND
	;;#ASMSTART
	v_dot2_f32_f16 v5, v19, v27, v5
	;;#ASMEND
	;;#ASMSTART
	v_dot2_f32_f16 v5, v20, v28, v5
	;;#ASMEND
	;;#ASMSTART
	v_dot2_f32_f16 v5, v21, v29, v5
	;;#ASMEND
	;; [unrolled: 13-line block ×8, first 2 shown]
	ds_load_b128 v[18:21], v145 offset:16448
	ds_load_b128 v[22:25], v146 offset:64
	;; [unrolled: 1-line block ×9, first 2 shown]
	s_wait_dscnt 0x7
	;;#ASMSTART
	v_dot2_f32_f16 v4, v18, v22, v4
	;;#ASMEND
	;;#ASMSTART
	v_dot2_f32_f16 v4, v19, v23, v4
	;;#ASMEND
	;;#ASMSTART
	v_dot2_f32_f16 v4, v20, v24, v4
	;;#ASMEND
	;;#ASMSTART
	v_dot2_f32_f16 v4, v21, v25, v4
	;;#ASMEND
	s_wait_dscnt 0x6
	;;#ASMSTART
	v_dot2_f32_f16 v5, v18, v26, v5
	;;#ASMEND
	;;#ASMSTART
	v_dot2_f32_f16 v5, v19, v27, v5
	;;#ASMEND
	;;#ASMSTART
	v_dot2_f32_f16 v5, v20, v28, v5
	;;#ASMEND
	;;#ASMSTART
	v_dot2_f32_f16 v5, v21, v29, v5
	;;#ASMEND
	;; [unrolled: 13-line block ×8, first 2 shown]
	ds_load_b128 v[18:21], v145 offset:16464
	ds_load_b128 v[22:25], v146 offset:80
	;; [unrolled: 1-line block ×9, first 2 shown]
	s_wait_dscnt 0x7
	;;#ASMSTART
	v_dot2_f32_f16 v4, v18, v22, v4
	;;#ASMEND
	;;#ASMSTART
	v_dot2_f32_f16 v4, v19, v23, v4
	;;#ASMEND
	;;#ASMSTART
	v_dot2_f32_f16 v4, v20, v24, v4
	;;#ASMEND
	;;#ASMSTART
	v_dot2_f32_f16 v4, v21, v25, v4
	;;#ASMEND
	s_wait_dscnt 0x6
	;;#ASMSTART
	v_dot2_f32_f16 v5, v18, v26, v5
	;;#ASMEND
	;;#ASMSTART
	v_dot2_f32_f16 v5, v19, v27, v5
	;;#ASMEND
	;;#ASMSTART
	v_dot2_f32_f16 v5, v20, v28, v5
	;;#ASMEND
	;;#ASMSTART
	v_dot2_f32_f16 v5, v21, v29, v5
	;;#ASMEND
	;; [unrolled: 13-line block ×8, first 2 shown]
	s_barrier_signal -1
	s_barrier_wait -1
	s_and_saveexec_b32 s6, vcc_lo
	s_cbranch_execz .LBB17_25
; %bb.24:                               ;   in Loop: Header=BB17_19 Depth=1
	v_add_nc_u64_e32 v[0:1], v[0:1], v[104:105]
	global_load_b128 v[18:21], v[0:1], off offset:160
	s_wait_loadcnt 0x0
	ds_store_b128 v151, v[18:21]
.LBB17_25:                              ;   in Loop: Header=BB17_19 Depth=1
	s_or_b32 exec_lo, exec_lo, s6
	s_and_saveexec_b32 s6, s3
	s_cbranch_execz .LBB17_27
; %bb.26:                               ;   in Loop: Header=BB17_19 Depth=1
	v_mov_b32_e32 v117, v105
	s_delay_alu instid0(VALU_DEP_1)
	v_add_nc_u64_e32 v[0:1], v[2:3], v[116:117]
	global_load_b128 v[0:3], v[0:1], off offset:96
	s_wait_loadcnt 0x0
	ds_store_b128 v152, v[0:3]
.LBB17_27:                              ;   in Loop: Header=BB17_19 Depth=1
	s_or_b32 exec_lo, exec_lo, s6
	s_wait_dscnt 0x0
	s_barrier_signal -1
	s_barrier_wait -1
	ds_load_b128 v[0:3], v145 offset:16384
	ds_load_b128 v[18:21], v146 offset:96
	;; [unrolled: 1-line block ×9, first 2 shown]
	v_xor_b32_e32 v171, 16, v144
	v_xor_b32_e32 v172, 8, v144
	;; [unrolled: 1-line block ×3, first 2 shown]
	s_wait_dscnt 0x7
	;;#ASMSTART
	v_dot2_f32_f16 v4, v0, v18, v4
	;;#ASMEND
	;;#ASMSTART
	v_dot2_f32_f16 v4, v1, v19, v4
	;;#ASMEND
	;;#ASMSTART
	v_dot2_f32_f16 v4, v2, v20, v4
	;;#ASMEND
	;;#ASMSTART
	v_dot2_f32_f16 v4, v3, v21, v4
	;;#ASMEND
	s_wait_dscnt 0x6
	;;#ASMSTART
	v_dot2_f32_f16 v5, v0, v22, v5
	;;#ASMEND
	;;#ASMSTART
	v_dot2_f32_f16 v5, v1, v23, v5
	;;#ASMEND
	;;#ASMSTART
	v_dot2_f32_f16 v5, v2, v24, v5
	;;#ASMEND
	;;#ASMSTART
	v_dot2_f32_f16 v5, v3, v25, v5
	;;#ASMEND
	;; [unrolled: 13-line block ×8, first 2 shown]
	ds_load_b128 v[0:3], v145 offset:16400
	ds_load_b128 v[18:21], v146 offset:112
	;; [unrolled: 1-line block ×9, first 2 shown]
	s_wait_dscnt 0x7
	;;#ASMSTART
	v_dot2_f32_f16 v4, v0, v18, v4
	;;#ASMEND
	;;#ASMSTART
	v_dot2_f32_f16 v4, v1, v19, v4
	;;#ASMEND
	;;#ASMSTART
	v_dot2_f32_f16 v4, v2, v20, v4
	;;#ASMEND
	;;#ASMSTART
	v_dot2_f32_f16 v4, v3, v21, v4
	;;#ASMEND
	s_wait_dscnt 0x6
	;;#ASMSTART
	v_dot2_f32_f16 v5, v0, v22, v5
	;;#ASMEND
	;;#ASMSTART
	v_dot2_f32_f16 v5, v1, v23, v5
	;;#ASMEND
	;;#ASMSTART
	v_dot2_f32_f16 v5, v2, v24, v5
	;;#ASMEND
	;;#ASMSTART
	v_dot2_f32_f16 v5, v3, v25, v5
	;;#ASMEND
	;; [unrolled: 13-line block ×8, first 2 shown]
	ds_load_b128 v[0:3], v145 offset:16416
	ds_load_b128 v[18:21], v146 offset:128
	;; [unrolled: 1-line block ×9, first 2 shown]
	s_wait_dscnt 0x7
	;;#ASMSTART
	v_dot2_f32_f16 v4, v0, v18, v4
	;;#ASMEND
	;;#ASMSTART
	v_dot2_f32_f16 v4, v1, v19, v4
	;;#ASMEND
	;;#ASMSTART
	v_dot2_f32_f16 v4, v2, v20, v4
	;;#ASMEND
	;;#ASMSTART
	v_dot2_f32_f16 v4, v3, v21, v4
	;;#ASMEND
	s_wait_dscnt 0x6
	;;#ASMSTART
	v_dot2_f32_f16 v5, v0, v22, v5
	;;#ASMEND
	;;#ASMSTART
	v_dot2_f32_f16 v5, v1, v23, v5
	;;#ASMEND
	;;#ASMSTART
	v_dot2_f32_f16 v5, v2, v24, v5
	;;#ASMEND
	;;#ASMSTART
	v_dot2_f32_f16 v5, v3, v25, v5
	;;#ASMEND
	;; [unrolled: 13-line block ×8, first 2 shown]
	ds_load_b128 v[0:3], v145 offset:16432
	ds_load_b128 v[18:21], v146 offset:144
	;; [unrolled: 1-line block ×9, first 2 shown]
	s_wait_dscnt 0x7
	;;#ASMSTART
	v_dot2_f32_f16 v4, v0, v18, v4
	;;#ASMEND
	;;#ASMSTART
	v_dot2_f32_f16 v4, v1, v19, v4
	;;#ASMEND
	;;#ASMSTART
	v_dot2_f32_f16 v4, v2, v20, v4
	;;#ASMEND
	;;#ASMSTART
	v_dot2_f32_f16 v4, v3, v21, v4
	;;#ASMEND
	s_wait_dscnt 0x6
	;;#ASMSTART
	v_dot2_f32_f16 v5, v0, v22, v5
	;;#ASMEND
	;;#ASMSTART
	v_dot2_f32_f16 v5, v1, v23, v5
	;;#ASMEND
	;;#ASMSTART
	v_dot2_f32_f16 v5, v2, v24, v5
	;;#ASMEND
	;;#ASMSTART
	v_dot2_f32_f16 v5, v3, v25, v5
	;;#ASMEND
	;; [unrolled: 13-line block ×8, first 2 shown]
	ds_load_b128 v[0:3], v145 offset:16448
	ds_load_b128 v[18:21], v146 offset:160
	;; [unrolled: 1-line block ×9, first 2 shown]
	s_wait_dscnt 0x7
	;;#ASMSTART
	v_dot2_f32_f16 v4, v0, v18, v4
	;;#ASMEND
	;;#ASMSTART
	v_dot2_f32_f16 v4, v1, v19, v4
	;;#ASMEND
	;;#ASMSTART
	v_dot2_f32_f16 v4, v2, v20, v4
	;;#ASMEND
	;;#ASMSTART
	v_dot2_f32_f16 v4, v3, v21, v4
	;;#ASMEND
	s_wait_dscnt 0x6
	;;#ASMSTART
	v_dot2_f32_f16 v5, v0, v22, v5
	;;#ASMEND
	;;#ASMSTART
	v_dot2_f32_f16 v5, v1, v23, v5
	;;#ASMEND
	;;#ASMSTART
	v_dot2_f32_f16 v5, v2, v24, v5
	;;#ASMEND
	;;#ASMSTART
	v_dot2_f32_f16 v5, v3, v25, v5
	;;#ASMEND
	;; [unrolled: 13-line block ×8, first 2 shown]
	ds_load_b128 v[0:3], v145 offset:16464
	ds_load_b128 v[18:21], v146 offset:176
	;; [unrolled: 1-line block ×4, first 2 shown]
	v_add_nc_u32_e32 v34, s22, v140
	ds_load_b128 v[30:33], v146 offset:752
	v_xor_b32_e32 v173, 4, v144
	v_dual_add_nc_u32 v50, v34, v157 :: v_dual_bitop2_b32 v175, 1, v144 bitop3:0x14
	v_add_nc_u32_e32 v51, v34, v158
	ds_load_b128 v[34:37], v146 offset:944
	ds_load_b128 v[38:41], v146 offset:1136
	;; [unrolled: 1-line block ×4, first 2 shown]
	s_wait_dscnt 0x7
	;;#ASMSTART
	v_dot2_f32_f16 v4, v0, v18, v4
	;;#ASMEND
	;;#ASMSTART
	v_dot2_f32_f16 v4, v1, v19, v4
	;;#ASMEND
	;;#ASMSTART
	v_dot2_f32_f16 v4, v2, v20, v4
	;;#ASMEND
	;;#ASMSTART
	v_dot2_f32_f16 v4, v3, v21, v4
	;;#ASMEND
	s_wait_dscnt 0x6
	;;#ASMSTART
	v_dot2_f32_f16 v5, v0, v22, v5
	;;#ASMEND
	;;#ASMSTART
	v_dot2_f32_f16 v5, v1, v23, v5
	;;#ASMEND
	;;#ASMSTART
	v_dot2_f32_f16 v5, v2, v24, v5
	;;#ASMEND
	;;#ASMSTART
	v_dot2_f32_f16 v5, v3, v25, v5
	;;#ASMEND
	s_wait_dscnt 0x5
	;;#ASMSTART
	v_dot2_f32_f16 v6, v0, v26, v6
	;;#ASMEND
	;;#ASMSTART
	v_dot2_f32_f16 v6, v1, v27, v6
	;;#ASMEND
	;;#ASMSTART
	v_dot2_f32_f16 v6, v2, v28, v6
	;;#ASMEND
	;;#ASMSTART
	v_dot2_f32_f16 v6, v3, v29, v6
	;;#ASMEND
	s_wait_dscnt 0x4
	;;#ASMSTART
	v_dot2_f32_f16 v7, v0, v30, v7
	;;#ASMEND
	;;#ASMSTART
	v_dot2_f32_f16 v7, v1, v31, v7
	;;#ASMEND
	;;#ASMSTART
	v_dot2_f32_f16 v7, v2, v32, v7
	;;#ASMEND
	;;#ASMSTART
	v_dot2_f32_f16 v7, v3, v33, v7
	;;#ASMEND
	s_wait_dscnt 0x3
	;;#ASMSTART
	v_dot2_f32_f16 v14, v0, v34, v14
	;;#ASMEND
	;;#ASMSTART
	v_dot2_f32_f16 v14, v1, v35, v14
	;;#ASMEND
	;;#ASMSTART
	v_dot2_f32_f16 v14, v2, v36, v14
	;;#ASMEND
	;;#ASMSTART
	v_dot2_f32_f16 v14, v3, v37, v14
	;;#ASMEND
	s_wait_dscnt 0x2
	;;#ASMSTART
	v_dot2_f32_f16 v15, v0, v38, v15
	;;#ASMEND
	;;#ASMSTART
	v_dot2_f32_f16 v15, v1, v39, v15
	;;#ASMEND
	;;#ASMSTART
	v_dot2_f32_f16 v15, v2, v40, v15
	;;#ASMEND
	;;#ASMSTART
	v_dot2_f32_f16 v15, v3, v41, v15
	;;#ASMEND
	s_wait_dscnt 0x1
	;;#ASMSTART
	v_dot2_f32_f16 v16, v0, v42, v16
	;;#ASMEND
	;;#ASMSTART
	v_dot2_f32_f16 v16, v1, v43, v16
	;;#ASMEND
	;;#ASMSTART
	v_dot2_f32_f16 v16, v2, v44, v16
	;;#ASMEND
	;;#ASMSTART
	v_dot2_f32_f16 v16, v3, v45, v16
	;;#ASMEND
	s_wait_dscnt 0x0
	;;#ASMSTART
	v_dot2_f32_f16 v17, v0, v46, v17
	;;#ASMEND
	;;#ASMSTART
	v_dot2_f32_f16 v17, v1, v47, v17
	;;#ASMEND
	;;#ASMSTART
	v_dot2_f32_f16 v17, v2, v48, v17
	;;#ASMEND
	;;#ASMSTART
	v_dot2_f32_f16 v17, v3, v49, v17
	;;#ASMEND
	s_clause 0x1
	global_load_u16 v0, v50, s[44:45] scale_offset
	global_load_u16 v1, v51, s[44:45] scale_offset
	v_max_num_f32_e32 v19, v11, v11
	v_cmp_gt_i32_e64 s6, 32, v171
	v_dual_max_num_f32 v2, v8, v8 :: v_dual_max_num_f32 v20, v10, v10
	v_dual_max_num_f32 v3, v13, v13 :: v_dual_max_num_f32 v18, v12, v12
	s_delay_alu instid0(VALU_DEP_3) | instskip(SKIP_3) | instid1(VALU_DEP_3)
	v_dual_max_num_f32 v22, v9, v9 :: v_dual_cndmask_b32 v21, v144, v171, s6
	v_dual_max_num_f32 v24, v177, v177 :: v_dual_max_num_f32 v23, v176, v176
	v_cmp_gt_i32_e64 s6, 32, v172
	s_wait_loadcnt 0x0
	v_lshlrev_b32_e32 v21, 2, v21
	s_barrier_signal -1
	s_barrier_wait -1
	v_cvt_f32_f16_e32 v0, v0
	v_cvt_f32_f16_e32 v1, v1
	s_delay_alu instid0(VALU_DEP_2) | instskip(SKIP_1) | instid1(VALU_DEP_3)
	v_dual_add_f32 v25, v4, v0 :: v_dual_add_f32 v26, v5, v0
	v_dual_add_f32 v27, v6, v0 :: v_dual_add_f32 v28, v7, v0
	;; [unrolled: 1-line block ×4, first 2 shown]
	s_delay_alu instid0(VALU_DEP_4) | instskip(NEXT) | instid1(VALU_DEP_4)
	v_dual_add_f32 v0, 0x40051340, v25 :: v_dual_add_f32 v1, 0x40051340, v26
	v_dual_add_f32 v4, 0x40051340, v27 :: v_dual_add_f32 v5, 0x40051340, v28
	s_delay_alu instid0(VALU_DEP_4) | instskip(NEXT) | instid1(VALU_DEP_4)
	v_dual_add_f32 v6, 0x40051340, v14 :: v_dual_add_f32 v7, 0x40051340, v15
	v_dual_add_f32 v29, 0x40051340, v16 :: v_dual_add_f32 v30, 0x40051340, v17
	s_delay_alu instid0(VALU_DEP_4) | instskip(NEXT) | instid1(VALU_DEP_4)
	v_dual_max_num_f32 v0, v2, v0 :: v_dual_max_num_f32 v1, v3, v1
	v_dual_max_num_f32 v2, v18, v4 :: v_dual_max_num_f32 v3, v19, v5
	s_delay_alu instid0(VALU_DEP_4) | instskip(NEXT) | instid1(VALU_DEP_4)
	v_dual_max_num_f32 v4, v20, v6 :: v_dual_max_num_f32 v5, v22, v7
	v_dual_max_num_f32 v6, v23, v29 :: v_dual_max_num_f32 v7, v24, v30
	ds_bpermute_b32 v18, v21, v0
	ds_bpermute_b32 v19, v21, v1
	;; [unrolled: 1-line block ×8, first 2 shown]
	v_cndmask_b32_e64 v30, v144, v172, s6
	v_cmp_gt_i32_e64 s6, 32, v173
	s_wait_dscnt 0x7
	v_max_num_f32_e32 v18, v18, v18
	s_wait_dscnt 0x6
	v_dual_max_num_f32 v19, v19, v19 :: v_dual_lshlrev_b32 v30, 2, v30
	s_wait_dscnt 0x4
	v_dual_max_num_f32 v20, v20, v20 :: v_dual_max_num_f32 v22, v22, v22
	s_wait_dscnt 0x2
	v_dual_max_num_f32 v23, v23, v23 :: v_dual_max_num_f32 v24, v24, v24
	s_wait_dscnt 0x1
	v_max_num_f32_e32 v29, v29, v29
	s_wait_dscnt 0x0
	v_dual_max_num_f32 v21, v21, v21 :: v_dual_max_num_f32 v0, v0, v18
	v_dual_max_num_f32 v1, v1, v19 :: v_dual_max_num_f32 v2, v2, v20
	;; [unrolled: 1-line block ×4, first 2 shown]
	s_delay_alu instid0(VALU_DEP_4)
	v_max_num_f32_e32 v7, v7, v21
	ds_bpermute_b32 v18, v30, v0
	ds_bpermute_b32 v19, v30, v1
	ds_bpermute_b32 v20, v30, v2
	ds_bpermute_b32 v21, v30, v3
	ds_bpermute_b32 v24, v30, v6
	ds_bpermute_b32 v29, v30, v7
	ds_bpermute_b32 v22, v30, v4
	ds_bpermute_b32 v23, v30, v5
	v_cndmask_b32_e64 v30, v144, v173, s6
	v_cmp_gt_i32_e64 s6, 32, v174
	s_wait_dscnt 0x7
	v_max_num_f32_e32 v18, v18, v18
	s_wait_dscnt 0x6
	v_dual_max_num_f32 v19, v19, v19 :: v_dual_lshlrev_b32 v30, 2, v30
	s_wait_dscnt 0x4
	v_dual_max_num_f32 v20, v20, v20 :: v_dual_max_num_f32 v21, v21, v21
	s_wait_dscnt 0x2
	v_dual_max_num_f32 v24, v24, v24 :: v_dual_max_num_f32 v29, v29, v29
	v_dual_max_num_f32 v0, v0, v18 :: v_dual_max_num_f32 v1, v1, v19
	s_wait_dscnt 0x0
	v_dual_max_num_f32 v22, v22, v22 :: v_dual_max_num_f32 v23, v23, v23
	v_dual_max_num_f32 v2, v2, v20 :: v_dual_max_num_f32 v3, v3, v21
	v_dual_max_num_f32 v6, v6, v24 :: v_dual_max_num_f32 v7, v7, v29
	ds_bpermute_b32 v18, v30, v0
	v_dual_max_num_f32 v4, v4, v22 :: v_dual_max_num_f32 v5, v5, v23
	ds_bpermute_b32 v19, v30, v1
	ds_bpermute_b32 v20, v30, v2
	;; [unrolled: 1-line block ×7, first 2 shown]
	v_cndmask_b32_e64 v30, v144, v174, s6
	v_cmp_gt_i32_e64 s6, 32, v175
	s_wait_dscnt 0x6
	v_dual_max_num_f32 v18, v18, v18 :: v_dual_max_num_f32 v19, v19, v19
	s_wait_dscnt 0x5
	v_dual_lshlrev_b32 v30, 2, v30 :: v_dual_max_num_f32 v20, v20, v20
	s_wait_dscnt 0x2
	v_dual_max_num_f32 v21, v21, v21 :: v_dual_max_num_f32 v22, v22, v22
	v_dual_max_num_f32 v29, v29, v29 :: v_dual_max_num_f32 v0, v0, v18
	s_wait_dscnt 0x0
	v_dual_max_num_f32 v23, v23, v23 :: v_dual_max_num_f32 v24, v24, v24
	v_dual_max_num_f32 v1, v1, v19 :: v_dual_max_num_f32 v2, v2, v20
	;; [unrolled: 1-line block ×3, first 2 shown]
	ds_bpermute_b32 v18, v30, v0
	v_dual_max_num_f32 v5, v5, v23 :: v_dual_max_num_f32 v6, v6, v24
	v_max_num_f32_e32 v7, v7, v29
	ds_bpermute_b32 v19, v30, v1
	ds_bpermute_b32 v20, v30, v2
	;; [unrolled: 1-line block ×7, first 2 shown]
	s_wait_dscnt 0x7
	v_dual_cndmask_b32 v30, v144, v175, s6 :: v_dual_max_num_f32 v18, v18, v18
	s_wait_dscnt 0x6
	s_delay_alu instid0(VALU_DEP_1)
	v_dual_max_num_f32 v19, v19, v19 :: v_dual_lshlrev_b32 v30, 2, v30
	s_wait_dscnt 0x4
	v_dual_max_num_f32 v20, v20, v20 :: v_dual_max_num_f32 v21, v21, v21
	v_max_num_f32_e32 v0, v0, v18
	s_wait_dscnt 0x2
	v_dual_max_num_f32 v22, v22, v22 :: v_dual_max_num_f32 v23, v23, v23
	s_wait_dscnt 0x0
	v_dual_max_num_f32 v24, v24, v24 :: v_dual_max_num_f32 v29, v29, v29
	v_dual_max_num_f32 v1, v1, v19 :: v_dual_max_num_f32 v2, v2, v20
	v_max_num_f32_e32 v3, v3, v21
	ds_bpermute_b32 v18, v30, v0
	v_dual_max_num_f32 v4, v4, v22 :: v_dual_max_num_f32 v5, v5, v23
	v_dual_max_num_f32 v6, v6, v24 :: v_dual_max_num_f32 v7, v7, v29
	ds_bpermute_b32 v19, v30, v1
	ds_bpermute_b32 v20, v30, v2
	;; [unrolled: 1-line block ×7, first 2 shown]
	s_wait_dscnt 0x6
	v_dual_max_num_f32 v18, v18, v18 :: v_dual_max_num_f32 v19, v19, v19
	s_wait_dscnt 0x4
	v_dual_max_num_f32 v20, v20, v20 :: v_dual_max_num_f32 v21, v21, v21
	s_delay_alu instid0(VALU_DEP_2)
	v_max_num_f32_e32 v0, v0, v18
	s_wait_dscnt 0x2
	v_dual_max_num_f32 v22, v22, v22 :: v_dual_max_num_f32 v23, v23, v23
	s_wait_dscnt 0x0
	v_dual_max_num_f32 v24, v24, v24 :: v_dual_max_num_f32 v29, v29, v29
	v_dual_max_num_f32 v1, v1, v19 :: v_dual_max_num_f32 v2, v2, v20
	v_dual_max_num_f32 v3, v3, v21 :: v_dual_sub_f32 v18, v25, v0
	v_dual_max_num_f32 v4, v4, v22 :: v_dual_max_num_f32 v5, v5, v23
	s_delay_alu instid0(VALU_DEP_4) | instskip(NEXT) | instid1(VALU_DEP_4)
	v_dual_max_num_f32 v6, v6, v24 :: v_dual_max_num_f32 v7, v7, v29
	v_dual_sub_f32 v19, v26, v1 :: v_dual_sub_f32 v20, v27, v2
	s_delay_alu instid0(VALU_DEP_4) | instskip(NEXT) | instid1(VALU_DEP_4)
	v_dual_sub_f32 v21, v28, v3 :: v_dual_mul_f32 v22, 0x3fb8aa3b, v18
	v_dual_sub_f32 v14, v14, v4 :: v_dual_sub_f32 v15, v15, v5
	s_delay_alu instid0(VALU_DEP_4) | instskip(NEXT) | instid1(VALU_DEP_4)
	v_dual_sub_f32 v16, v16, v6 :: v_dual_sub_f32 v17, v17, v7
	v_dual_mul_f32 v23, 0x3fb8aa3b, v19 :: v_dual_mul_f32 v24, 0x3fb8aa3b, v20
	s_delay_alu instid0(VALU_DEP_4)
	v_mul_f32_e32 v25, 0x3fb8aa3b, v21
	v_fma_f32 v30, 0x3fb8aa3b, v18, -v22
	v_rndne_f32_e32 v31, v22
	v_dual_mul_f32 v26, 0x3fb8aa3b, v14 :: v_dual_mul_f32 v27, 0x3fb8aa3b, v15
	v_dual_mul_f32 v28, 0x3fb8aa3b, v16 :: v_dual_mul_f32 v29, 0x3fb8aa3b, v17
	v_fma_f32 v32, 0x3fb8aa3b, v19, -v23
	v_rndne_f32_e32 v33, v23
	v_fma_f32 v34, 0x3fb8aa3b, v20, -v24
	v_rndne_f32_e32 v35, v24
	v_rndne_f32_e32 v37, v25
	s_delay_alu instid0(VALU_DEP_4)
	v_dual_fmac_f32 v30, 0x32a5705f, v18 :: v_dual_sub_f32 v23, v23, v33
	v_sub_f32_e32 v22, v22, v31
	v_fma_f32 v36, 0x3fb8aa3b, v21, -v25
	v_rndne_f32_e32 v39, v26
	v_rndne_f32_e32 v41, v27
	;; [unrolled: 1-line block ×3, first 2 shown]
	v_fmac_f32_e32 v32, 0x32a5705f, v19
	v_dual_fmac_f32 v34, 0x32a5705f, v20 :: v_dual_sub_f32 v25, v25, v37
	v_dual_sub_f32 v24, v24, v35 :: v_dual_add_f32 v22, v22, v30
	v_fma_f32 v38, 0x3fb8aa3b, v14, -v26
	v_fma_f32 v40, 0x3fb8aa3b, v15, -v27
	;; [unrolled: 1-line block ×3, first 2 shown]
	v_sub_f32_e32 v27, v27, v41
	v_dual_fmac_f32 v36, 0x32a5705f, v21 :: v_dual_add_f32 v23, v23, v32
	v_dual_sub_f32 v29, v29, v45 :: v_dual_sub_f32 v26, v26, v39
	v_add_f32_e32 v24, v24, v34
	v_exp_f32_e32 v22, v22
	v_cvt_i32_f32_e32 v31, v31
	v_exp_f32_e32 v23, v23
	v_fma_f32 v42, 0x3fb8aa3b, v16, -v28
	v_exp_f32_e32 v24, v24
	v_rndne_f32_e32 v43, v28
	v_cvt_i32_f32_e32 v33, v33
	v_cvt_i32_f32_e32 v35, v35
	v_ldexp_f32 v22, v22, v31
	v_cmp_ngt_f32_e64 s6, 0xc2ce8ed0, v18
	v_dual_fmac_f32 v38, 0x32a5705f, v14 :: v_dual_add_f32 v25, v25, v36
	v_fmac_f32_e32 v42, 0x32a5705f, v16
	v_sub_f32_e32 v28, v28, v43
	v_ldexp_f32 v23, v23, v33
	v_ldexp_f32 v24, v24, v35
	v_cndmask_b32_e64 v22, 0, v22, s6
	v_cmp_ngt_f32_e64 s6, 0xc2ce8ed0, v19
	v_fmac_f32_e32 v44, 0x32a5705f, v17
	v_fmac_f32_e32 v40, 0x32a5705f, v15
	v_add_f32_e32 v26, v26, v38
	v_exp_f32_e32 v25, v25
	v_cvt_i32_f32_e32 v37, v37
	v_dual_add_f32 v28, v28, v42 :: v_dual_cndmask_b32 v23, 0, v23, s6
	v_cmp_ngt_f32_e64 s6, 0xc2ce8ed0, v20
	v_add_f32_e32 v29, v29, v44
	v_add_f32_e32 v27, v27, v40
	v_exp_f32_e32 v26, v26
	v_cvt_i32_f32_e32 v39, v39
	v_ldexp_f32 v25, v25, v37
	v_cndmask_b32_e64 v24, 0, v24, s6
	v_cmp_ngt_f32_e64 s6, 0xc2ce8ed0, v21
	v_exp_f32_e32 v27, v27
	v_cvt_i32_f32_e32 v41, v41
	v_ldexp_f32 v26, v26, v39
	v_exp_f32_e32 v28, v28
	v_cndmask_b32_e64 v25, 0, v25, s6
	v_cmp_ngt_f32_e64 s6, 0xc2ce8ed0, v14
	v_cvt_i32_f32_e32 v43, v43
	v_ldexp_f32 v27, v27, v41
	v_exp_f32_e32 v29, v29
	v_cvt_i32_f32_e32 v45, v45
	v_cndmask_b32_e64 v26, 0, v26, s6
	v_cmp_ngt_f32_e64 s6, 0xc2ce8ed0, v15
	v_ldexp_f32 v28, v28, v43
	s_delay_alu instid0(TRANS32_DEP_1) | instid1(VALU_DEP_4)
	v_ldexp_f32 v29, v29, v45
	s_delay_alu instid0(VALU_DEP_3) | instskip(SKIP_1) | instid1(VALU_DEP_1)
	v_cndmask_b32_e64 v27, 0, v27, s6
	v_cmp_ngt_f32_e64 s6, 0xc2ce8ed0, v16
	v_cndmask_b32_e64 v28, 0, v28, s6
	v_cmp_ngt_f32_e64 s6, 0xc2ce8ed0, v17
	s_delay_alu instid0(VALU_DEP_1) | instskip(SKIP_1) | instid1(VALU_DEP_1)
	v_cndmask_b32_e64 v29, 0, v29, s6
	v_cmp_nlt_f32_e64 s6, 0x42b17218, v18
	v_cndmask_b32_e64 v126, 0x7f800000, v22, s6
	v_cmp_nlt_f32_e64 s6, 0x42b17218, v20
	s_delay_alu instid0(VALU_DEP_1) | instskip(SKIP_1) | instid1(VALU_DEP_1)
	v_cndmask_b32_e64 v128, 0x7f800000, v24, s6
	v_cmp_nlt_f32_e64 s6, 0x42b17218, v21
	v_cndmask_b32_e64 v129, 0x7f800000, v25, s6
	v_cmp_nlt_f32_e64 s6, 0x42b17218, v14
	;; [unrolled: 5-line block ×3, first 2 shown]
	s_delay_alu instid0(VALU_DEP_1) | instskip(SKIP_2) | instid1(VALU_DEP_3)
	v_cndmask_b32_e64 v133, 0x7f800000, v29, s6
	v_cmp_nlt_f32_e64 s6, 0x42b17218, v15
	v_cvt_pk_f16_f32 v15, v128, v129
	v_cvt_pk_f16_f32 v17, v132, v133
	s_delay_alu instid0(VALU_DEP_3) | instskip(SKIP_1) | instid1(VALU_DEP_2)
	v_cndmask_b32_e64 v131, 0x7f800000, v27, s6
	v_cmp_nlt_f32_e64 s6, 0x42b17218, v19
	v_cvt_pk_f16_f32 v16, v130, v131
	s_delay_alu instid0(VALU_DEP_2) | instskip(SKIP_1) | instid1(SALU_CYCLE_1)
	v_cndmask_b32_e64 v127, 0x7f800000, v23, s6
	s_mul_u64 s[6:7], s[22:23], s[26:27]
	s_lshl_b64 s[6:7], s[6:7], 2
	s_delay_alu instid0(VALU_DEP_1)
	v_cvt_pk_f16_f32 v14, v126, v127
	s_add_nc_u64 s[6:7], s[48:49], s[6:7]
	ds_store_b128 v150, v[14:17]
	s_wait_xcnt 0x0
	s_and_saveexec_b32 s8, s4
	s_cbranch_execz .LBB17_29
; %bb.28:                               ;   in Loop: Header=BB17_19 Depth=1
	v_lshl_add_u64 v[14:15], v[122:123], 2, s[6:7]
	v_mov_b32_e32 v117, v105
	s_delay_alu instid0(VALU_DEP_1)
	v_add_nc_u64_e32 v[14:15], v[14:15], v[116:117]
	global_load_b128 v[14:17], v[14:15], off offset:128
	s_wait_loadcnt 0x0
	ds_store_b128 v156, v[14:17]
.LBB17_29:                              ;   in Loop: Header=BB17_19 Depth=1
	s_or_b32 exec_lo, exec_lo, s8
	v_lshlrev_b32_e32 v134, 2, v114
	s_and_saveexec_b32 s8, s5
	s_cbranch_execz .LBB17_31
; %bb.30:                               ;   in Loop: Header=BB17_19 Depth=1
	v_lshl_add_u64 v[14:15], v[124:125], 2, s[6:7]
	v_mov_b32_e32 v135, v105
	s_delay_alu instid0(VALU_DEP_1)
	v_add_nc_u64_e32 v[14:15], v[14:15], v[134:135]
	global_load_b128 v[14:17], v[14:15], off
	s_wait_loadcnt 0x0
	ds_store_b128 v153, v[14:17]
.LBB17_31:                              ;   in Loop: Header=BB17_19 Depth=1
	s_or_b32 exec_lo, exec_lo, s8
	v_dual_sub_f32 v177, v177, v7 :: v_dual_add_nc_u32 v180, 0x4000, v142
	v_add_nc_u32_e32 v179, 0x4400, v142
	s_wait_dscnt 0x0
	s_barrier_signal -1
	s_barrier_wait -1
	ds_load_2addr_b64 v[36:39], v180 offset1:24
	ds_load_b128 v[100:103], v147
	ds_load_b128 v[96:99], v147 offset:16
	ds_load_b128 v[92:95], v147 offset:32
	;; [unrolled: 1-line block ×3, first 2 shown]
	ds_load_2addr_b64 v[32:35], v180 offset0:48 offset1:72
	ds_load_2addr_b64 v[28:31], v180 offset0:96 offset1:120
	ds_load_b128 v[84:87], v147 offset:64
	ds_load_b128 v[80:83], v147 offset:80
	ds_load_2addr_b64 v[24:27], v180 offset0:144 offset1:168
	ds_load_b128 v[76:79], v147 offset:96
	ds_load_b128 v[72:75], v147 offset:112
	v_dual_sub_f32 v185, v8, v0 :: v_dual_sub_f32 v186, v13, v1
	v_dual_sub_f32 v184, v12, v2 :: v_dual_sub_f32 v183, v11, v3
	;; [unrolled: 1-line block ×3, first 2 shown]
	ds_load_2addr_b64 v[20:23], v180 offset0:192 offset1:216
	v_add_nc_u32_e32 v178, 0x4800, v142
	ds_load_b128 v[68:71], v147 offset:128
	ds_load_b128 v[64:67], v147 offset:144
	ds_load_2addr_b64 v[16:19], v179 offset0:112 offset1:136
	ds_load_b128 v[60:63], v147 offset:160
	ds_load_b128 v[52:55], v147 offset:176
	ds_load_2addr_b64 v[12:15], v178 offset0:32 offset1:56
	;; [unrolled: 3-line block ×3, first 2 shown]
	ds_load_b128 v[44:47], v147 offset:224
	ds_load_b128 v[40:43], v147 offset:240
	v_sub_f32_e32 v176, v176, v6
	s_or_b32 s52, s22, 16
	v_cmp_ngt_f32_e64 s15, 0xc2ce8ed0, v185
	s_ashr_i32 s53, s52, 31
	v_cmp_nlt_f32_e64 s10, 0x42b17218, v185
	s_mul_u64 s[52:53], s[52:53], s[26:27]
	v_cmp_ngt_f32_e64 s16, 0xc2ce8ed0, v186
	v_cmp_nlt_f32_e64 s11, 0x42b17218, v186
	v_cmp_ngt_f32_e64 s9, 0xc2ce8ed0, v184
	v_cmp_nlt_f32_e64 s7, 0x42b17218, v184
	;; [unrolled: 2-line block ×7, first 2 shown]
	s_lshl_b64 s[52:53], s[52:53], 2
	s_wait_dscnt 0x0
	s_add_nc_u64 s[52:53], s[48:49], s[52:53]
	s_barrier_signal -1
	s_barrier_wait -1
	s_and_saveexec_b32 s23, s4
	s_cbranch_execz .LBB17_33
; %bb.32:                               ;   in Loop: Header=BB17_19 Depth=1
	v_lshl_add_u64 v[188:189], v[122:123], 2, s[52:53]
	v_mov_b32_e32 v117, v105
	s_delay_alu instid0(VALU_DEP_1)
	v_add_nc_u64_e32 v[188:189], v[188:189], v[116:117]
	global_load_b128 v[188:191], v[188:189], off offset:128
	s_wait_loadcnt 0x0
	ds_store_b128 v156, v[188:191]
.LBB17_33:                              ;   in Loop: Header=BB17_19 Depth=1
	s_or_b32 exec_lo, exec_lo, s23
	s_and_saveexec_b32 s23, s5
	s_cbranch_execz .LBB17_35
; %bb.34:                               ;   in Loop: Header=BB17_19 Depth=1
	v_lshl_add_u64 v[188:189], v[124:125], 2, s[52:53]
	v_mov_b32_e32 v135, v105
	s_delay_alu instid0(VALU_DEP_1)
	v_add_nc_u64_e32 v[134:135], v[188:189], v[134:135]
	global_load_b128 v[188:191], v[134:135], off
	s_wait_loadcnt 0x0
	ds_store_b128 v153, v[188:191]
.LBB17_35:                              ;   in Loop: Header=BB17_19 Depth=1
	s_or_b32 exec_lo, exec_lo, s23
	v_dual_lshrrev_b32 v228, 16, v52 :: v_dual_lshrrev_b32 v229, 16, v53
	v_and_b32_e32 v232, 0xffff, v52
	v_and_b32_e32 v233, 0xffff, v53
	v_dual_mul_f32 v52, 0x3fb8aa3b, v185 :: v_dual_mul_f32 v53, 0x3fb8aa3b, v186
	v_dual_lshrrev_b32 v230, 16, v54 :: v_dual_lshrrev_b32 v231, 16, v55
	v_and_b32_e32 v234, 0xffff, v54
	v_and_b32_e32 v235, 0xffff, v55
	v_dual_lshrrev_b32 v240, 16, v48 :: v_dual_lshrrev_b32 v241, 16, v49
	v_and_b32_e32 v244, 0xffff, v48
	v_and_b32_e32 v245, 0xffff, v49
	v_fma_f32 v48, 0x3fb8aa3b, v185, -v52
	v_rndne_f32_e32 v49, v52
	v_fma_f32 v54, 0x3fb8aa3b, v186, -v53
	v_rndne_f32_e32 v55, v53
	v_mul_f32_e32 v246, 0x3fb8aa3b, v184
	v_dual_lshrrev_b32 v242, 16, v50 :: v_dual_lshrrev_b32 v243, 16, v51
	s_delay_alu instid0(VALU_DEP_3) | instskip(SKIP_1) | instid1(VALU_DEP_4)
	v_dual_fmac_f32 v54, 0x32a5705f, v186 :: v_dual_sub_f32 v53, v53, v55
	v_fmac_f32_e32 v48, 0x32a5705f, v185
	v_fma_f32 v185, 0x3fb8aa3b, v184, -v246
	v_sub_f32_e32 v52, v52, v49
	v_cvt_i32_f32_e32 v49, v49
	v_add_f32_e32 v53, v53, v54
	v_dual_lshrrev_b32 v135, 16, v102 :: v_dual_lshrrev_b32 v187, 16, v103
	v_fmac_f32_e32 v185, 0x32a5705f, v184
	v_add_f32_e32 v48, v52, v48
	v_rndne_f32_e32 v52, v246
	v_exp_f32_e32 v53, v53
	v_and_b32_e32 v102, 0xffff, v102
	v_dual_lshrrev_b32 v117, 16, v100 :: v_dual_lshrrev_b32 v134, 16, v101
	s_delay_alu instid0(VALU_DEP_3)
	v_sub_f32_e32 v246, v246, v52
	v_mul_f32_e32 v186, 0x3fb8aa3b, v183
	v_and_b32_e32 v100, 0xffff, v100
	v_and_b32_e32 v101, 0xffff, v101
	;; [unrolled: 1-line block ×3, first 2 shown]
	v_add_f32_e32 v185, v246, v185
	v_fma_f32 v54, 0x3fb8aa3b, v183, -v186
	v_rndne_f32_e32 v184, v186
	v_mul_u32_u24_e32 v102, 0x10001, v102
	v_dual_lshrrev_b32 v188, 16, v96 :: v_dual_lshrrev_b32 v189, 16, v97
	s_delay_alu instid0(VALU_DEP_3)
	v_dual_fmac_f32 v54, 0x32a5705f, v183 :: v_dual_sub_f32 v183, v186, v184
	v_and_b32_e32 v186, 0xffff, v50
	v_cvt_i32_f32_e32 v50, v55
	v_exp_f32_e32 v55, v185
	v_dual_lshrrev_b32 v190, 16, v98 :: v_dual_lshrrev_b32 v191, 16, v99
	v_add_f32_e32 v54, v183, v54
	v_exp_f32_e32 v48, v48
	v_ldexp_f32 v50, v53, v50
	v_and_b32_e32 v183, 0xffff, v51
	v_cvt_i32_f32_e32 v51, v184
	v_and_b32_e32 v96, 0xffff, v96
	v_and_b32_e32 v97, 0xffff, v97
	;; [unrolled: 1-line block ×3, first 2 shown]
	v_ldexp_f32 v48, v48, v49
	v_cvt_i32_f32_e32 v49, v52
	v_exp_f32_e32 v52, v54
	v_mul_u32_u24_e32 v100, 0x10001, v100
	v_mul_u32_u24_e32 v117, 0x10001, v117
	;; [unrolled: 1-line block ×3, first 2 shown]
	v_ldexp_f32 v53, v55, v49
	v_cndmask_b32_e64 v49, 0, v50, s16
	v_mul_f32_e32 v50, 0x3fb8aa3b, v181
	v_ldexp_f32 v51, v52, v51
	v_mul_f32_e32 v52, 0x3fb8aa3b, v182
	v_dual_cndmask_b32 v48, 0, v48, s15 :: v_dual_cndmask_b32 v53, 0, v53, s9
	s_delay_alu instid0(VALU_DEP_4) | instskip(SKIP_1) | instid1(VALU_DEP_4)
	v_fma_f32 v54, 0x3fb8aa3b, v181, -v50
	v_cndmask_b32_e64 v49, 0x7f800000, v49, s11
	v_fma_f32 v184, 0x3fb8aa3b, v182, -v52
	v_rndne_f32_e32 v185, v52
	v_cndmask_b32_e64 v48, 0x7f800000, v48, s10
	v_fmac_f32_e32 v54, 0x32a5705f, v181
	v_mul_f32_e32 v181, 0x3fb8aa3b, v176
	v_rndne_f32_e32 v55, v50
	v_fmac_f32_e32 v184, 0x32a5705f, v182
	v_sub_f32_e32 v52, v52, v185
	v_mul_f32_e32 v182, 0x3fb8aa3b, v177
	v_mul_u32_u24_e32 v134, 0x10001, v134
	v_sub_f32_e32 v50, v50, v55
	s_delay_alu instid0(VALU_DEP_4) | instskip(SKIP_2) | instid1(VALU_DEP_4)
	v_dual_cndmask_b32 v51, 0, v51, s8 :: v_dual_add_f32 v52, v52, v184
	v_rndne_f32_e32 v184, v181
	v_fma_f32 v246, 0x3fb8aa3b, v177, -v182
	v_add_f32_e32 v50, v50, v54
	v_fma_f32 v54, 0x3fb8aa3b, v176, -v181
	v_rndne_f32_e32 v247, v182
	v_cvt_i32_f32_e32 v55, v55
	v_fmac_f32_e32 v246, 0x32a5705f, v177
	v_exp_f32_e32 v248, v50
	v_nop
	v_sub_f32_e32 v50, v181, v184
	v_exp_f32_e32 v52, v52
	v_fmac_f32_e32 v54, 0x32a5705f, v176
	v_cvt_i32_f32_e32 v177, v185
	v_cndmask_b32_e64 v51, 0x7f800000, v51, s6
	v_mul_u32_u24_e32 v135, 0x10001, v135
	v_mul_u32_u24_e32 v103, 0x10001, v103
	v_and_b32_e32 v99, 0xffff, v99
	v_ldexp_f32 v52, v52, v177
	v_add_f32_e32 v54, v50, v54
	v_cndmask_b32_e64 v50, 0x7f800000, v53, s7
	v_ldexp_f32 v53, v248, v55
	s_delay_alu instid0(VALU_DEP_4) | instskip(NEXT) | instid1(VALU_DEP_4)
	v_dual_sub_f32 v176, v182, v247 :: v_dual_cndmask_b32 v181, 0, v52, s21
	v_exp_f32_e32 v54, v54
	v_cvt_i32_f32_e32 v177, v247
	s_delay_alu instid0(VALU_DEP_2) | instskip(SKIP_2) | instid1(VALU_DEP_3)
	v_dual_cndmask_b32 v53, 0, v53, s20 :: v_dual_add_f32 v176, v176, v246
	v_cvt_f16_f32_e64 v182, v51
	v_dual_lshrrev_b32 v192, 16, v92 :: v_dual_lshrrev_b32 v193, 16, v93
	v_cndmask_b32_e64 v52, 0x7f800000, v53, s17
	s_delay_alu instid0(VALU_DEP_4)
	v_exp_f32_e32 v55, v176
	v_nop
	v_cvt_i32_f32_e32 v176, v184
	v_cndmask_b32_e64 v53, 0x7f800000, v181, s18
	v_cvt_f16_f32_e64 v181, v50
	v_and_b32_e32 v92, 0xffff, v92
	v_and_b32_e32 v93, 0xffff, v93
	v_ldexp_f32 v54, v54, v176
	v_ldexp_f32 v55, v55, v177
	v_cvt_f16_f32_e64 v176, v48
	v_cvt_f16_f32_e64 v177, v49
	v_and_b32_e32 v181, 0xffff, v181
	s_delay_alu instid0(VALU_DEP_4) | instskip(NEXT) | instid1(VALU_DEP_4)
	v_dual_cndmask_b32 v54, 0, v54, s19 :: v_dual_cndmask_b32 v55, 0, v55, s14
	v_and_b32_e32 v176, 0xffff, v176
	s_delay_alu instid0(VALU_DEP_4) | instskip(SKIP_1) | instid1(VALU_DEP_4)
	v_and_b32_e32 v177, 0xffff, v177
	v_mul_u32_u24_e32 v96, 0x10001, v96
	v_cndmask_b32_e64 v54, 0x7f800000, v54, s12
	v_cndmask_b32_e64 v55, 0x7f800000, v55, s13
	v_mul_u32_u24_e32 v176, 0x10001, v176
	v_mul_u32_u24_e32 v177, 0x10001, v177
	;; [unrolled: 1-line block ×4, first 2 shown]
	v_cvt_f16_f32_e64 v184, v55
	v_pk_mul_f16 v169, v169, v176
	v_pk_mul_f16 v170, v170, v176
	v_mul_u32_u24_e32 v176, 0x10001, v181
	v_and_b32_e32 v181, 0xffff, v182
	v_pk_mul_f16 v167, v167, v177
	v_pk_mul_f16 v168, v168, v177
	v_cvt_f16_f32_e64 v177, v52
	v_cvt_f16_f32_e64 v182, v53
	v_pk_mul_f16 v166, v166, v176
	v_mul_u32_u24_e32 v181, 0x10001, v181
	v_pk_mul_f16 v165, v165, v176
	v_and_b32_e32 v176, 0xffff, v177
	v_cvt_f16_f32_e64 v177, v54
	v_and_b32_e32 v182, 0xffff, v182
	v_pk_mul_f16 v164, v164, v181
	v_pk_mul_f16 v163, v163, v181
	v_mul_u32_u24_e32 v176, 0x10001, v176
	v_and_b32_e32 v177, 0xffff, v177
	v_mul_u32_u24_e32 v181, 0x10001, v182
	v_and_b32_e32 v182, 0xffff, v184
	v_pk_fma_f16 v169, v36, v100, v169
	v_pk_mul_f16 v161, v161, v176
	v_mul_u32_u24_e32 v177, 0x10001, v177
	v_pk_mul_f16 v162, v162, v176
	v_mul_u32_u24_e32 v176, 0x10001, v182
	v_pk_mul_f16 v159, v159, v181
	v_pk_fma_f16 v161, v36, v102, v161
	v_pk_mul_f16 v154, v154, v177
	v_pk_mul_f16 v155, v155, v177
	;; [unrolled: 1-line block ×3, first 2 shown]
	v_pk_fma_f16 v102, v37, v102, v162
	v_mul_u32_u24_e32 v162, 0x10001, v187
	v_pk_mul_f16 v160, v160, v181
	v_pk_mul_f16 v148, v148, v176
	v_pk_fma_f16 v100, v37, v100, v170
	v_pk_fma_f16 v167, v36, v117, v167
	;; [unrolled: 1-line block ×11, first 2 shown]
	v_mul_u32_u24_e32 v149, 0x10001, v188
	v_mul_u32_u24_e32 v155, 0x10001, v189
	v_dual_lshrrev_b32 v194, 16, v94 :: v_dual_lshrrev_b32 v195, 16, v95
	v_and_b32_e32 v94, 0xffff, v94
	v_and_b32_e32 v95, 0xffff, v95
	v_dual_lshrrev_b32 v196, 16, v88 :: v_dual_lshrrev_b32 v197, 16, v89
	v_and_b32_e32 v88, 0xffff, v88
	v_pk_fma_f16 v135, v37, v135, v160
	v_pk_fma_f16 v37, v37, v162, v148
	;; [unrolled: 1-line block ×10, first 2 shown]
	v_mul_u32_u24_e32 v155, 0x10001, v190
	v_pk_fma_f16 v160, v38, v98, v161
	v_mul_u32_u24_e32 v99, 0x10001, v99
	v_pk_fma_f16 v98, v39, v98, v102
	v_mul_u32_u24_e32 v102, 0x10001, v191
	v_mul_u32_u24_e32 v92, 0x10001, v92
	;; [unrolled: 1-line block ×4, first 2 shown]
	v_dual_lshrrev_b32 v198, 16, v90 :: v_dual_lshrrev_b32 v199, 16, v91
	v_and_b32_e32 v89, 0xffff, v89
	v_and_b32_e32 v90, 0xffff, v90
	;; [unrolled: 1-line block ×3, first 2 shown]
	v_dual_lshrrev_b32 v200, 16, v84 :: v_dual_lshrrev_b32 v201, 16, v85
	v_and_b32_e32 v84, 0xffff, v84
	v_pk_fma_f16 v159, v38, v155, v159
	v_pk_fma_f16 v135, v39, v155, v135
	;; [unrolled: 1-line block ×12, first 2 shown]
	v_mul_u32_u24_e32 v97, 0x10001, v193
	v_mul_u32_u24_e32 v94, 0x10001, v94
	;; [unrolled: 1-line block ×6, first 2 shown]
	v_dual_lshrrev_b32 v202, 16, v86 :: v_dual_lshrrev_b32 v203, 16, v87
	v_and_b32_e32 v85, 0xffff, v85
	v_and_b32_e32 v86, 0xffff, v86
	;; [unrolled: 1-line block ×3, first 2 shown]
	v_dual_lshrrev_b32 v204, 16, v80 :: v_dual_lshrrev_b32 v205, 16, v81
	v_and_b32_e32 v80, 0xffff, v80
	v_mul_u32_u24_e32 v165, 0x10001, v196
	v_mul_u32_u24_e32 v89, 0x10001, v89
	;; [unrolled: 1-line block ×8, first 2 shown]
	v_pk_fma_f16 v101, v32, v97, v101
	v_pk_fma_f16 v160, v32, v94, v160
	v_pk_fma_f16 v159, v32, v149, v159
	v_pk_fma_f16 v154, v32, v95, v154
	v_pk_fma_f16 v32, v32, v164, v36
	v_pk_fma_f16 v36, v33, v97, v134
	v_pk_fma_f16 v94, v33, v94, v98
	v_pk_fma_f16 v97, v33, v149, v135
	v_pk_fma_f16 v95, v33, v95, v99
	v_pk_fma_f16 v33, v33, v164, v37
	v_pk_fma_f16 v37, v34, v88, v148
	v_dual_lshrrev_b32 v206, 16, v82 :: v_dual_lshrrev_b32 v207, 16, v83
	v_and_b32_e32 v81, 0xffff, v81
	v_and_b32_e32 v82, 0xffff, v82
	v_and_b32_e32 v83, 0xffff, v83
	v_dual_lshrrev_b32 v208, 16, v76 :: v_dual_lshrrev_b32 v209, 16, v77
	v_and_b32_e32 v76, 0xffff, v76
	v_mul_u32_u24_e32 v169, 0x10001, v200
	v_mul_u32_u24_e32 v85, 0x10001, v85
	v_mul_u32_u24_e32 v170, 0x10001, v201
	v_mul_u32_u24_e32 v86, 0x10001, v86
	v_mul_u32_u24_e32 v176, 0x10001, v202
	v_mul_u32_u24_e32 v87, 0x10001, v87
	v_mul_u32_u24_e32 v177, 0x10001, v203
	v_mul_u32_u24_e32 v80, 0x10001, v80
	v_pk_fma_f16 v96, v34, v165, v96
	v_pk_fma_f16 v98, v34, v89, v117
	v_pk_fma_f16 v99, v34, v166, v101
	v_pk_fma_f16 v101, v34, v90, v160
	v_pk_fma_f16 v117, v34, v167, v159
	v_pk_fma_f16 v134, v34, v91, v154
	v_pk_fma_f16 v32, v34, v168, v32
	v_pk_fma_f16 v34, v35, v88, v92
	v_pk_fma_f16 v88, v35, v165, v100
	v_pk_fma_f16 v89, v35, v89, v93
	v_pk_fma_f16 v36, v35, v166, v36
	v_pk_fma_f16 v90, v35, v90, v94
	v_pk_fma_f16 v92, v35, v167, v97
	v_pk_fma_f16 v91, v35, v91, v95
	v_pk_fma_f16 v33, v35, v168, v33
	v_pk_fma_f16 v35, v28, v84, v37
	v_dual_lshrrev_b32 v210, 16, v78 :: v_dual_lshrrev_b32 v211, 16, v79
	v_and_b32_e32 v77, 0xffff, v77
	v_and_b32_e32 v78, 0xffff, v78
	v_and_b32_e32 v79, 0xffff, v79
	v_dual_lshrrev_b32 v212, 16, v72 :: v_dual_lshrrev_b32 v213, 16, v73
	v_and_b32_e32 v72, 0xffff, v72
	v_mul_u32_u24_e32 v181, 0x10001, v204
	v_mul_u32_u24_e32 v81, 0x10001, v81
	v_mul_u32_u24_e32 v182, 0x10001, v205
	v_mul_u32_u24_e32 v82, 0x10001, v82
	v_mul_u32_u24_e32 v184, 0x10001, v206
	v_mul_u32_u24_e32 v83, 0x10001, v83
	v_mul_u32_u24_e32 v185, 0x10001, v207
	v_mul_u32_u24_e32 v76, 0x10001, v76
	v_pk_fma_f16 v37, v28, v169, v96
	v_pk_fma_f16 v93, v28, v85, v98
	v_pk_fma_f16 v94, v28, v170, v99
	v_pk_fma_f16 v95, v28, v86, v101
	v_pk_fma_f16 v96, v28, v176, v117
	;; [unrolled: 30-line block ×5, first 2 shown]
	v_pk_fma_f16 v79, v26, v75, v85
	v_pk_fma_f16 v24, v26, v194, v24
	;; [unrolled: 1-line block ×11, first 2 shown]
	v_dual_lshrrev_b32 v226, 16, v62 :: v_dual_lshrrev_b32 v227, 16, v63
	v_and_b32_e32 v61, 0xffff, v61
	v_and_b32_e32 v62, 0xffff, v62
	v_and_b32_e32 v63, 0xffff, v63
	v_mul_u32_u24_e32 v199, 0x10001, v220
	v_mul_u32_u24_e32 v65, 0x10001, v65
	v_mul_u32_u24_e32 v200, 0x10001, v221
	v_mul_u32_u24_e32 v66, 0x10001, v66
	v_mul_u32_u24_e32 v201, 0x10001, v222
	v_mul_u32_u24_e32 v67, 0x10001, v67
	v_mul_u32_u24_e32 v202, 0x10001, v223
	v_mul_u32_u24_e32 v60, 0x10001, v60
	v_pk_fma_f16 v29, v20, v195, v31
	v_pk_fma_f16 v31, v20, v69, v33
	;; [unrolled: 1-line block ×16, first 2 shown]
	v_dual_lshrrev_b32 v236, 16, v56 :: v_dual_lshrrev_b32 v237, 16, v57
	v_and_b32_e32 v56, 0xffff, v56
	v_mul_u32_u24_e32 v203, 0x10001, v224
	v_mul_u32_u24_e32 v61, 0x10001, v61
	;; [unrolled: 1-line block ×8, first 2 shown]
	v_pk_fma_f16 v27, v22, v199, v29
	v_pk_fma_f16 v29, v22, v65, v31
	;; [unrolled: 1-line block ×16, first 2 shown]
	v_dual_lshrrev_b32 v238, 16, v58 :: v_dual_lshrrev_b32 v239, 16, v59
	v_and_b32_e32 v57, 0xffff, v57
	v_and_b32_e32 v58, 0xffff, v58
	;; [unrolled: 1-line block ×3, first 2 shown]
	v_mul_u32_u24_e32 v208, 0x10001, v228
	v_mul_u32_u24_e32 v209, 0x10001, v233
	;; [unrolled: 1-line block ×8, first 2 shown]
	v_pk_fma_f16 v25, v16, v203, v27
	v_pk_fma_f16 v27, v16, v61, v29
	;; [unrolled: 1-line block ×16, first 2 shown]
	v_lshrrev_b32_e32 v38, 16, v44
	v_and_b32_e32 v44, 0xffff, v44
	v_mul_u32_u24_e32 v215, 0x10001, v236
	v_mul_u32_u24_e32 v57, 0x10001, v57
	;; [unrolled: 1-line block ×8, first 2 shown]
	v_pk_fma_f16 v23, v18, v208, v25
	v_pk_fma_f16 v25, v18, v209, v27
	v_pk_fma_f16 v27, v18, v210, v29
	v_pk_fma_f16 v29, v18, v211, v31
	v_pk_fma_f16 v31, v18, v212, v33
	v_pk_fma_f16 v33, v18, v213, v35
	v_pk_fma_f16 v16, v18, v214, v16
	v_pk_fma_f16 v18, v19, v207, v20
	v_pk_fma_f16 v20, v19, v208, v22
	v_pk_fma_f16 v22, v19, v209, v24
	v_pk_fma_f16 v24, v19, v210, v26
	v_pk_fma_f16 v26, v19, v211, v28
	v_pk_fma_f16 v28, v19, v212, v30
	v_pk_fma_f16 v30, v19, v213, v32
	v_pk_fma_f16 v17, v19, v214, v17
	v_pk_fma_f16 v19, v12, v56, v21
	v_dual_lshrrev_b32 v39, 16, v45 :: v_dual_lshrrev_b32 v102, 16, v46
	v_lshrrev_b32_e32 v103, 16, v47
	v_and_b32_e32 v45, 0xffff, v45
	v_and_b32_e32 v46, 0xffff, v46
	;; [unrolled: 1-line block ×3, first 2 shown]
	v_lshrrev_b32_e32 v155, 16, v40
	v_and_b32_e32 v40, 0xffff, v40
	v_mul_u32_u24_e32 v220, 0x10001, v240
	v_mul_u32_u24_e32 v221, 0x10001, v245
	;; [unrolled: 1-line block ×8, first 2 shown]
	v_pk_fma_f16 v21, v12, v215, v23
	v_pk_fma_f16 v23, v12, v57, v25
	;; [unrolled: 1-line block ×16, first 2 shown]
	v_mul_u32_u24_e32 v38, 0x10001, v38
	v_mul_u32_u24_e32 v45, 0x10001, v45
	;; [unrolled: 1-line block ×8, first 2 shown]
	v_pk_fma_f16 v19, v14, v220, v21
	v_pk_fma_f16 v21, v14, v221, v23
	v_pk_fma_f16 v23, v14, v222, v25
	v_pk_fma_f16 v25, v14, v186, v27
	v_pk_fma_f16 v27, v14, v223, v29
	v_pk_fma_f16 v29, v14, v183, v31
	v_pk_fma_f16 v12, v14, v224, v12
	v_pk_fma_f16 v14, v15, v219, v16
	v_pk_fma_f16 v16, v15, v220, v18
	v_pk_fma_f16 v18, v15, v221, v20
	v_pk_fma_f16 v20, v15, v222, v22
	v_pk_fma_f16 v22, v15, v186, v24
	v_pk_fma_f16 v24, v15, v223, v26
	v_pk_fma_f16 v26, v15, v183, v28
	v_pk_fma_f16 v13, v15, v224, v13
	v_pk_fma_f16 v15, v8, v44, v17
	v_pk_fma_f16 v17, v8, v38, v19
	v_pk_fma_f16 v19, v8, v45, v21
	v_pk_fma_f16 v21, v8, v39, v23
	v_pk_fma_f16 v23, v8, v46, v25
	v_pk_fma_f16 v25, v8, v102, v27
	v_pk_fma_f16 v27, v8, v47, v29
	v_pk_fma_f16 v8, v8, v103, v12
	v_pk_fma_f16 v28, v9, v44, v14
	v_pk_fma_f16 v16, v9, v38, v16
	v_pk_fma_f16 v18, v9, v45, v18
	v_pk_fma_f16 v20, v9, v39, v20
	v_pk_fma_f16 v22, v9, v46, v22
	v_pk_fma_f16 v24, v9, v102, v24
	v_pk_fma_f16 v26, v9, v47, v26
	v_pk_fma_f16 v9, v9, v103, v13
	v_pk_fma_f16 v29, v10, v40, v15
	s_wait_dscnt 0x0
	s_barrier_signal -1
	s_barrier_wait -1
	ds_load_b128 v[12:15], v147 offset:256
	v_dual_lshrrev_b32 v161, 16, v41 :: v_dual_lshrrev_b32 v162, 16, v42
	v_lshrrev_b32_e32 v163, 16, v43
	v_and_b32_e32 v41, 0xffff, v41
	v_and_b32_e32 v42, 0xffff, v42
	;; [unrolled: 1-line block ×3, first 2 shown]
	v_mul_u32_u24_e32 v155, 0x10001, v155
	v_mul_u32_u24_e32 v161, 0x10001, v161
	;; [unrolled: 1-line block ×7, first 2 shown]
	v_pk_fma_f16 v30, v10, v155, v17
	v_pk_fma_f16 v31, v10, v41, v19
	;; [unrolled: 1-line block ×15, first 2 shown]
	ds_load_2addr_b64 v[8:11], v180 offset1:24
	ds_load_b128 v[16:19], v147 offset:272
	ds_load_b128 v[20:23], v147 offset:288
	;; [unrolled: 1-line block ×3, first 2 shown]
	s_wait_dscnt 0x4
	v_lshrrev_b32_e32 v44, 16, v12
	v_and_b32_e32 v12, 0xffff, v12
	v_dual_lshrrev_b32 v45, 16, v13 :: v_dual_lshrrev_b32 v46, 16, v14
	v_lshrrev_b32_e32 v47, 16, v15
	v_and_b32_e32 v13, 0xffff, v13
	v_and_b32_e32 v14, 0xffff, v14
	;; [unrolled: 1-line block ×3, first 2 shown]
	v_mul_u32_u24_e32 v12, 0x10001, v12
	v_mul_u32_u24_e32 v44, 0x10001, v44
	;; [unrolled: 1-line block ×8, first 2 shown]
	s_wait_dscnt 0x3
	v_pk_fma_f16 v29, v8, v12, v29
	v_pk_fma_f16 v30, v8, v44, v30
	;; [unrolled: 1-line block ×15, first 2 shown]
	s_wait_dscnt 0x2
	v_lshrrev_b32_e32 v15, 16, v16
	v_and_b32_e32 v16, 0xffff, v16
	v_dual_lshrrev_b32 v39, 16, v17 :: v_dual_lshrrev_b32 v40, 16, v18
	v_lshrrev_b32_e32 v41, 16, v19
	v_and_b32_e32 v17, 0xffff, v17
	v_and_b32_e32 v18, 0xffff, v18
	;; [unrolled: 1-line block ×3, first 2 shown]
	v_mul_u32_u24_e32 v16, 0x10001, v16
	v_mul_u32_u24_e32 v15, 0x10001, v15
	;; [unrolled: 1-line block ×8, first 2 shown]
	v_pk_fma_f16 v29, v10, v16, v29
	v_pk_fma_f16 v30, v10, v15, v30
	;; [unrolled: 1-line block ×12, first 2 shown]
	ds_load_2addr_b64 v[12:15], v180 offset0:48 offset1:72
	v_pk_fma_f16 v9, v9, v47, v43
	v_pk_fma_f16 v28, v11, v39, v36
	;; [unrolled: 1-line block ×4, first 2 shown]
	s_wait_dscnt 0x2
	v_lshrrev_b32_e32 v37, 16, v21
	v_pk_fma_f16 v9, v11, v41, v9
	v_lshrrev_b32_e32 v11, 16, v20
	v_and_b32_e32 v20, 0xffff, v20
	v_dual_lshrrev_b32 v38, 16, v22 :: v_dual_lshrrev_b32 v39, 16, v23
	v_and_b32_e32 v21, 0xffff, v21
	v_and_b32_e32 v22, 0xffff, v22
	;; [unrolled: 1-line block ×3, first 2 shown]
	v_mul_u32_u24_e32 v20, 0x10001, v20
	v_mul_u32_u24_e32 v11, 0x10001, v11
	;; [unrolled: 1-line block ×8, first 2 shown]
	s_wait_dscnt 0x0
	v_pk_fma_f16 v29, v12, v20, v29
	v_pk_fma_f16 v30, v12, v11, v30
	;; [unrolled: 1-line block ×16, first 2 shown]
	v_dual_lshrrev_b32 v8, 16, v24 :: v_dual_lshrrev_b32 v10, 16, v25
	v_and_b32_e32 v9, 0xffff, v24
	v_dual_lshrrev_b32 v11, 16, v26 :: v_dual_lshrrev_b32 v19, 16, v27
	v_and_b32_e32 v24, 0xffff, v25
	v_pk_fma_f32 v[108:109], v[108:109], v[54:55], v[132:133]
	s_delay_alu instid0(VALU_DEP_4)
	v_mul_u32_u24_e32 v25, 0x10001, v9
	v_and_b32_e32 v9, 0xffff, v26
	v_mul_u32_u24_e32 v26, 0x10001, v8
	v_and_b32_e32 v8, 0xffff, v27
	v_mul_u32_u24_e32 v27, 0x10001, v10
	v_mul_u32_u24_e32 v36, 0x10001, v11
	v_mul_u32_u24_e32 v28, 0x10001, v9
	v_mul_u32_u24_e32 v24, 0x10001, v24
	v_mul_u32_u24_e32 v37, 0x10001, v8
	ds_load_b128 v[8:11], v147 offset:320
	v_mul_u32_u24_e32 v38, 0x10001, v19
	v_pk_fma_f16 v29, v14, v25, v29
	v_pk_fma_f16 v30, v14, v26, v30
	;; [unrolled: 1-line block ×14, first 2 shown]
	ds_load_2addr_b64 v[16:19], v180 offset0:96 offset1:120
	v_pk_fma_f16 v23, v15, v37, v23
	v_pk_fma_f16 v27, v15, v38, v13
	ds_load_b128 v[12:15], v147 offset:336
	s_wait_dscnt 0x2
	v_dual_lshrrev_b32 v28, 16, v8 :: v_dual_lshrrev_b32 v36, 16, v9
	v_and_b32_e32 v8, 0xffff, v8
	v_and_b32_e32 v9, 0xffff, v9
	v_dual_lshrrev_b32 v37, 16, v10 :: v_dual_lshrrev_b32 v38, 16, v11
	v_and_b32_e32 v10, 0xffff, v10
	s_delay_alu instid0(VALU_DEP_4)
	v_mul_u32_u24_e32 v8, 0x10001, v8
	v_and_b32_e32 v11, 0xffff, v11
	v_mul_u32_u24_e32 v9, 0x10001, v9
	v_mul_u32_u24_e32 v28, 0x10001, v28
	;; [unrolled: 1-line block ×7, first 2 shown]
	s_wait_dscnt 0x1
	v_pk_fma_f16 v29, v16, v8, v29
	v_pk_fma_f16 v31, v16, v9, v31
	;; [unrolled: 1-line block ×4, first 2 shown]
	s_wait_dscnt 0x0
	v_lshrrev_b32_e32 v8, 16, v12
	v_and_b32_e32 v9, 0xffff, v12
	v_pk_fma_f16 v33, v16, v10, v33
	v_pk_fma_f16 v35, v16, v11, v35
	;; [unrolled: 1-line block ×8, first 2 shown]
	v_dual_lshrrev_b32 v10, 16, v13 :: v_dual_lshrrev_b32 v11, 16, v14
	v_lshrrev_b32_e32 v12, 16, v15
	v_mul_u32_u24_e32 v27, 0x10001, v9
	v_and_b32_e32 v9, 0xffff, v14
	v_mul_u32_u24_e32 v14, 0x10001, v8
	v_and_b32_e32 v8, 0xffff, v15
	v_pk_fma_f16 v30, v16, v28, v30
	v_pk_fma_f16 v32, v16, v36, v32
	;; [unrolled: 1-line block ×3, first 2 shown]
	v_and_b32_e32 v13, 0xffff, v13
	v_mul_u32_u24_e32 v15, 0x10001, v10
	v_mul_u32_u24_e32 v28, 0x10001, v9
	;; [unrolled: 1-line block ×4, first 2 shown]
	ds_load_b128 v[8:11], v147 offset:352
	v_pk_fma_f16 v16, v16, v38, v39
	v_mul_u32_u24_e32 v13, 0x10001, v13
	v_mul_u32_u24_e32 v38, 0x10001, v12
	v_pk_fma_f16 v29, v18, v27, v29
	v_pk_fma_f16 v30, v18, v14, v30
	v_pk_fma_f16 v32, v18, v15, v32
	v_pk_fma_f16 v31, v18, v13, v31
	v_pk_fma_f16 v33, v18, v28, v33
	v_pk_fma_f16 v34, v18, v36, v34
	v_pk_fma_f16 v35, v18, v37, v35
	v_pk_fma_f16 v39, v18, v38, v16
	v_pk_fma_f16 v20, v19, v27, v20
	v_pk_fma_f16 v25, v19, v14, v25
	v_pk_fma_f16 v24, v19, v13, v24
	v_pk_fma_f16 v21, v19, v15, v21
	v_pk_fma_f16 v26, v19, v28, v26
	v_pk_fma_f16 v22, v19, v36, v22
	ds_load_2addr_b64 v[12:15], v180 offset0:144 offset1:168
	v_pk_fma_f16 v23, v19, v37, v23
	v_pk_fma_f16 v27, v19, v38, v17
	ds_load_b128 v[16:19], v147 offset:368
	s_wait_dscnt 0x2
	v_dual_lshrrev_b32 v28, 16, v8 :: v_dual_lshrrev_b32 v36, 16, v9
	v_and_b32_e32 v8, 0xffff, v8
	v_and_b32_e32 v9, 0xffff, v9
	v_dual_lshrrev_b32 v37, 16, v10 :: v_dual_lshrrev_b32 v38, 16, v11
	v_and_b32_e32 v10, 0xffff, v10
	s_delay_alu instid0(VALU_DEP_4)
	v_mul_u32_u24_e32 v8, 0x10001, v8
	v_and_b32_e32 v11, 0xffff, v11
	v_mul_u32_u24_e32 v9, 0x10001, v9
	v_mul_u32_u24_e32 v28, 0x10001, v28
	;; [unrolled: 1-line block ×7, first 2 shown]
	s_wait_dscnt 0x1
	v_pk_fma_f16 v29, v12, v8, v29
	v_pk_fma_f16 v31, v12, v9, v31
	;; [unrolled: 1-line block ×4, first 2 shown]
	s_wait_dscnt 0x0
	v_lshrrev_b32_e32 v8, 16, v16
	v_and_b32_e32 v9, 0xffff, v16
	v_pk_fma_f16 v33, v12, v10, v33
	v_pk_fma_f16 v35, v12, v11, v35
	;; [unrolled: 1-line block ×8, first 2 shown]
	v_dual_lshrrev_b32 v10, 16, v17 :: v_dual_lshrrev_b32 v11, 16, v18
	v_lshrrev_b32_e32 v16, 16, v19
	v_mul_u32_u24_e32 v27, 0x10001, v9
	v_and_b32_e32 v9, 0xffff, v18
	v_mul_u32_u24_e32 v18, 0x10001, v8
	v_and_b32_e32 v8, 0xffff, v19
	v_pk_fma_f16 v30, v12, v28, v30
	v_pk_fma_f16 v32, v12, v36, v32
	;; [unrolled: 1-line block ×3, first 2 shown]
	v_and_b32_e32 v17, 0xffff, v17
	v_mul_u32_u24_e32 v19, 0x10001, v10
	v_mul_u32_u24_e32 v28, 0x10001, v9
	;; [unrolled: 1-line block ×4, first 2 shown]
	ds_load_b128 v[8:11], v147 offset:384
	v_pk_fma_f16 v12, v12, v38, v39
	v_mul_u32_u24_e32 v17, 0x10001, v17
	v_mul_u32_u24_e32 v38, 0x10001, v16
	v_pk_fma_f16 v29, v14, v27, v29
	v_pk_fma_f16 v30, v14, v18, v30
	;; [unrolled: 1-line block ×14, first 2 shown]
	ds_load_2addr_b64 v[16:19], v180 offset0:192 offset1:216
	v_pk_fma_f16 v23, v15, v37, v23
	v_pk_fma_f16 v27, v15, v38, v13
	ds_load_b128 v[12:15], v147 offset:400
	s_wait_dscnt 0x2
	v_dual_lshrrev_b32 v28, 16, v8 :: v_dual_lshrrev_b32 v36, 16, v9
	v_and_b32_e32 v8, 0xffff, v8
	v_and_b32_e32 v9, 0xffff, v9
	v_dual_lshrrev_b32 v37, 16, v10 :: v_dual_lshrrev_b32 v38, 16, v11
	v_and_b32_e32 v10, 0xffff, v10
	s_delay_alu instid0(VALU_DEP_4)
	v_mul_u32_u24_e32 v8, 0x10001, v8
	v_and_b32_e32 v11, 0xffff, v11
	v_mul_u32_u24_e32 v9, 0x10001, v9
	v_mul_u32_u24_e32 v28, 0x10001, v28
	;; [unrolled: 1-line block ×7, first 2 shown]
	s_wait_dscnt 0x1
	v_pk_fma_f16 v29, v16, v8, v29
	v_pk_fma_f16 v31, v16, v9, v31
	;; [unrolled: 1-line block ×4, first 2 shown]
	s_wait_dscnt 0x0
	v_lshrrev_b32_e32 v8, 16, v12
	v_and_b32_e32 v9, 0xffff, v12
	v_pk_fma_f16 v33, v16, v10, v33
	v_pk_fma_f16 v35, v16, v11, v35
	;; [unrolled: 1-line block ×8, first 2 shown]
	v_dual_lshrrev_b32 v10, 16, v13 :: v_dual_lshrrev_b32 v11, 16, v14
	v_lshrrev_b32_e32 v12, 16, v15
	v_mul_u32_u24_e32 v27, 0x10001, v9
	v_and_b32_e32 v9, 0xffff, v14
	v_mul_u32_u24_e32 v14, 0x10001, v8
	v_and_b32_e32 v8, 0xffff, v15
	v_pk_fma_f16 v30, v16, v28, v30
	v_pk_fma_f16 v32, v16, v36, v32
	v_pk_fma_f16 v34, v16, v37, v34
	v_and_b32_e32 v13, 0xffff, v13
	v_mul_u32_u24_e32 v15, 0x10001, v10
	v_mul_u32_u24_e32 v28, 0x10001, v9
	;; [unrolled: 1-line block ×4, first 2 shown]
	ds_load_b128 v[8:11], v147 offset:416
	v_pk_fma_f16 v16, v16, v38, v39
	v_mul_u32_u24_e32 v13, 0x10001, v13
	v_mul_u32_u24_e32 v38, 0x10001, v12
	v_pk_fma_f16 v29, v18, v27, v29
	v_pk_fma_f16 v30, v18, v14, v30
	;; [unrolled: 1-line block ×14, first 2 shown]
	ds_load_2addr_b64 v[12:15], v179 offset0:112 offset1:136
	v_pk_fma_f16 v23, v19, v37, v23
	v_pk_fma_f16 v27, v19, v38, v17
	ds_load_b128 v[16:19], v147 offset:432
	s_wait_dscnt 0x2
	v_dual_lshrrev_b32 v28, 16, v8 :: v_dual_lshrrev_b32 v36, 16, v9
	v_and_b32_e32 v8, 0xffff, v8
	v_and_b32_e32 v9, 0xffff, v9
	v_dual_lshrrev_b32 v37, 16, v10 :: v_dual_lshrrev_b32 v38, 16, v11
	v_and_b32_e32 v10, 0xffff, v10
	s_delay_alu instid0(VALU_DEP_4)
	v_mul_u32_u24_e32 v8, 0x10001, v8
	v_and_b32_e32 v11, 0xffff, v11
	v_mul_u32_u24_e32 v9, 0x10001, v9
	v_mul_u32_u24_e32 v28, 0x10001, v28
	;; [unrolled: 1-line block ×7, first 2 shown]
	s_wait_dscnt 0x1
	v_pk_fma_f16 v29, v12, v8, v29
	v_pk_fma_f16 v31, v12, v9, v31
	;; [unrolled: 1-line block ×4, first 2 shown]
	s_wait_dscnt 0x0
	v_lshrrev_b32_e32 v8, 16, v16
	v_and_b32_e32 v9, 0xffff, v16
	v_pk_fma_f16 v33, v12, v10, v33
	v_pk_fma_f16 v35, v12, v11, v35
	v_pk_fma_f16 v25, v13, v28, v25
	v_pk_fma_f16 v21, v13, v36, v21
	v_pk_fma_f16 v26, v13, v10, v26
	v_pk_fma_f16 v22, v13, v37, v22
	v_pk_fma_f16 v23, v13, v11, v23
	v_pk_fma_f16 v13, v13, v38, v27
	v_dual_lshrrev_b32 v10, 16, v17 :: v_dual_lshrrev_b32 v11, 16, v18
	v_lshrrev_b32_e32 v16, 16, v19
	v_mul_u32_u24_e32 v27, 0x10001, v9
	v_and_b32_e32 v9, 0xffff, v18
	v_mul_u32_u24_e32 v18, 0x10001, v8
	v_and_b32_e32 v8, 0xffff, v19
	v_pk_fma_f16 v30, v12, v28, v30
	v_pk_fma_f16 v32, v12, v36, v32
	;; [unrolled: 1-line block ×3, first 2 shown]
	v_and_b32_e32 v17, 0xffff, v17
	v_mul_u32_u24_e32 v19, 0x10001, v10
	v_mul_u32_u24_e32 v28, 0x10001, v9
	;; [unrolled: 1-line block ×4, first 2 shown]
	ds_load_b128 v[8:11], v147 offset:448
	v_pk_fma_f16 v12, v12, v38, v39
	v_mul_u32_u24_e32 v17, 0x10001, v17
	v_mul_u32_u24_e32 v38, 0x10001, v16
	v_pk_fma_f16 v29, v14, v27, v29
	v_pk_fma_f16 v30, v14, v18, v30
	;; [unrolled: 1-line block ×14, first 2 shown]
	ds_load_2addr_b64 v[16:19], v178 offset0:32 offset1:56
	v_pk_fma_f16 v23, v15, v37, v23
	v_pk_fma_f16 v27, v15, v38, v13
	ds_load_b128 v[12:15], v147 offset:464
	s_wait_dscnt 0x2
	v_dual_lshrrev_b32 v28, 16, v8 :: v_dual_lshrrev_b32 v36, 16, v9
	v_and_b32_e32 v8, 0xffff, v8
	v_and_b32_e32 v9, 0xffff, v9
	v_dual_lshrrev_b32 v37, 16, v10 :: v_dual_lshrrev_b32 v38, 16, v11
	v_and_b32_e32 v10, 0xffff, v10
	s_delay_alu instid0(VALU_DEP_4)
	v_mul_u32_u24_e32 v8, 0x10001, v8
	v_and_b32_e32 v11, 0xffff, v11
	v_mul_u32_u24_e32 v9, 0x10001, v9
	v_mul_u32_u24_e32 v28, 0x10001, v28
	;; [unrolled: 1-line block ×7, first 2 shown]
	s_wait_dscnt 0x1
	v_pk_fma_f16 v29, v16, v8, v29
	v_pk_fma_f16 v31, v16, v9, v31
	v_pk_fma_f16 v20, v17, v8, v20
	v_pk_fma_f16 v24, v17, v9, v24
	s_wait_dscnt 0x0
	v_lshrrev_b32_e32 v8, 16, v12
	v_and_b32_e32 v9, 0xffff, v12
	v_pk_fma_f16 v33, v16, v10, v33
	v_pk_fma_f16 v35, v16, v11, v35
	;; [unrolled: 1-line block ×8, first 2 shown]
	v_dual_lshrrev_b32 v10, 16, v13 :: v_dual_lshrrev_b32 v11, 16, v14
	v_lshrrev_b32_e32 v12, 16, v15
	v_mul_u32_u24_e32 v27, 0x10001, v9
	v_and_b32_e32 v9, 0xffff, v14
	v_mul_u32_u24_e32 v14, 0x10001, v8
	v_and_b32_e32 v8, 0xffff, v15
	v_pk_fma_f16 v30, v16, v28, v30
	v_pk_fma_f16 v32, v16, v36, v32
	;; [unrolled: 1-line block ×3, first 2 shown]
	v_and_b32_e32 v13, 0xffff, v13
	v_mul_u32_u24_e32 v15, 0x10001, v10
	v_mul_u32_u24_e32 v28, 0x10001, v9
	;; [unrolled: 1-line block ×4, first 2 shown]
	ds_load_b128 v[8:11], v147 offset:480
	v_pk_fma_f16 v16, v16, v38, v39
	v_mul_u32_u24_e32 v13, 0x10001, v13
	v_mul_u32_u24_e32 v38, 0x10001, v12
	v_pk_fma_f16 v29, v18, v27, v29
	v_pk_fma_f16 v30, v18, v14, v30
	;; [unrolled: 1-line block ×14, first 2 shown]
	ds_load_2addr_b64 v[12:15], v178 offset0:80 offset1:104
	v_pk_fma_f16 v23, v19, v37, v23
	v_pk_fma_f16 v27, v19, v38, v17
	ds_load_b128 v[16:19], v147 offset:496
	s_wait_dscnt 0x0
	s_barrier_signal -1
	s_barrier_wait -1
	s_load_b32 s6, s[50:51], 0x4
	v_dual_lshrrev_b32 v28, 16, v8 :: v_dual_lshrrev_b32 v36, 16, v9
	v_and_b32_e32 v8, 0xffff, v8
	v_dual_lshrrev_b32 v37, 16, v10 :: v_dual_lshrrev_b32 v38, 16, v11
	v_and_b32_e32 v9, 0xffff, v9
	v_and_b32_e32 v10, 0xffff, v10
	v_and_b32_e32 v11, 0xffff, v11
	v_mul_u32_u24_e32 v8, 0x10001, v8
	v_mul_u32_u24_e32 v28, 0x10001, v28
	;; [unrolled: 1-line block ×8, first 2 shown]
	v_pk_fma_f16 v29, v12, v8, v29
	v_pk_fma_f16 v31, v12, v9, v31
	;; [unrolled: 1-line block ×9, first 2 shown]
	v_dual_lshrrev_b32 v23, 16, v16 :: v_dual_lshrrev_b32 v24, 16, v17
	v_and_b32_e32 v16, 0xffff, v16
	v_and_b32_e32 v17, 0xffff, v17
	v_dual_lshrrev_b32 v25, 16, v18 :: v_dual_lshrrev_b32 v26, 16, v19
	v_and_b32_e32 v18, 0xffff, v18
	v_and_b32_e32 v19, 0xffff, v19
	v_pk_fma_f16 v30, v12, v28, v30
	v_pk_fma_f16 v32, v12, v36, v32
	;; [unrolled: 1-line block ×7, first 2 shown]
	v_mul_u32_u24_e32 v16, 0x10001, v16
	v_mul_u32_u24_e32 v23, 0x10001, v23
	;; [unrolled: 1-line block ×8, first 2 shown]
	s_wait_kmcnt 0x0
	s_lshl_b32 s6, s6, 5
	v_pk_fma_f32 v[110:111], v[110:111], v[52:53], v[130:131]
	v_pk_fma_f32 v[112:113], v[112:113], v[50:51], v[128:129]
	;; [unrolled: 1-line block ×3, first 2 shown]
	v_pk_fma_f16 v169, v14, v16, v29
	v_pk_fma_f16 v167, v14, v23, v30
	;; [unrolled: 1-line block ×16, first 2 shown]
	s_add_co_i32 s22, s6, s22
	s_delay_alu instid0(SALU_CYCLE_1)
	s_cmp_ge_i32 s22, s42
	s_cbranch_scc1 .LBB17_37
; %bb.36:                               ;   in Loop: Header=BB17_19 Depth=1
	v_dual_mov_b32 v8, v0 :: v_dual_mov_b32 v13, v1
	v_dual_mov_b32 v12, v2 :: v_dual_mov_b32 v11, v3
	;; [unrolled: 1-line block ×4, first 2 shown]
	s_branch .LBB17_19
.LBB17_37:
	v_mov_b32_e32 v8, v144
.LBB17_38:
	v_cmp_lt_i32_e32 vcc_lo, v171, v143
	s_cmp_lg_u64 s[24:25], 0
	s_cselect_b32 s3, -1, 0
	s_cmp_eq_u32 s43, 0
	v_cndmask_b32_e32 v9, v8, v171, vcc_lo
	v_cmp_lt_i32_e32 vcc_lo, v172, v143
	s_cselect_b32 s4, -1, 0
	s_delay_alu instid0(SALU_CYCLE_1) | instskip(NEXT) | instid1(VALU_DEP_2)
	s_and_b32 s3, s4, s3
	v_lshlrev_b32_e32 v9, 2, v9
	ds_bpermute_b32 v10, v9, v106
	ds_bpermute_b32 v11, v9, v107
	;; [unrolled: 1-line block ×8, first 2 shown]
	v_cndmask_b32_e32 v9, v8, v172, vcc_lo
	v_cmp_lt_i32_e32 vcc_lo, v173, v143
	s_delay_alu instid0(VALU_DEP_2)
	v_lshlrev_b32_e32 v9, 2, v9
	s_wait_dscnt 0x6
	v_pk_add_f32 v[10:11], v[106:107], v[10:11]
	s_wait_dscnt 0x4
	v_pk_add_f32 v[12:13], v[112:113], v[12:13]
	;; [unrolled: 2-line block ×3, first 2 shown]
	ds_bpermute_b32 v18, v9, v10
	s_wait_dscnt 0x1
	v_pk_add_f32 v[16:17], v[108:109], v[16:17]
	ds_bpermute_b32 v19, v9, v11
	ds_bpermute_b32 v20, v9, v12
	ds_bpermute_b32 v21, v9, v13
	ds_bpermute_b32 v22, v9, v14
	ds_bpermute_b32 v23, v9, v15
	ds_bpermute_b32 v24, v9, v16
	ds_bpermute_b32 v25, v9, v17
	v_cndmask_b32_e32 v9, v8, v173, vcc_lo
	v_cmp_lt_i32_e32 vcc_lo, v174, v143
	s_delay_alu instid0(VALU_DEP_2)
	v_lshlrev_b32_e32 v9, 2, v9
	s_wait_dscnt 0x6
	v_pk_add_f32 v[10:11], v[10:11], v[18:19]
	s_wait_dscnt 0x4
	v_pk_add_f32 v[12:13], v[12:13], v[20:21]
	;; [unrolled: 2-line block ×3, first 2 shown]
	ds_bpermute_b32 v18, v9, v10
	s_wait_dscnt 0x1
	v_pk_add_f32 v[16:17], v[16:17], v[24:25]
	ds_bpermute_b32 v19, v9, v11
	ds_bpermute_b32 v20, v9, v12
	ds_bpermute_b32 v21, v9, v13
	ds_bpermute_b32 v22, v9, v14
	ds_bpermute_b32 v23, v9, v15
	ds_bpermute_b32 v24, v9, v16
	ds_bpermute_b32 v25, v9, v17
	v_cndmask_b32_e32 v9, v8, v174, vcc_lo
	v_cmp_lt_i32_e32 vcc_lo, v175, v143
	s_delay_alu instid0(VALU_DEP_2) | instskip(SKIP_1) | instid1(VALU_DEP_1)
	v_dual_cndmask_b32 v8, v8, v175 :: v_dual_lshlrev_b32 v9, 2, v9
	s_and_b32 vcc_lo, exec_lo, s3
	v_lshlrev_b32_e32 v26, 2, v8
	s_wait_dscnt 0x6
	v_pk_add_f32 v[10:11], v[10:11], v[18:19]
	s_wait_dscnt 0x4
	v_pk_add_f32 v[12:13], v[12:13], v[20:21]
	;; [unrolled: 2-line block ×3, first 2 shown]
	ds_bpermute_b32 v18, v9, v10
	s_wait_dscnt 0x1
	v_pk_add_f32 v[16:17], v[16:17], v[24:25]
	ds_bpermute_b32 v19, v9, v11
	ds_bpermute_b32 v20, v9, v12
	;; [unrolled: 1-line block ×7, first 2 shown]
	s_wait_dscnt 0x6
	v_pk_add_f32 v[8:9], v[10:11], v[18:19]
	s_wait_dscnt 0x4
	v_pk_add_f32 v[10:11], v[12:13], v[20:21]
	;; [unrolled: 2-line block ×3, first 2 shown]
	ds_bpermute_b32 v12, v26, v8
	s_wait_dscnt 0x1
	v_pk_add_f32 v[16:17], v[16:17], v[24:25]
	ds_bpermute_b32 v13, v26, v9
	ds_bpermute_b32 v20, v26, v10
	;; [unrolled: 1-line block ×7, first 2 shown]
	s_wait_dscnt 0x6
	v_pk_add_f32 v[14:15], v[8:9], v[12:13]
	s_wait_dscnt 0x4
	v_pk_add_f32 v[12:13], v[10:11], v[20:21]
	;; [unrolled: 2-line block ×4, first 2 shown]
	s_cbranch_vccz .LBB17_40
; %bb.39:
	s_ashr_i32 s35, s34, 31
	v_dual_mov_b32 v16, 0 :: v_dual_max_num_f32 v17, v1, v1
	s_lshl_b64 s[4:5], s[34:35], 2
	v_dual_max_num_f32 v19, v3, v3 :: v_dual_max_num_f32 v20, v4, v4
	s_add_nc_u64 s[4:5], s[24:25], s[4:5]
	v_max_num_f32_e32 v18, v2, v2
	global_load_b128 v[24:27], v16, s[4:5]
	s_wait_xcnt 0x0
	v_dual_max_num_f32 v16, v0, v0 :: v_dual_max_num_f32 v21, v5, v5
	s_wait_loadcnt 0x0
	v_dual_max_num_f32 v22, v6, v6 :: v_dual_max_num_f32 v23, v24, v24
	v_dual_max_num_f32 v28, v25, v25 :: v_dual_max_num_f32 v29, v26, v26
	v_max_num_f32_e32 v30, v27, v27
	v_max_num_f32_e32 v31, v7, v7
	s_delay_alu instid0(VALU_DEP_3) | instskip(NEXT) | instid1(VALU_DEP_3)
	v_dual_max_num_f32 v16, v16, v23 :: v_dual_max_num_f32 v17, v17, v28
	v_dual_max_num_f32 v18, v18, v29 :: v_dual_max_num_f32 v19, v19, v30
	s_delay_alu instid0(VALU_DEP_3) | instskip(NEXT) | instid1(VALU_DEP_3)
	v_dual_max_num_f32 v20, v20, v23 :: v_dual_max_num_f32 v23, v31, v30
	v_sub_f32_e32 v0, v0, v16
	v_dual_max_num_f32 v21, v21, v28 :: v_dual_max_num_f32 v22, v22, v29
	v_dual_sub_f32 v28, v24, v16 :: v_dual_sub_f32 v1, v1, v17
	v_dual_sub_f32 v29, v25, v17 :: v_dual_sub_f32 v30, v2, v18
	s_delay_alu instid0(VALU_DEP_4)
	v_dual_sub_f32 v41, v27, v23 :: v_dual_mul_f32 v2, 0x3fb8aa3b, v0
	v_dual_sub_f32 v31, v26, v18 :: v_dual_sub_f32 v32, v3, v19
	v_dual_sub_f32 v35, v24, v20 :: v_dual_sub_f32 v36, v5, v21
	v_mul_f32_e32 v3, 0x3fb8aa3b, v28
	v_mul_f32_e32 v5, 0x3fb8aa3b, v29
	v_fma_f32 v48, 0x3fb8aa3b, v0, -v2
	v_rndne_f32_e32 v49, v2
	v_dual_sub_f32 v33, v27, v19 :: v_dual_sub_f32 v34, v4, v20
	v_dual_sub_f32 v37, v25, v21 :: v_dual_sub_f32 v38, v6, v22
	;; [unrolled: 1-line block ×3, first 2 shown]
	v_mul_f32_e32 v4, 0x3fb8aa3b, v1
	v_dual_mul_f32 v6, 0x3fb8aa3b, v30 :: v_dual_mul_f32 v7, 0x3fb8aa3b, v31
	v_mul_f32_e32 v24, 0x3fb8aa3b, v32
	v_fma_f32 v50, 0x3fb8aa3b, v28, -v3
	v_rndne_f32_e32 v51, v3
	v_rndne_f32_e32 v55, v5
	v_fmac_f32_e32 v48, 0x32a5705f, v0
	v_sub_f32_e32 v2, v2, v49
	v_dual_mul_f32 v25, 0x3fb8aa3b, v33 :: v_dual_mul_f32 v26, 0x3fb8aa3b, v34
	v_dual_mul_f32 v27, 0x3fb8aa3b, v35 :: v_dual_mul_f32 v42, 0x3fb8aa3b, v36
	v_fma_f32 v52, 0x3fb8aa3b, v1, -v4
	v_rndne_f32_e32 v53, v4
	v_fma_f32 v54, 0x3fb8aa3b, v29, -v5
	v_fma_f32 v58, 0x3fb8aa3b, v31, -v7
	v_rndne_f32_e32 v59, v7
	v_dual_fmac_f32 v50, 0x32a5705f, v28 :: v_dual_sub_f32 v3, v3, v51
	v_sub_f32_e32 v5, v5, v55
	v_dual_mul_f32 v47, 0x3fb8aa3b, v41 :: v_dual_add_f32 v2, v2, v48
	v_dual_mul_f32 v43, 0x3fb8aa3b, v37 :: v_dual_mul_f32 v44, 0x3fb8aa3b, v38
	v_dual_mul_f32 v45, 0x3fb8aa3b, v39 :: v_dual_mul_f32 v46, 0x3fb8aa3b, v40
	v_fma_f32 v56, 0x3fb8aa3b, v30, -v6
	v_rndne_f32_e32 v57, v6
	v_fma_f32 v62, 0x3fb8aa3b, v33, -v25
	v_rndne_f32_e32 v63, v25
	v_rndne_f32_e32 v65, v26
	;; [unrolled: 1-line block ×3, first 2 shown]
	v_fmac_f32_e32 v52, 0x32a5705f, v1
	v_dual_sub_f32 v4, v4, v53 :: v_dual_sub_f32 v7, v7, v59
	v_dual_fmac_f32 v58, 0x32a5705f, v31 :: v_dual_add_f32 v3, v3, v50
	v_exp_f32_e32 v2, v2
	v_fma_f32 v60, 0x3fb8aa3b, v32, -v24
	v_rndne_f32_e32 v61, v24
	v_fma_f32 v66, 0x3fb8aa3b, v35, -v27
	v_fma_f32 v68, 0x3fb8aa3b, v36, -v42
	v_rndne_f32_e32 v69, v42
	v_rndne_f32_e32 v71, v43
	;; [unrolled: 1-line block ×4, first 2 shown]
	v_cvt_i32_f32_e32 v49, v49
	v_fmac_f32_e32 v54, 0x32a5705f, v29
	v_fmac_f32_e32 v56, 0x32a5705f, v30
	v_sub_f32_e32 v6, v6, v57
	v_dual_fmac_f32 v62, 0x32a5705f, v33 :: v_dual_add_f32 v7, v7, v58
	v_sub_f32_e32 v25, v25, v63
	v_fma_f32 v64, 0x3fb8aa3b, v34, -v26
	v_dual_sub_f32 v27, v27, v67 :: v_dual_sub_f32 v26, v26, v65
	v_add_f32_e32 v4, v4, v52
	v_exp_f32_e32 v3, v3
	v_fma_f32 v70, 0x3fb8aa3b, v37, -v43
	v_fma_f32 v74, 0x3fb8aa3b, v39, -v45
	;; [unrolled: 1-line block ×3, first 2 shown]
	v_cvt_i32_f32_e32 v51, v51
	v_dual_fmac_f32 v66, 0x32a5705f, v35 :: v_dual_add_f32 v25, v25, v62
	v_dual_fmac_f32 v68, 0x32a5705f, v36 :: v_dual_sub_f32 v43, v43, v71
	v_dual_fmac_f32 v60, 0x32a5705f, v32 :: v_dual_add_f32 v5, v5, v54
	v_sub_f32_e32 v45, v45, v75
	v_dual_sub_f32 v47, v47, v79 :: v_dual_sub_f32 v24, v24, v61
	v_add_f32_e32 v6, v6, v56
	v_sub_f32_e32 v42, v42, v69
	v_ldexp_f32 v2, v2, v49
	v_cmp_ngt_f32_e32 vcc_lo, 0xc2ce8ed0, v0
	v_exp_f32_e32 v4, v4
	v_cvt_i32_f32_e32 v53, v53
	v_dual_add_f32 v24, v24, v60 :: v_dual_add_f32 v27, v27, v66
	v_dual_add_f32 v42, v42, v68 :: v_dual_cndmask_b32 v2, 0, v2, vcc_lo
	v_ldexp_f32 v3, v3, v51
	v_cmp_ngt_f32_e32 vcc_lo, 0xc2ce8ed0, v28
	v_exp_f32_e32 v5, v5
	v_exp_f32_e32 v6, v6
	v_cvt_i32_f32_e32 v55, v55
	v_cvt_i32_f32_e32 v57, v57
	v_dual_fmac_f32 v64, 0x32a5705f, v34 :: v_dual_cndmask_b32 v3, 0, v3
	v_ldexp_f32 v4, v4, v53
	v_cmp_ngt_f32_e32 vcc_lo, 0xc2ce8ed0, v1
	v_fma_f32 v72, 0x3fb8aa3b, v38, -v44
	v_ldexp_f32 v5, v5, v55
	v_ldexp_f32 v6, v6, v57
	v_rndne_f32_e32 v73, v44
	v_cndmask_b32_e32 v4, 0, v4, vcc_lo
	v_cmp_ngt_f32_e32 vcc_lo, 0xc2ce8ed0, v29
	v_exp_f32_e32 v7, v7
	v_cvt_i32_f32_e32 v59, v59
	v_fmac_f32_e32 v72, 0x32a5705f, v38
	v_dual_sub_f32 v44, v44, v73 :: v_dual_add_f32 v26, v26, v64
	v_cndmask_b32_e32 v5, 0, v5, vcc_lo
	v_cmp_ngt_f32_e32 vcc_lo, 0xc2ce8ed0, v30
	v_exp_f32_e32 v24, v24
	v_cvt_i32_f32_e32 v61, v61
	v_ldexp_f32 v7, v7, v59
	v_exp_f32_e32 v25, v25
	v_cndmask_b32_e32 v6, 0, v6, vcc_lo
	v_cmp_ngt_f32_e32 vcc_lo, 0xc2ce8ed0, v31
	v_exp_f32_e32 v26, v26
	v_fma_f32 v76, 0x3fb8aa3b, v40, -v46
	v_rndne_f32_e32 v77, v46
	v_cvt_i32_f32_e32 v63, v63
	v_cvt_i32_f32_e32 v65, v65
	v_dual_fmac_f32 v78, 0x32a5705f, v41 :: v_dual_cndmask_b32 v7, 0, v7
	v_ldexp_f32 v24, v24, v61
	v_cmp_ngt_f32_e32 vcc_lo, 0xc2ce8ed0, v32
	s_delay_alu instid0(VALU_DEP_3)
	v_dual_fmac_f32 v76, 0x32a5705f, v40 :: v_dual_add_f32 v47, v47, v78
	v_dual_sub_f32 v46, v46, v77 :: v_dual_add_f32 v44, v44, v72
	v_ldexp_f32 v25, v25, v63
	v_ldexp_f32 v26, v26, v65
	v_cndmask_b32_e32 v24, 0, v24, vcc_lo
	v_cmp_ngt_f32_e32 vcc_lo, 0xc2ce8ed0, v33
	v_fmac_f32_e32 v74, 0x32a5705f, v39
	v_fmac_f32_e32 v70, 0x32a5705f, v37
	v_exp_f32_e32 v27, v27
	v_cvt_i32_f32_e32 v67, v67
	v_dual_add_f32 v46, v46, v76 :: v_dual_cndmask_b32 v25, 0, v25
	v_cmp_ngt_f32_e32 vcc_lo, 0xc2ce8ed0, v34
	v_add_f32_e32 v45, v45, v74
	v_add_f32_e32 v43, v43, v70
	v_exp_f32_e32 v42, v42
	v_cvt_i32_f32_e32 v69, v69
	v_ldexp_f32 v27, v27, v67
	v_cndmask_b32_e32 v26, 0, v26, vcc_lo
	v_cmp_ngt_f32_e32 vcc_lo, 0xc2ce8ed0, v35
	v_exp_f32_e32 v43, v43
	v_cvt_i32_f32_e32 v71, v71
	v_ldexp_f32 v42, v42, v69
	v_exp_f32_e32 v44, v44
	v_cndmask_b32_e32 v27, 0, v27, vcc_lo
	v_cmp_ngt_f32_e32 vcc_lo, 0xc2ce8ed0, v36
	v_cvt_i32_f32_e32 v73, v73
	v_ldexp_f32 v43, v43, v71
	v_exp_f32_e32 v45, v45
	v_cvt_i32_f32_e32 v75, v75
	v_cndmask_b32_e32 v42, 0, v42, vcc_lo
	v_cmp_ngt_f32_e32 vcc_lo, 0xc2ce8ed0, v37
	v_ldexp_f32 v44, v44, v73
	v_exp_f32_e32 v46, v46
	v_cvt_i32_f32_e32 v77, v77
	v_ldexp_f32 v45, v45, v75
	v_cndmask_b32_e32 v43, 0, v43, vcc_lo
	v_cmp_ngt_f32_e32 vcc_lo, 0xc2ce8ed0, v38
	v_exp_f32_e32 v47, v47
	v_cvt_i32_f32_e32 v79, v79
	v_ldexp_f32 v46, v46, v77
	v_cndmask_b32_e32 v44, 0, v44, vcc_lo
	v_cmp_ngt_f32_e32 vcc_lo, 0xc2ce8ed0, v39
	s_delay_alu instid0(TRANS32_DEP_1) | instid1(VALU_DEP_4)
	v_ldexp_f32 v47, v47, v79
	v_cndmask_b32_e32 v45, 0, v45, vcc_lo
	v_cmp_ngt_f32_e32 vcc_lo, 0xc2ce8ed0, v40
	v_cndmask_b32_e32 v46, 0, v46, vcc_lo
	v_cmp_ngt_f32_e32 vcc_lo, 0xc2ce8ed0, v41
	v_cndmask_b32_e32 v47, 0, v47, vcc_lo
	v_cmp_nlt_f32_e32 vcc_lo, 0x42b17218, v0
	v_cndmask_b32_e32 v0, 0x7f800000, v2, vcc_lo
	v_cmp_nlt_f32_e32 vcc_lo, 0x42b17218, v28
	;; [unrolled: 2-line block ×5, first 2 shown]
	s_delay_alu instid0(VALU_DEP_2)
	v_pk_fma_f32 v[14:15], v[14:15], v[0:1], v[2:3]
	v_cndmask_b32_e32 v4, 0x7f800000, v6, vcc_lo
	v_cmp_nlt_f32_e32 vcc_lo, 0x42b17218, v31
	v_cndmask_b32_e32 v6, 0x7f800000, v7, vcc_lo
	v_cmp_nlt_f32_e32 vcc_lo, 0x42b17218, v32
	v_cvt_f16_f32_e32 v32, v0
	v_cndmask_b32_e32 v5, 0x7f800000, v24, vcc_lo
	v_cmp_nlt_f32_e32 vcc_lo, 0x42b17218, v33
	v_cvt_f16_f32_e32 v33, v1
	s_delay_alu instid0(VALU_DEP_4)
	v_and_b32_e32 v0, 0xffff, v32
	v_cndmask_b32_e32 v7, 0x7f800000, v25, vcc_lo
	v_cmp_nlt_f32_e32 vcc_lo, 0x42b17218, v34
	v_cvt_f16_f32_e32 v34, v4
	v_and_b32_e32 v1, 0xffff, v33
	v_mul_u32_u24_e32 v0, 0x10001, v0
	v_pk_fma_f32 v[12:13], v[12:13], v[4:5], v[6:7]
	v_cndmask_b32_e32 v24, 0x7f800000, v26, vcc_lo
	v_cmp_nlt_f32_e32 vcc_lo, 0x42b17218, v35
	v_cvt_f16_f32_e32 v35, v5
	v_and_b32_e32 v2, 0xffff, v34
	v_mul_u32_u24_e32 v1, 0x10001, v1
	v_pk_mul_f16 v169, v169, v0
	v_cndmask_b32_e32 v26, 0x7f800000, v27, vcc_lo
	v_cmp_nlt_f32_e32 vcc_lo, 0x42b17218, v36
	v_cvt_f16_f32_e32 v36, v24
	v_and_b32_e32 v3, 0xffff, v35
	v_mul_u32_u24_e32 v2, 0x10001, v2
	v_pk_mul_f16 v170, v170, v0
	v_cndmask_b32_e32 v25, 0x7f800000, v42, vcc_lo
	v_cmp_nlt_f32_e32 vcc_lo, 0x42b17218, v37
	v_and_b32_e32 v4, 0xffff, v36
	v_mul_u32_u24_e32 v3, 0x10001, v3
	v_pk_mul_f16 v167, v167, v1
	v_cvt_f16_f32_e32 v37, v25
	v_cndmask_b32_e32 v27, 0x7f800000, v43, vcc_lo
	v_cmp_nlt_f32_e32 vcc_lo, 0x42b17218, v38
	v_mul_u32_u24_e32 v4, 0x10001, v4
	v_pk_mul_f16 v168, v168, v1
	v_and_b32_e32 v5, 0xffff, v37
	v_pk_mul_f16 v166, v166, v2
	v_cndmask_b32_e32 v28, 0x7f800000, v44, vcc_lo
	v_cmp_nlt_f32_e32 vcc_lo, 0x42b17218, v39
	v_pk_mul_f16 v165, v165, v2
	v_mul_u32_u24_e32 v5, 0x10001, v5
	v_pk_mul_f16 v164, v164, v3
	v_cvt_f16_f32_e32 v38, v28
	v_cndmask_b32_e32 v30, 0x7f800000, v45, vcc_lo
	v_cmp_nlt_f32_e32 vcc_lo, 0x42b17218, v40
	v_pk_mul_f16 v163, v163, v3
	v_pk_mul_f16 v161, v161, v4
	v_and_b32_e32 v6, 0xffff, v38
	v_pk_mul_f16 v162, v162, v4
	v_cndmask_b32_e32 v29, 0x7f800000, v46, vcc_lo
	v_cmp_nlt_f32_e32 vcc_lo, 0x42b17218, v41
	v_pk_mul_f16 v159, v159, v5
	v_mul_u32_u24_e32 v6, 0x10001, v6
	v_pk_mul_f16 v160, v160, v5
	v_cvt_f16_f32_e32 v39, v29
	v_cndmask_b32_e32 v31, 0x7f800000, v47, vcc_lo
	v_pk_fma_f32 v[10:11], v[10:11], v[24:25], v[26:27]
	v_pk_mul_f16 v154, v154, v6
	v_pk_mul_f16 v155, v155, v6
	v_and_b32_e32 v7, 0xffff, v39
	v_pk_fma_f32 v[8:9], v[8:9], v[28:29], v[30:31]
	s_delay_alu instid0(VALU_DEP_2) | instskip(NEXT) | instid1(VALU_DEP_1)
	v_mul_u32_u24_e32 v7, 0x10001, v7
	v_pk_mul_f16 v149, v149, v7
	v_pk_mul_f16 v148, v148, v7
	v_mov_b64_e32 v[0:1], v[16:17]
	v_mov_b64_e32 v[2:3], v[18:19]
	;; [unrolled: 1-line block ×4, first 2 shown]
.LBB17_40:
	v_lshlrev_b32_e32 v17, 1, v141
	s_mov_b32 s3, exec_lo
	s_delay_alu instid0(VALU_DEP_1) | instskip(NEXT) | instid1(VALU_DEP_1)
	v_add_nc_u32_e32 v16, s33, v17
	v_cmpx_gt_i32_e64 s38, v16
	s_cbranch_execz .LBB17_93
; %bb.41:
	s_load_b32 s0, s[0:1], 0xd4
	v_mov_b32_e32 v16, 1.0
	s_wait_kmcnt 0x0
	s_cmp_lg_u32 s0, 1
	s_cselect_b32 s3, -1, 0
	s_cmp_eq_u32 s0, 1
	s_cselect_b32 s4, -1, 0
	s_and_b32 vcc_lo, exec_lo, s3
	s_cbranch_vccnz .LBB17_43
; %bb.42:
	v_div_scale_f32 v16, null, v14, v14, 1.0
	s_delay_alu instid0(VALU_DEP_1) | instskip(SKIP_1) | instid1(TRANS32_DEP_1)
	v_rcp_f32_e32 v18, v16
	v_nop
	v_fma_f32 v19, -v16, v18, 1.0
	s_delay_alu instid0(VALU_DEP_1) | instskip(SKIP_1) | instid1(VALU_DEP_1)
	v_fmac_f32_e32 v18, v19, v18
	v_div_scale_f32 v19, vcc_lo, 1.0, v14, 1.0
	v_mul_f32_e32 v20, v19, v18
	s_delay_alu instid0(VALU_DEP_1) | instskip(NEXT) | instid1(VALU_DEP_1)
	v_fma_f32 v21, -v16, v20, v19
	v_fmac_f32_e32 v20, v21, v18
	s_delay_alu instid0(VALU_DEP_1) | instskip(NEXT) | instid1(VALU_DEP_1)
	v_fma_f32 v16, -v16, v20, v19
	v_div_fmas_f32 v16, v16, v18, v20
	s_delay_alu instid0(VALU_DEP_1)
	v_div_fixup_f32 v16, v16, v14, 1.0
.LBB17_43:
	s_mul_i32 s1, s40, s38
	s_delay_alu instid0(SALU_CYCLE_1) | instskip(NEXT) | instid1(SALU_CYCLE_1)
	s_add_co_i32 s1, s1, s33
	v_add_nc_u32_e32 v17, s1, v17
	s_delay_alu instid0(VALU_DEP_1) | instskip(NEXT) | instid1(VALU_DEP_1)
	v_mul_lo_u32 v17, v17, s39
	v_add_nc_u32_e32 v18, s34, v17
	s_delay_alu instid0(VALU_DEP_1)
	v_mad_u32 v18, s0, v18, s43
	s_and_saveexec_b32 s5, s2
	s_cbranch_execz .LBB17_45
; %bb.44:
	s_delay_alu instid0(VALU_DEP_1) | instskip(SKIP_4) | instid1(VALU_DEP_4)
	v_mad_u32 v22, 0x60, v18, v115
	v_dual_lshrrev_b32 v19, 16, v169 :: v_dual_lshrrev_b32 v25, 16, v170
	v_mov_b32_e32 v23, 0
	v_cvt_f32_f16_e64 v20, v169
	v_cvt_f32_f16_e64 v24, v170
	v_cvt_f32_f16_e32 v21, v19
	v_cvt_f32_f16_e32 v25, v25
	s_delay_alu instid0(VALU_DEP_2) | instskip(SKIP_1) | instid1(VALU_DEP_3)
	v_pk_mul_f32 v[20:21], v[16:17], v[20:21] op_sel_hi:[0,1]
	v_lshl_add_u64 v[26:27], v[22:23], 2, s[28:29]
	v_pk_mul_f32 v[22:23], v[16:17], v[24:25] op_sel_hi:[0,1]
	global_store_b128 v[26:27], v[20:23], off
.LBB17_45:
	s_wait_xcnt 0x0
	s_or_b32 exec_lo, exec_lo, s5
	v_cmp_eq_u32_e32 vcc_lo, 0, v140
	s_and_b32 s3, vcc_lo, s3
	s_delay_alu instid0(SALU_CYCLE_1)
	s_and_saveexec_b32 s5, s3
	s_cbranch_execz .LBB17_47
; %bb.46:
	v_dual_mov_b32 v20, v0 :: v_dual_mov_b32 v21, v14
	global_store_b64 v18, v[20:21], s[30:31] scale_offset
.LBB17_47:
	s_wait_xcnt 0x0
	s_or_b32 exec_lo, exec_lo, s5
	v_cndmask_b32_e64 v16, 0, 1, s4
	v_mov_b32_e32 v0, 1.0
	s_and_not1_b32 vcc_lo, exec_lo, s4
	s_cbranch_vccnz .LBB17_49
; %bb.48:
	v_div_scale_f32 v0, null, v15, v15, 1.0
	s_delay_alu instid0(VALU_DEP_1) | instskip(SKIP_1) | instid1(TRANS32_DEP_1)
	v_rcp_f32_e32 v14, v0
	v_nop
	v_fma_f32 v18, -v0, v14, 1.0
	s_delay_alu instid0(VALU_DEP_1) | instskip(SKIP_1) | instid1(VALU_DEP_1)
	v_fmac_f32_e32 v14, v18, v14
	v_div_scale_f32 v18, vcc_lo, 1.0, v15, 1.0
	v_mul_f32_e32 v19, v18, v14
	s_delay_alu instid0(VALU_DEP_1) | instskip(NEXT) | instid1(VALU_DEP_1)
	v_fma_f32 v20, -v0, v19, v18
	v_fmac_f32_e32 v19, v20, v14
	s_delay_alu instid0(VALU_DEP_1) | instskip(NEXT) | instid1(VALU_DEP_1)
	v_fma_f32 v0, -v0, v19, v18
	v_div_fmas_f32 v0, v0, v14, v19
	s_delay_alu instid0(VALU_DEP_1)
	v_div_fixup_f32 v0, v0, v15, 1.0
.LBB17_49:
	s_add_co_i32 s6, s34, 1
	s_delay_alu instid0(SALU_CYCLE_1) | instskip(NEXT) | instid1(VALU_DEP_1)
	v_add_nc_u32_e32 v14, s6, v17
	v_mad_u32 v18, s0, v14, s43
	s_and_saveexec_b32 s4, s2
	s_cbranch_execz .LBB17_51
; %bb.50:
	s_delay_alu instid0(VALU_DEP_1) | instskip(SKIP_4) | instid1(VALU_DEP_4)
	v_mad_u32 v22, 0x60, v18, v115
	v_dual_lshrrev_b32 v14, 16, v167 :: v_dual_lshrrev_b32 v19, 16, v168
	v_mov_b32_e32 v23, 0
	v_cvt_f32_f16_e64 v20, v167
	v_cvt_f32_f16_e64 v24, v168
	v_cvt_f32_f16_e32 v21, v14
	v_cvt_f32_f16_e32 v25, v19
	s_delay_alu instid0(VALU_DEP_2) | instskip(SKIP_1) | instid1(VALU_DEP_3)
	v_pk_mul_f32 v[20:21], v[0:1], v[20:21] op_sel_hi:[0,1]
	v_lshl_add_u64 v[26:27], v[22:23], 2, s[28:29]
	v_pk_mul_f32 v[22:23], v[0:1], v[24:25] op_sel_hi:[0,1]
	global_store_b128 v[26:27], v[20:23], off
.LBB17_51:
	s_wait_xcnt 0x0
	s_or_b32 exec_lo, exec_lo, s4
	s_and_saveexec_b32 s4, s3
	s_cbranch_execz .LBB17_53
; %bb.52:
	v_mov_b32_e32 v14, v1
	global_store_b64 v18, v[14:15], s[30:31] scale_offset
.LBB17_53:
	s_wait_xcnt 0x0
	s_or_b32 exec_lo, exec_lo, s4
	v_cmp_ne_u32_e32 vcc_lo, 1, v16
	v_mov_b32_e32 v0, 1.0
	s_cbranch_vccnz .LBB17_55
; %bb.54:
	v_div_scale_f32 v0, null, v12, v12, 1.0
	s_delay_alu instid0(VALU_DEP_1) | instskip(SKIP_1) | instid1(TRANS32_DEP_1)
	v_rcp_f32_e32 v1, v0
	v_nop
	v_fma_f32 v14, -v0, v1, 1.0
	s_delay_alu instid0(VALU_DEP_1) | instskip(SKIP_1) | instid1(VALU_DEP_1)
	v_fmac_f32_e32 v1, v14, v1
	v_div_scale_f32 v14, vcc_lo, 1.0, v12, 1.0
	v_mul_f32_e32 v15, v14, v1
	s_delay_alu instid0(VALU_DEP_1) | instskip(NEXT) | instid1(VALU_DEP_1)
	v_fma_f32 v18, -v0, v15, v14
	v_fmac_f32_e32 v15, v18, v1
	s_delay_alu instid0(VALU_DEP_1) | instskip(NEXT) | instid1(VALU_DEP_1)
	v_fma_f32 v0, -v0, v15, v14
	v_div_fmas_f32 v0, v0, v1, v15
	s_delay_alu instid0(VALU_DEP_1)
	v_div_fixup_f32 v0, v0, v12, 1.0
.LBB17_55:
	s_add_co_i32 s5, s34, 2
	s_delay_alu instid0(SALU_CYCLE_1) | instskip(NEXT) | instid1(VALU_DEP_1)
	v_add_nc_u32_e32 v1, s5, v17
	v_mad_u32 v1, s0, v1, s43
	s_and_saveexec_b32 s4, s2
	s_cbranch_execz .LBB17_57
; %bb.56:
	s_delay_alu instid0(VALU_DEP_1) | instskip(SKIP_4) | instid1(VALU_DEP_4)
	v_mad_u32 v14, 0x60, v1, v115
	v_dual_lshrrev_b32 v19, 16, v166 :: v_dual_lshrrev_b32 v21, 16, v165
	v_mov_b32_e32 v15, 0
	v_cvt_f32_f16_e64 v18, v166
	v_cvt_f32_f16_e64 v20, v165
	v_cvt_f32_f16_e32 v19, v19
	v_cvt_f32_f16_e32 v21, v21
	s_delay_alu instid0(VALU_DEP_2) | instskip(SKIP_1) | instid1(VALU_DEP_3)
	v_pk_mul_f32 v[18:19], v[0:1], v[18:19] op_sel_hi:[0,1]
	v_lshl_add_u64 v[14:15], v[14:15], 2, s[28:29]
	v_pk_mul_f32 v[20:21], v[0:1], v[20:21] op_sel_hi:[0,1]
	global_store_b128 v[14:15], v[18:21], off
.LBB17_57:
	s_wait_xcnt 0x0
	s_or_b32 exec_lo, exec_lo, s4
	s_and_saveexec_b32 s4, s3
	s_cbranch_execz .LBB17_59
; %bb.58:
	v_dual_mov_b32 v14, v2 :: v_dual_mov_b32 v15, v12
	global_store_b64 v1, v[14:15], s[30:31] scale_offset
.LBB17_59:
	s_wait_xcnt 0x0
	s_or_b32 exec_lo, exec_lo, s4
	v_cmp_ne_u32_e32 vcc_lo, 1, v16
	v_mov_b32_e32 v0, 1.0
	s_cbranch_vccnz .LBB17_61
; %bb.60:
	v_div_scale_f32 v0, null, v13, v13, 1.0
	s_delay_alu instid0(VALU_DEP_1) | instskip(SKIP_1) | instid1(TRANS32_DEP_1)
	v_rcp_f32_e32 v1, v0
	v_nop
	v_fma_f32 v2, -v0, v1, 1.0
	s_delay_alu instid0(VALU_DEP_1) | instskip(SKIP_1) | instid1(VALU_DEP_1)
	v_fmac_f32_e32 v1, v2, v1
	v_div_scale_f32 v2, vcc_lo, 1.0, v13, 1.0
	v_mul_f32_e32 v12, v2, v1
	s_delay_alu instid0(VALU_DEP_1) | instskip(NEXT) | instid1(VALU_DEP_1)
	v_fma_f32 v14, -v0, v12, v2
	v_fmac_f32_e32 v12, v14, v1
	s_delay_alu instid0(VALU_DEP_1) | instskip(NEXT) | instid1(VALU_DEP_1)
	v_fma_f32 v0, -v0, v12, v2
	v_div_fmas_f32 v0, v0, v1, v12
	s_delay_alu instid0(VALU_DEP_1)
	v_div_fixup_f32 v0, v0, v13, 1.0
.LBB17_61:
	s_add_co_i32 s4, s34, 3
	s_delay_alu instid0(SALU_CYCLE_1) | instskip(NEXT) | instid1(VALU_DEP_1)
	v_add_nc_u32_e32 v1, s4, v17
	v_mad_u32 v1, s0, v1, s43
	s_and_saveexec_b32 s7, s2
	s_cbranch_execz .LBB17_63
; %bb.62:
	s_delay_alu instid0(VALU_DEP_1) | instskip(SKIP_4) | instid1(VALU_DEP_4)
	v_mad_u32 v14, 0x60, v1, v115
	v_dual_lshrrev_b32 v2, 16, v164 :: v_dual_lshrrev_b32 v12, 16, v163
	v_mov_b32_e32 v15, 0
	v_cvt_f32_f16_e64 v18, v164
	v_cvt_f32_f16_e64 v20, v163
	v_cvt_f32_f16_e32 v19, v2
	v_cvt_f32_f16_e32 v21, v12
	s_delay_alu instid0(VALU_DEP_2) | instskip(SKIP_1) | instid1(VALU_DEP_3)
	v_pk_mul_f32 v[18:19], v[0:1], v[18:19] op_sel_hi:[0,1]
	v_lshl_add_u64 v[14:15], v[14:15], 2, s[28:29]
	v_pk_mul_f32 v[20:21], v[0:1], v[20:21] op_sel_hi:[0,1]
	global_store_b128 v[14:15], v[18:21], off
.LBB17_63:
	s_wait_xcnt 0x0
	s_or_b32 exec_lo, exec_lo, s7
	s_and_saveexec_b32 s7, s3
	s_cbranch_execz .LBB17_65
; %bb.64:
	v_mov_b32_e32 v12, v3
	global_store_b64 v1, v[12:13], s[30:31] scale_offset
.LBB17_65:
	s_wait_xcnt 0x0
	s_or_b32 exec_lo, exec_lo, s7
	v_add_nc_u32_e32 v0, s33, v139
	s_delay_alu instid0(VALU_DEP_1)
	v_cmp_gt_i32_e32 vcc_lo, s38, v0
	s_and_b32 exec_lo, exec_lo, vcc_lo
	s_cbranch_execz .LBB17_93
; %bb.66:
	v_cmp_ne_u32_e32 vcc_lo, 1, v16
	v_mov_b32_e32 v0, 1.0
	s_cbranch_vccnz .LBB17_68
; %bb.67:
	v_div_scale_f32 v0, null, v10, v10, 1.0
	s_delay_alu instid0(VALU_DEP_1) | instskip(SKIP_1) | instid1(TRANS32_DEP_1)
	v_rcp_f32_e32 v1, v0
	v_nop
	v_fma_f32 v2, -v0, v1, 1.0
	s_delay_alu instid0(VALU_DEP_1) | instskip(SKIP_1) | instid1(VALU_DEP_1)
	v_fmac_f32_e32 v1, v2, v1
	v_div_scale_f32 v2, vcc_lo, 1.0, v10, 1.0
	v_mul_f32_e32 v3, v2, v1
	s_delay_alu instid0(VALU_DEP_1) | instskip(NEXT) | instid1(VALU_DEP_1)
	v_fma_f32 v12, -v0, v3, v2
	v_fmac_f32_e32 v3, v12, v1
	s_delay_alu instid0(VALU_DEP_1) | instskip(NEXT) | instid1(VALU_DEP_1)
	v_fma_f32 v0, -v0, v3, v2
	v_div_fmas_f32 v0, v0, v1, v3
	s_delay_alu instid0(VALU_DEP_1)
	v_div_fixup_f32 v0, v0, v10, 1.0
.LBB17_68:
	v_add_nc_u32_e32 v1, s1, v139
	s_delay_alu instid0(VALU_DEP_1) | instskip(NEXT) | instid1(VALU_DEP_1)
	v_mad_u32 v1, v1, s39, s34
	v_mad_u32 v1, s0, v1, s43
	s_and_saveexec_b32 s7, s2
	s_cbranch_execz .LBB17_70
; %bb.69:
	s_delay_alu instid0(VALU_DEP_1) | instskip(SKIP_4) | instid1(VALU_DEP_4)
	v_mad_u32 v2, 0x60, v1, v115
	v_dual_lshrrev_b32 v13, 16, v161 :: v_dual_lshrrev_b32 v15, 16, v162
	v_mov_b32_e32 v3, 0
	v_cvt_f32_f16_e64 v12, v161
	v_cvt_f32_f16_e64 v14, v162
	v_cvt_f32_f16_e32 v13, v13
	v_cvt_f32_f16_e32 v15, v15
	s_delay_alu instid0(VALU_DEP_2) | instskip(SKIP_1) | instid1(VALU_DEP_3)
	v_pk_mul_f32 v[12:13], v[0:1], v[12:13] op_sel_hi:[0,1]
	v_lshl_add_u64 v[2:3], v[2:3], 2, s[28:29]
	v_pk_mul_f32 v[14:15], v[0:1], v[14:15] op_sel_hi:[0,1]
	global_store_b128 v[2:3], v[12:15], off
.LBB17_70:
	s_wait_xcnt 0x0
	s_or_b32 exec_lo, exec_lo, s7
	s_and_saveexec_b32 s7, s3
	s_cbranch_execz .LBB17_72
; %bb.71:
	v_dual_mov_b32 v2, v4 :: v_dual_mov_b32 v3, v10
	global_store_b64 v1, v[2:3], s[30:31] scale_offset
.LBB17_72:
	s_wait_xcnt 0x0
	s_or_b32 exec_lo, exec_lo, s7
	v_lshrrev_b32_e32 v1, 2, v138
	s_delay_alu instid0(VALU_DEP_1) | instskip(NEXT) | instid1(VALU_DEP_1)
	v_add_nc_u32_e32 v0, s33, v1
	v_cmp_gt_i32_e32 vcc_lo, s38, v0
	s_and_b32 exec_lo, exec_lo, vcc_lo
	s_cbranch_execz .LBB17_93
; %bb.73:
	v_cmp_ne_u32_e32 vcc_lo, 1, v16
	v_mov_b32_e32 v0, 1.0
	s_cbranch_vccnz .LBB17_75
; %bb.74:
	v_div_scale_f32 v0, null, v11, v11, 1.0
	s_delay_alu instid0(VALU_DEP_1) | instskip(SKIP_1) | instid1(TRANS32_DEP_1)
	v_rcp_f32_e32 v2, v0
	v_nop
	v_fma_f32 v3, -v0, v2, 1.0
	s_delay_alu instid0(VALU_DEP_1) | instskip(SKIP_1) | instid1(VALU_DEP_1)
	v_fmac_f32_e32 v2, v3, v2
	v_div_scale_f32 v3, vcc_lo, 1.0, v11, 1.0
	v_mul_f32_e32 v4, v3, v2
	s_delay_alu instid0(VALU_DEP_1) | instskip(NEXT) | instid1(VALU_DEP_1)
	v_fma_f32 v10, -v0, v4, v3
	v_fmac_f32_e32 v4, v10, v2
	s_delay_alu instid0(VALU_DEP_1) | instskip(NEXT) | instid1(VALU_DEP_1)
	v_fma_f32 v0, -v0, v4, v3
	v_div_fmas_f32 v0, v0, v2, v4
	s_delay_alu instid0(VALU_DEP_1)
	v_div_fixup_f32 v0, v0, v11, 1.0
.LBB17_75:
	v_add_nc_u32_e32 v1, s1, v1
	s_delay_alu instid0(VALU_DEP_1) | instskip(NEXT) | instid1(VALU_DEP_1)
	v_mad_u32 v1, v1, s39, s6
	v_mad_u32 v1, s0, v1, s43
	s_and_saveexec_b32 s6, s2
	s_cbranch_execz .LBB17_77
; %bb.76:
	s_delay_alu instid0(VALU_DEP_1) | instskip(SKIP_4) | instid1(VALU_DEP_4)
	v_mad_u32 v2, 0x60, v1, v115
	v_dual_lshrrev_b32 v4, 16, v159 :: v_dual_lshrrev_b32 v10, 16, v160
	v_mov_b32_e32 v3, 0
	v_cvt_f32_f16_e64 v12, v159
	v_cvt_f32_f16_e64 v14, v160
	v_cvt_f32_f16_e32 v13, v4
	v_cvt_f32_f16_e32 v15, v10
	s_delay_alu instid0(VALU_DEP_2) | instskip(SKIP_1) | instid1(VALU_DEP_3)
	v_pk_mul_f32 v[12:13], v[0:1], v[12:13] op_sel_hi:[0,1]
	v_lshl_add_u64 v[2:3], v[2:3], 2, s[28:29]
	v_pk_mul_f32 v[14:15], v[0:1], v[14:15] op_sel_hi:[0,1]
	global_store_b128 v[2:3], v[12:15], off
.LBB17_77:
	s_wait_xcnt 0x0
	s_or_b32 exec_lo, exec_lo, s6
	s_and_saveexec_b32 s6, s3
	s_cbranch_execz .LBB17_79
; %bb.78:
	v_mov_b32_e32 v10, v5
	global_store_b64 v1, v[10:11], s[30:31] scale_offset
.LBB17_79:
	s_wait_xcnt 0x0
	s_or_b32 exec_lo, exec_lo, s6
	v_lshrrev_b32_e32 v1, 2, v137
	s_delay_alu instid0(VALU_DEP_1) | instskip(NEXT) | instid1(VALU_DEP_1)
	v_add_nc_u32_e32 v0, s33, v1
	v_cmp_gt_i32_e32 vcc_lo, s38, v0
	s_and_b32 exec_lo, exec_lo, vcc_lo
	s_cbranch_execz .LBB17_93
; %bb.80:
	v_cmp_ne_u32_e32 vcc_lo, 1, v16
	v_mov_b32_e32 v0, 1.0
	s_cbranch_vccnz .LBB17_82
; %bb.81:
	v_div_scale_f32 v0, null, v8, v8, 1.0
	s_delay_alu instid0(VALU_DEP_1) | instskip(SKIP_1) | instid1(TRANS32_DEP_1)
	v_rcp_f32_e32 v2, v0
	v_nop
	v_fma_f32 v3, -v0, v2, 1.0
	s_delay_alu instid0(VALU_DEP_1) | instskip(SKIP_1) | instid1(VALU_DEP_1)
	v_fmac_f32_e32 v2, v3, v2
	v_div_scale_f32 v3, vcc_lo, 1.0, v8, 1.0
	v_mul_f32_e32 v4, v3, v2
	s_delay_alu instid0(VALU_DEP_1) | instskip(NEXT) | instid1(VALU_DEP_1)
	v_fma_f32 v5, -v0, v4, v3
	v_fmac_f32_e32 v4, v5, v2
	s_delay_alu instid0(VALU_DEP_1) | instskip(NEXT) | instid1(VALU_DEP_1)
	v_fma_f32 v0, -v0, v4, v3
	v_div_fmas_f32 v0, v0, v2, v4
	s_delay_alu instid0(VALU_DEP_1)
	v_div_fixup_f32 v0, v0, v8, 1.0
.LBB17_82:
	v_add_nc_u32_e32 v1, s1, v1
	s_delay_alu instid0(VALU_DEP_1) | instskip(NEXT) | instid1(VALU_DEP_1)
	v_mad_u32 v1, v1, s39, s5
	v_mad_u32 v1, s0, v1, s43
	s_and_saveexec_b32 s5, s2
	s_cbranch_execz .LBB17_84
; %bb.83:
	s_delay_alu instid0(VALU_DEP_1) | instskip(SKIP_4) | instid1(VALU_DEP_4)
	v_mad_u32 v4, 0x60, v1, v115
	v_dual_lshrrev_b32 v3, 16, v154 :: v_dual_lshrrev_b32 v11, 16, v155
	v_mov_b32_e32 v5, 0
	v_cvt_f32_f16_e64 v2, v154
	v_cvt_f32_f16_e64 v10, v155
	v_cvt_f32_f16_e32 v3, v3
	v_cvt_f32_f16_e32 v11, v11
	s_delay_alu instid0(VALU_DEP_2) | instskip(SKIP_1) | instid1(VALU_DEP_3)
	v_pk_mul_f32 v[2:3], v[0:1], v[2:3] op_sel_hi:[0,1]
	v_lshl_add_u64 v[12:13], v[4:5], 2, s[28:29]
	v_pk_mul_f32 v[4:5], v[0:1], v[10:11] op_sel_hi:[0,1]
	global_store_b128 v[12:13], v[2:5], off
.LBB17_84:
	s_wait_xcnt 0x0
	s_or_b32 exec_lo, exec_lo, s5
	s_and_saveexec_b32 s5, s3
	s_cbranch_execz .LBB17_86
; %bb.85:
	v_dual_mov_b32 v2, v6 :: v_dual_mov_b32 v3, v8
	global_store_b64 v1, v[2:3], s[30:31] scale_offset
.LBB17_86:
	s_wait_xcnt 0x0
	s_or_b32 exec_lo, exec_lo, s5
	v_lshrrev_b32_e32 v1, 2, v136
	s_delay_alu instid0(VALU_DEP_1) | instskip(NEXT) | instid1(VALU_DEP_1)
	v_add_nc_u32_e32 v0, s33, v1
	v_cmp_gt_i32_e32 vcc_lo, s38, v0
	s_and_b32 exec_lo, exec_lo, vcc_lo
	s_cbranch_execz .LBB17_93
; %bb.87:
	v_cmp_ne_u32_e32 vcc_lo, 1, v16
	v_mov_b32_e32 v0, 1.0
	s_cbranch_vccnz .LBB17_89
; %bb.88:
	v_div_scale_f32 v0, null, v9, v9, 1.0
	s_delay_alu instid0(VALU_DEP_1) | instskip(SKIP_1) | instid1(TRANS32_DEP_1)
	v_rcp_f32_e32 v2, v0
	v_nop
	v_fma_f32 v3, -v0, v2, 1.0
	s_delay_alu instid0(VALU_DEP_1) | instskip(SKIP_1) | instid1(VALU_DEP_1)
	v_fmac_f32_e32 v2, v3, v2
	v_div_scale_f32 v3, vcc_lo, 1.0, v9, 1.0
	v_mul_f32_e32 v4, v3, v2
	s_delay_alu instid0(VALU_DEP_1) | instskip(NEXT) | instid1(VALU_DEP_1)
	v_fma_f32 v5, -v0, v4, v3
	v_fmac_f32_e32 v4, v5, v2
	s_delay_alu instid0(VALU_DEP_1) | instskip(NEXT) | instid1(VALU_DEP_1)
	v_fma_f32 v0, -v0, v4, v3
	v_div_fmas_f32 v0, v0, v2, v4
	s_delay_alu instid0(VALU_DEP_1)
	v_div_fixup_f32 v0, v0, v9, 1.0
.LBB17_89:
	v_add_nc_u32_e32 v1, s1, v1
	s_delay_alu instid0(VALU_DEP_1) | instskip(NEXT) | instid1(VALU_DEP_1)
	v_mad_u32 v1, v1, s39, s4
	v_mad_u32 v1, s0, v1, s43
	s_and_saveexec_b32 s0, s2
	s_cbranch_execz .LBB17_91
; %bb.90:
	s_delay_alu instid0(VALU_DEP_1) | instskip(SKIP_4) | instid1(VALU_DEP_4)
	v_mad_u32 v4, 0x60, v1, v115
	v_dual_lshrrev_b32 v3, 16, v149 :: v_dual_lshrrev_b32 v6, 16, v148
	v_mov_b32_e32 v5, 0
	v_cvt_f32_f16_e64 v2, v149
	v_cvt_f32_f16_e64 v10, v148
	v_cvt_f32_f16_e32 v3, v3
	v_cvt_f32_f16_e32 v11, v6
	s_delay_alu instid0(VALU_DEP_2) | instskip(SKIP_1) | instid1(VALU_DEP_3)
	v_pk_mul_f32 v[2:3], v[0:1], v[2:3] op_sel_hi:[0,1]
	v_lshl_add_u64 v[12:13], v[4:5], 2, s[28:29]
	v_pk_mul_f32 v[4:5], v[0:1], v[10:11] op_sel_hi:[0,1]
	global_store_b128 v[12:13], v[2:5], off
.LBB17_91:
	s_wait_xcnt 0x0
	s_or_b32 exec_lo, exec_lo, s0
	s_delay_alu instid0(SALU_CYCLE_1)
	s_and_b32 exec_lo, exec_lo, s3
	s_cbranch_execz .LBB17_93
; %bb.92:
	v_mov_b32_e32 v8, v7
	global_store_b64 v1, v[8:9], s[30:31] scale_offset
.LBB17_93:
	s_sendmsg sendmsg(MSG_DEALLOC_VGPRS)
	s_endpgm
	.section	.rodata,"a",@progbits
	.p2align	6, 0x0
	.amdhsa_kernel _ZL15flash_attn_tileILi96ELi96ELi16ELi4ELb0EEvPKcS1_S1_S1_S1_PKiPfP15HIP_vector_typeIfLj2EEffffjfiS5_IjLj3EEiiiiiiiiiiiliiliiiiil
		.amdhsa_group_segment_fixed_size 20096
		.amdhsa_private_segment_fixed_size 0
		.amdhsa_kernarg_size 464
		.amdhsa_user_sgpr_count 2
		.amdhsa_user_sgpr_dispatch_ptr 0
		.amdhsa_user_sgpr_queue_ptr 0
		.amdhsa_user_sgpr_kernarg_segment_ptr 1
		.amdhsa_user_sgpr_dispatch_id 0
		.amdhsa_user_sgpr_kernarg_preload_length 0
		.amdhsa_user_sgpr_kernarg_preload_offset 0
		.amdhsa_user_sgpr_private_segment_size 0
		.amdhsa_wavefront_size32 1
		.amdhsa_uses_dynamic_stack 0
		.amdhsa_enable_private_segment 0
		.amdhsa_system_sgpr_workgroup_id_x 1
		.amdhsa_system_sgpr_workgroup_id_y 1
		.amdhsa_system_sgpr_workgroup_id_z 1
		.amdhsa_system_sgpr_workgroup_info 0
		.amdhsa_system_vgpr_workitem_id 1
		.amdhsa_next_free_vgpr 249
		.amdhsa_next_free_sgpr 54
		.amdhsa_named_barrier_count 0
		.amdhsa_reserve_vcc 1
		.amdhsa_float_round_mode_32 0
		.amdhsa_float_round_mode_16_64 0
		.amdhsa_float_denorm_mode_32 3
		.amdhsa_float_denorm_mode_16_64 3
		.amdhsa_fp16_overflow 0
		.amdhsa_memory_ordered 1
		.amdhsa_forward_progress 1
		.amdhsa_inst_pref_size 172
		.amdhsa_round_robin_scheduling 0
		.amdhsa_exception_fp_ieee_invalid_op 0
		.amdhsa_exception_fp_denorm_src 0
		.amdhsa_exception_fp_ieee_div_zero 0
		.amdhsa_exception_fp_ieee_overflow 0
		.amdhsa_exception_fp_ieee_underflow 0
		.amdhsa_exception_fp_ieee_inexact 0
		.amdhsa_exception_int_div_zero 0
	.end_amdhsa_kernel
	.section	.text._ZL15flash_attn_tileILi96ELi96ELi16ELi4ELb0EEvPKcS1_S1_S1_S1_PKiPfP15HIP_vector_typeIfLj2EEffffjfiS5_IjLj3EEiiiiiiiiiiiliiliiiiil,"axG",@progbits,_ZL15flash_attn_tileILi96ELi96ELi16ELi4ELb0EEvPKcS1_S1_S1_S1_PKiPfP15HIP_vector_typeIfLj2EEffffjfiS5_IjLj3EEiiiiiiiiiiiliiliiiiil,comdat
.Lfunc_end17:
	.size	_ZL15flash_attn_tileILi96ELi96ELi16ELi4ELb0EEvPKcS1_S1_S1_S1_PKiPfP15HIP_vector_typeIfLj2EEffffjfiS5_IjLj3EEiiiiiiiiiiiliiliiiiil, .Lfunc_end17-_ZL15flash_attn_tileILi96ELi96ELi16ELi4ELb0EEvPKcS1_S1_S1_S1_PKiPfP15HIP_vector_typeIfLj2EEffffjfiS5_IjLj3EEiiiiiiiiiiiliiliiiiil
                                        ; -- End function
	.set _ZL15flash_attn_tileILi96ELi96ELi16ELi4ELb0EEvPKcS1_S1_S1_S1_PKiPfP15HIP_vector_typeIfLj2EEffffjfiS5_IjLj3EEiiiiiiiiiiiliiliiiiil.num_vgpr, 249
	.set _ZL15flash_attn_tileILi96ELi96ELi16ELi4ELb0EEvPKcS1_S1_S1_S1_PKiPfP15HIP_vector_typeIfLj2EEffffjfiS5_IjLj3EEiiiiiiiiiiiliiliiiiil.num_agpr, 0
	.set _ZL15flash_attn_tileILi96ELi96ELi16ELi4ELb0EEvPKcS1_S1_S1_S1_PKiPfP15HIP_vector_typeIfLj2EEffffjfiS5_IjLj3EEiiiiiiiiiiiliiliiiiil.numbered_sgpr, 54
	.set _ZL15flash_attn_tileILi96ELi96ELi16ELi4ELb0EEvPKcS1_S1_S1_S1_PKiPfP15HIP_vector_typeIfLj2EEffffjfiS5_IjLj3EEiiiiiiiiiiiliiliiiiil.num_named_barrier, 0
	.set _ZL15flash_attn_tileILi96ELi96ELi16ELi4ELb0EEvPKcS1_S1_S1_S1_PKiPfP15HIP_vector_typeIfLj2EEffffjfiS5_IjLj3EEiiiiiiiiiiiliiliiiiil.private_seg_size, 0
	.set _ZL15flash_attn_tileILi96ELi96ELi16ELi4ELb0EEvPKcS1_S1_S1_S1_PKiPfP15HIP_vector_typeIfLj2EEffffjfiS5_IjLj3EEiiiiiiiiiiiliiliiiiil.uses_vcc, 1
	.set _ZL15flash_attn_tileILi96ELi96ELi16ELi4ELb0EEvPKcS1_S1_S1_S1_PKiPfP15HIP_vector_typeIfLj2EEffffjfiS5_IjLj3EEiiiiiiiiiiiliiliiiiil.uses_flat_scratch, 0
	.set _ZL15flash_attn_tileILi96ELi96ELi16ELi4ELb0EEvPKcS1_S1_S1_S1_PKiPfP15HIP_vector_typeIfLj2EEffffjfiS5_IjLj3EEiiiiiiiiiiiliiliiiiil.has_dyn_sized_stack, 0
	.set _ZL15flash_attn_tileILi96ELi96ELi16ELi4ELb0EEvPKcS1_S1_S1_S1_PKiPfP15HIP_vector_typeIfLj2EEffffjfiS5_IjLj3EEiiiiiiiiiiiliiliiiiil.has_recursion, 0
	.set _ZL15flash_attn_tileILi96ELi96ELi16ELi4ELb0EEvPKcS1_S1_S1_S1_PKiPfP15HIP_vector_typeIfLj2EEffffjfiS5_IjLj3EEiiiiiiiiiiiliiliiiiil.has_indirect_call, 0
	.section	.AMDGPU.csdata,"",@progbits
; Kernel info:
; codeLenInByte = 21940
; TotalNumSgprs: 56
; NumVgprs: 249
; ScratchSize: 0
; MemoryBound: 0
; FloatMode: 240
; IeeeMode: 1
; LDSByteSize: 20096 bytes/workgroup (compile time only)
; SGPRBlocks: 0
; VGPRBlocks: 15
; NumSGPRsForWavesPerEU: 56
; NumVGPRsForWavesPerEU: 249
; NamedBarCnt: 0
; Occupancy: 4
; WaveLimiterHint : 1
; COMPUTE_PGM_RSRC2:SCRATCH_EN: 0
; COMPUTE_PGM_RSRC2:USER_SGPR: 2
; COMPUTE_PGM_RSRC2:TRAP_HANDLER: 0
; COMPUTE_PGM_RSRC2:TGID_X_EN: 1
; COMPUTE_PGM_RSRC2:TGID_Y_EN: 1
; COMPUTE_PGM_RSRC2:TGID_Z_EN: 1
; COMPUTE_PGM_RSRC2:TIDIG_COMP_CNT: 1
	.section	.text._ZL25flash_attn_mask_to_KV_maxILi16EEvPK7__half2Piiii,"axG",@progbits,_ZL25flash_attn_mask_to_KV_maxILi16EEvPK7__half2Piiii,comdat
	.globl	_ZL25flash_attn_mask_to_KV_maxILi16EEvPK7__half2Piiii ; -- Begin function _ZL25flash_attn_mask_to_KV_maxILi16EEvPK7__half2Piiii
	.p2align	8
	.type	_ZL25flash_attn_mask_to_KV_maxILi16EEvPK7__half2Piiii,@function
_ZL25flash_attn_mask_to_KV_maxILi16EEvPK7__half2Piiii: ; @_ZL25flash_attn_mask_to_KV_maxILi16EEvPK7__half2Piiii
; %bb.0:
	s_load_b128 s[4:7], s[0:1], 0x0
	s_mov_b32 s2, exec_lo
	v_cmpx_gt_u32_e32 32, v0
; %bb.1:
	v_dual_mov_b32 v2, 1 :: v_dual_lshlrev_b32 v1, 2, v0
	ds_store_b32 v1, v2
; %bb.2:
	s_or_b32 exec_lo, exec_lo, s2
	s_clause 0x1
	s_load_b96 s[8:10], s[0:1], 0x10
	s_load_b32 s11, s[0:1], 0x20
	s_wait_xcnt 0x0
	s_bfe_u32 s1, ttmp6, 0x4000c
	s_bfe_u32 s2, ttmp6, 0x40010
	s_add_co_i32 s1, s1, 1
	s_add_co_i32 s2, s2, 1
	s_and_b32 s0, ttmp6, 15
	s_bfe_u32 s3, ttmp6, 0x40004
	s_mul_i32 s1, ttmp9, s1
	s_mul_i32 s2, ttmp7, s2
	s_getreg_b32 s12, hwreg(HW_REG_IB_STS2, 6, 4)
	s_add_co_i32 s0, s0, s1
	s_add_co_i32 s3, s3, s2
	s_cmp_eq_u32 s12, 0
	v_dual_lshrrev_b32 v1, 3, v0 :: v_dual_bitop2_b32 v2, 31, v0 bitop3:0x40
	s_cselect_b32 s1, ttmp9, s0
	s_cselect_b32 s12, ttmp7, s3
	s_wait_dscnt 0x0
	s_barrier_signal -1
	s_wait_kmcnt 0x0
	s_mul_i32 s0, s1, s9
	s_mul_i32 s2, s10, s12
	s_lshl_b32 s0, s0, 4
	s_barrier_wait -1
	s_add_co_i32 s2, s2, s0
	v_cmp_eq_u32_e64 s0, 0, v2
	s_ashr_i32 s3, s2, 31
	v_lshlrev_b32_e32 v2, 2, v2
	s_lshl_b64 s[2:3], s[2:3], 2
	s_delay_alu instid0(SALU_CYCLE_1)
	s_add_nc_u64 s[2:3], s[4:5], s[2:3]
	s_lshl_b32 s5, s8, 8
	s_branch .LBB18_4
.LBB18_3:                               ;   in Loop: Header=BB18_4 Depth=1
	s_or_b32 exec_lo, exec_lo, s8
	s_wait_dscnt 0x0
	s_barrier_signal -1
	s_barrier_wait -1
	ds_load_b32 v3, v2
	s_wait_dscnt 0x0
	s_barrier_signal -1
	s_barrier_wait -1
	v_cmp_ne_u32_e32 vcc_lo, 0, v3
	s_cmp_lg_u32 vcc_lo, exec_lo
	s_cselect_b32 s8, -1, 0
	s_delay_alu instid0(SALU_CYCLE_1)
	s_and_b32 vcc_lo, exec_lo, s8
	s_cbranch_vccnz .LBB18_68
.LBB18_4:                               ; =>This Inner Loop Header: Depth=1
	s_mov_b32 s4, s5
	s_addk_co_i32 s5, 0xff00
	s_delay_alu instid0(SALU_CYCLE_1)
	s_cmp_lt_i32 s5, 0
	s_cbranch_scc1 .LBB18_67
; %bb.5:                                ;   in Loop: Header=BB18_4 Depth=1
	s_lshr_b32 s8, s5, 1
	s_delay_alu instid0(SALU_CYCLE_1) | instskip(SKIP_4) | instid1(VALU_DEP_2)
	v_add_nc_u32_e32 v3, s8, v0
	global_load_b32 v4, v3, s[2:3] scale_offset
	s_wait_loadcnt 0x0
	v_lshrrev_b32_e32 v5, 16, v4
	v_cmp_class_f16_e64 s8, v4, 0x204
	v_cmp_class_f16_e64 s10, v5, 0x204
	s_and_b32 s13, s8, s10
	s_mov_b32 s10, 0
	s_and_saveexec_b32 s8, s13
	s_cbranch_execz .LBB18_65
; %bb.6:                                ;   in Loop: Header=BB18_4 Depth=1
	v_add_nc_u32_e32 v3, s9, v3
	s_mov_b32 s13, 0
	global_load_b32 v4, v3, s[2:3] scale_offset
	s_wait_loadcnt 0x0
	v_cmp_class_f16_e64 s14, v4, 0x204
	s_and_saveexec_b32 s10, s14
	s_cbranch_execz .LBB18_64
; %bb.7:                                ;   in Loop: Header=BB18_4 Depth=1
	v_lshrrev_b32_e32 v4, 16, v4
	s_mov_b32 s14, 0
	s_delay_alu instid0(VALU_DEP_1)
	v_cmp_class_f16_e64 s15, v4, 0x204
	s_and_saveexec_b32 s13, s15
	s_cbranch_execz .LBB18_63
; %bb.8:                                ;   in Loop: Header=BB18_4 Depth=1
	v_add_nc_u32_e32 v3, s9, v3
	s_mov_b32 s15, 0
	global_load_b32 v4, v3, s[2:3] scale_offset
	s_wait_loadcnt 0x0
	v_cmp_class_f16_e64 s16, v4, 0x204
	s_and_saveexec_b32 s14, s16
	s_cbranch_execz .LBB18_62
; %bb.9:                                ;   in Loop: Header=BB18_4 Depth=1
	v_lshrrev_b32_e32 v4, 16, v4
	s_mov_b32 s16, 0
	s_delay_alu instid0(VALU_DEP_1)
	v_cmp_class_f16_e64 s17, v4, 0x204
	s_and_saveexec_b32 s15, s17
	s_cbranch_execz .LBB18_61
; %bb.10:                               ;   in Loop: Header=BB18_4 Depth=1
	v_add_nc_u32_e32 v3, s9, v3
	s_mov_b32 s17, 0
	global_load_b32 v4, v3, s[2:3] scale_offset
	s_wait_loadcnt 0x0
	v_cmp_class_f16_e64 s18, v4, 0x204
	s_and_saveexec_b32 s16, s18
	s_cbranch_execz .LBB18_60
; %bb.11:                               ;   in Loop: Header=BB18_4 Depth=1
	v_lshrrev_b32_e32 v4, 16, v4
	s_mov_b32 s18, 0
	s_delay_alu instid0(VALU_DEP_1)
	v_cmp_class_f16_e64 s19, v4, 0x204
	s_and_saveexec_b32 s17, s19
	s_cbranch_execz .LBB18_59
; %bb.12:                               ;   in Loop: Header=BB18_4 Depth=1
	v_add_nc_u32_e32 v3, s9, v3
	s_mov_b32 s19, 0
	global_load_b32 v4, v3, s[2:3] scale_offset
	s_wait_loadcnt 0x0
	v_cmp_class_f16_e64 s20, v4, 0x204
	s_and_saveexec_b32 s18, s20
	s_cbranch_execz .LBB18_58
; %bb.13:                               ;   in Loop: Header=BB18_4 Depth=1
	;; [unrolled: 15-line block ×12, first 2 shown]
	v_lshrrev_b32_e32 v4, 16, v4
	s_mov_b32 s41, 0
	s_delay_alu instid0(VALU_DEP_1)
	v_cmp_class_f16_e64 s42, v4, 0x204
	s_and_saveexec_b32 s40, s42
	s_cbranch_execz .LBB18_37
; %bb.34:                               ;   in Loop: Header=BB18_4 Depth=1
	v_add_nc_u32_e32 v3, s9, v3
	global_load_b32 v3, v3, s[2:3] scale_offset
	s_wait_loadcnt 0x0
	v_cmp_class_f16_e64 s43, v3, 0x204
	s_and_saveexec_b32 s42, s43
; %bb.35:                               ;   in Loop: Header=BB18_4 Depth=1
	v_lshrrev_b32_e32 v3, 16, v3
	s_delay_alu instid0(VALU_DEP_1)
	v_cmp_class_f16_e64 s41, v3, 0x204
	s_and_b32 s41, s41, exec_lo
; %bb.36:                               ;   in Loop: Header=BB18_4 Depth=1
	s_or_b32 exec_lo, exec_lo, s42
	s_delay_alu instid0(SALU_CYCLE_1)
	s_and_b32 s41, s41, exec_lo
.LBB18_37:                              ;   in Loop: Header=BB18_4 Depth=1
	s_or_b32 exec_lo, exec_lo, s40
	s_delay_alu instid0(SALU_CYCLE_1)
	s_and_b32 s40, s41, exec_lo
.LBB18_38:                              ;   in Loop: Header=BB18_4 Depth=1
	s_or_b32 exec_lo, exec_lo, s39
	s_delay_alu instid0(SALU_CYCLE_1)
	s_and_b32 s39, s40, exec_lo
.LBB18_39:                              ;   in Loop: Header=BB18_4 Depth=1
	s_or_b32 exec_lo, exec_lo, s38
	s_delay_alu instid0(SALU_CYCLE_1)
	s_and_b32 s38, s39, exec_lo
.LBB18_40:                              ;   in Loop: Header=BB18_4 Depth=1
	s_or_b32 exec_lo, exec_lo, s37
	s_delay_alu instid0(SALU_CYCLE_1)
	s_and_b32 s37, s38, exec_lo
.LBB18_41:                              ;   in Loop: Header=BB18_4 Depth=1
	s_or_b32 exec_lo, exec_lo, s36
	s_delay_alu instid0(SALU_CYCLE_1)
	s_and_b32 s36, s37, exec_lo
.LBB18_42:                              ;   in Loop: Header=BB18_4 Depth=1
	s_or_b32 exec_lo, exec_lo, s35
	s_delay_alu instid0(SALU_CYCLE_1)
	s_and_b32 s35, s36, exec_lo
.LBB18_43:                              ;   in Loop: Header=BB18_4 Depth=1
	s_or_b32 exec_lo, exec_lo, s34
	s_delay_alu instid0(SALU_CYCLE_1)
	s_and_b32 s34, s35, exec_lo
.LBB18_44:                              ;   in Loop: Header=BB18_4 Depth=1
	s_or_b32 exec_lo, exec_lo, s33
	s_delay_alu instid0(SALU_CYCLE_1)
	s_and_b32 s33, s34, exec_lo
.LBB18_45:                              ;   in Loop: Header=BB18_4 Depth=1
	s_or_b32 exec_lo, exec_lo, s31
	s_delay_alu instid0(SALU_CYCLE_1)
	s_and_b32 s31, s33, exec_lo
.LBB18_46:                              ;   in Loop: Header=BB18_4 Depth=1
	s_or_b32 exec_lo, exec_lo, s30
	s_delay_alu instid0(SALU_CYCLE_1)
	s_and_b32 s30, s31, exec_lo
.LBB18_47:                              ;   in Loop: Header=BB18_4 Depth=1
	s_or_b32 exec_lo, exec_lo, s29
	s_delay_alu instid0(SALU_CYCLE_1)
	s_and_b32 s29, s30, exec_lo
.LBB18_48:                              ;   in Loop: Header=BB18_4 Depth=1
	s_or_b32 exec_lo, exec_lo, s28
	s_delay_alu instid0(SALU_CYCLE_1)
	s_and_b32 s28, s29, exec_lo
.LBB18_49:                              ;   in Loop: Header=BB18_4 Depth=1
	s_or_b32 exec_lo, exec_lo, s27
	s_delay_alu instid0(SALU_CYCLE_1)
	s_and_b32 s27, s28, exec_lo
.LBB18_50:                              ;   in Loop: Header=BB18_4 Depth=1
	s_or_b32 exec_lo, exec_lo, s26
	s_delay_alu instid0(SALU_CYCLE_1)
	s_and_b32 s26, s27, exec_lo
.LBB18_51:                              ;   in Loop: Header=BB18_4 Depth=1
	s_or_b32 exec_lo, exec_lo, s25
	s_delay_alu instid0(SALU_CYCLE_1)
	s_and_b32 s25, s26, exec_lo
.LBB18_52:                              ;   in Loop: Header=BB18_4 Depth=1
	s_or_b32 exec_lo, exec_lo, s24
	s_delay_alu instid0(SALU_CYCLE_1)
	s_and_b32 s24, s25, exec_lo
.LBB18_53:                              ;   in Loop: Header=BB18_4 Depth=1
	s_or_b32 exec_lo, exec_lo, s23
	s_delay_alu instid0(SALU_CYCLE_1)
	s_and_b32 s23, s24, exec_lo
.LBB18_54:                              ;   in Loop: Header=BB18_4 Depth=1
	s_or_b32 exec_lo, exec_lo, s22
	s_delay_alu instid0(SALU_CYCLE_1)
	s_and_b32 s22, s23, exec_lo
.LBB18_55:                              ;   in Loop: Header=BB18_4 Depth=1
	s_or_b32 exec_lo, exec_lo, s21
	s_delay_alu instid0(SALU_CYCLE_1)
	s_and_b32 s21, s22, exec_lo
.LBB18_56:                              ;   in Loop: Header=BB18_4 Depth=1
	s_or_b32 exec_lo, exec_lo, s20
	s_delay_alu instid0(SALU_CYCLE_1)
	s_and_b32 s20, s21, exec_lo
.LBB18_57:                              ;   in Loop: Header=BB18_4 Depth=1
	s_or_b32 exec_lo, exec_lo, s19
	s_delay_alu instid0(SALU_CYCLE_1)
	s_and_b32 s19, s20, exec_lo
.LBB18_58:                              ;   in Loop: Header=BB18_4 Depth=1
	s_or_b32 exec_lo, exec_lo, s18
	s_delay_alu instid0(SALU_CYCLE_1)
	s_and_b32 s18, s19, exec_lo
.LBB18_59:                              ;   in Loop: Header=BB18_4 Depth=1
	s_or_b32 exec_lo, exec_lo, s17
	s_delay_alu instid0(SALU_CYCLE_1)
	s_and_b32 s17, s18, exec_lo
.LBB18_60:                              ;   in Loop: Header=BB18_4 Depth=1
	s_or_b32 exec_lo, exec_lo, s16
	s_delay_alu instid0(SALU_CYCLE_1)
	s_and_b32 s16, s17, exec_lo
.LBB18_61:                              ;   in Loop: Header=BB18_4 Depth=1
	s_or_b32 exec_lo, exec_lo, s15
	s_delay_alu instid0(SALU_CYCLE_1)
	s_and_b32 s15, s16, exec_lo
.LBB18_62:                              ;   in Loop: Header=BB18_4 Depth=1
	s_or_b32 exec_lo, exec_lo, s14
	s_delay_alu instid0(SALU_CYCLE_1)
	s_and_b32 s14, s15, exec_lo
.LBB18_63:                              ;   in Loop: Header=BB18_4 Depth=1
	s_or_b32 exec_lo, exec_lo, s13
	s_delay_alu instid0(SALU_CYCLE_1)
	s_and_b32 s13, s14, exec_lo
.LBB18_64:                              ;   in Loop: Header=BB18_4 Depth=1
	s_or_b32 exec_lo, exec_lo, s10
	s_delay_alu instid0(SALU_CYCLE_1)
	s_and_b32 s10, s13, exec_lo
.LBB18_65:                              ;   in Loop: Header=BB18_4 Depth=1
	s_or_b32 exec_lo, exec_lo, s8
	v_cndmask_b32_e64 v3, 0, 1, s10
	s_mov_b32 s13, exec_lo
	s_delay_alu instid0(VALU_DEP_1)
	v_cmp_ne_u32_e32 vcc_lo, 0, v3
	s_and_saveexec_b32 s8, s0
	s_cbranch_execz .LBB18_3
; %bb.66:                               ;   in Loop: Header=BB18_4 Depth=1
	s_cmp_eq_u32 vcc_lo, s13
	s_cselect_b32 s10, -1, 0
	s_delay_alu instid0(SALU_CYCLE_1)
	v_cndmask_b32_e64 v3, 0, 1, s10
	ds_store_b32 v1, v3
	s_branch .LBB18_3
.LBB18_67:                              ;   in Loop: Header=BB18_4 Depth=1
	s_cbranch_execz .LBB18_4
.LBB18_68:
	s_mov_b32 s0, exec_lo
	v_cmpx_eq_u32_e32 0, v0
	s_cbranch_execz .LBB18_70
; %bb.69:
	s_mul_i32 s0, s11, s12
	v_mov_b32_e32 v1, s4
	s_add_co_i32 s0, s0, s1
	s_delay_alu instid0(SALU_CYCLE_1)
	v_mov_b32_e32 v0, s0
	global_store_b32 v0, v1, s[6:7] scale_offset
.LBB18_70:
	s_endpgm
	.section	.rodata,"a",@progbits
	.p2align	6, 0x0
	.amdhsa_kernel _ZL25flash_attn_mask_to_KV_maxILi16EEvPK7__half2Piiii
		.amdhsa_group_segment_fixed_size 128
		.amdhsa_private_segment_fixed_size 0
		.amdhsa_kernarg_size 288
		.amdhsa_user_sgpr_count 2
		.amdhsa_user_sgpr_dispatch_ptr 0
		.amdhsa_user_sgpr_queue_ptr 0
		.amdhsa_user_sgpr_kernarg_segment_ptr 1
		.amdhsa_user_sgpr_dispatch_id 0
		.amdhsa_user_sgpr_kernarg_preload_length 0
		.amdhsa_user_sgpr_kernarg_preload_offset 0
		.amdhsa_user_sgpr_private_segment_size 0
		.amdhsa_wavefront_size32 1
		.amdhsa_uses_dynamic_stack 0
		.amdhsa_enable_private_segment 0
		.amdhsa_system_sgpr_workgroup_id_x 1
		.amdhsa_system_sgpr_workgroup_id_y 1
		.amdhsa_system_sgpr_workgroup_id_z 0
		.amdhsa_system_sgpr_workgroup_info 0
		.amdhsa_system_vgpr_workitem_id 0
		.amdhsa_next_free_vgpr 6
		.amdhsa_next_free_sgpr 44
		.amdhsa_named_barrier_count 0
		.amdhsa_reserve_vcc 1
		.amdhsa_float_round_mode_32 0
		.amdhsa_float_round_mode_16_64 0
		.amdhsa_float_denorm_mode_32 3
		.amdhsa_float_denorm_mode_16_64 3
		.amdhsa_fp16_overflow 0
		.amdhsa_memory_ordered 1
		.amdhsa_forward_progress 1
		.amdhsa_inst_pref_size 16
		.amdhsa_round_robin_scheduling 0
		.amdhsa_exception_fp_ieee_invalid_op 0
		.amdhsa_exception_fp_denorm_src 0
		.amdhsa_exception_fp_ieee_div_zero 0
		.amdhsa_exception_fp_ieee_overflow 0
		.amdhsa_exception_fp_ieee_underflow 0
		.amdhsa_exception_fp_ieee_inexact 0
		.amdhsa_exception_int_div_zero 0
	.end_amdhsa_kernel
	.section	.text._ZL25flash_attn_mask_to_KV_maxILi16EEvPK7__half2Piiii,"axG",@progbits,_ZL25flash_attn_mask_to_KV_maxILi16EEvPK7__half2Piiii,comdat
.Lfunc_end18:
	.size	_ZL25flash_attn_mask_to_KV_maxILi16EEvPK7__half2Piiii, .Lfunc_end18-_ZL25flash_attn_mask_to_KV_maxILi16EEvPK7__half2Piiii
                                        ; -- End function
	.set _ZL25flash_attn_mask_to_KV_maxILi16EEvPK7__half2Piiii.num_vgpr, 6
	.set _ZL25flash_attn_mask_to_KV_maxILi16EEvPK7__half2Piiii.num_agpr, 0
	.set _ZL25flash_attn_mask_to_KV_maxILi16EEvPK7__half2Piiii.numbered_sgpr, 44
	.set _ZL25flash_attn_mask_to_KV_maxILi16EEvPK7__half2Piiii.num_named_barrier, 0
	.set _ZL25flash_attn_mask_to_KV_maxILi16EEvPK7__half2Piiii.private_seg_size, 0
	.set _ZL25flash_attn_mask_to_KV_maxILi16EEvPK7__half2Piiii.uses_vcc, 1
	.set _ZL25flash_attn_mask_to_KV_maxILi16EEvPK7__half2Piiii.uses_flat_scratch, 0
	.set _ZL25flash_attn_mask_to_KV_maxILi16EEvPK7__half2Piiii.has_dyn_sized_stack, 0
	.set _ZL25flash_attn_mask_to_KV_maxILi16EEvPK7__half2Piiii.has_recursion, 0
	.set _ZL25flash_attn_mask_to_KV_maxILi16EEvPK7__half2Piiii.has_indirect_call, 0
	.section	.AMDGPU.csdata,"",@progbits
; Kernel info:
; codeLenInByte = 1948
; TotalNumSgprs: 46
; NumVgprs: 6
; ScratchSize: 0
; MemoryBound: 0
; FloatMode: 240
; IeeeMode: 1
; LDSByteSize: 128 bytes/workgroup (compile time only)
; SGPRBlocks: 0
; VGPRBlocks: 0
; NumSGPRsForWavesPerEU: 46
; NumVGPRsForWavesPerEU: 6
; NamedBarCnt: 0
; Occupancy: 16
; WaveLimiterHint : 0
; COMPUTE_PGM_RSRC2:SCRATCH_EN: 0
; COMPUTE_PGM_RSRC2:USER_SGPR: 2
; COMPUTE_PGM_RSRC2:TRAP_HANDLER: 0
; COMPUTE_PGM_RSRC2:TGID_X_EN: 1
; COMPUTE_PGM_RSRC2:TGID_Y_EN: 1
; COMPUTE_PGM_RSRC2:TGID_Z_EN: 0
; COMPUTE_PGM_RSRC2:TIDIG_COMP_CNT: 0
	.section	.text._ZL33flash_attn_stream_k_fixup_uniformILi96ELi16ELi4EEvPfPK15HIP_vector_typeIfLj2EEiiiiiiS1_IjLj3EES5_S5_,"axG",@progbits,_ZL33flash_attn_stream_k_fixup_uniformILi96ELi16ELi4EEvPfPK15HIP_vector_typeIfLj2EEiiiiiiS1_IjLj3EES5_S5_,comdat
	.globl	_ZL33flash_attn_stream_k_fixup_uniformILi96ELi16ELi4EEvPfPK15HIP_vector_typeIfLj2EEiiiiiiS1_IjLj3EES5_S5_ ; -- Begin function _ZL33flash_attn_stream_k_fixup_uniformILi96ELi16ELi4EEvPfPK15HIP_vector_typeIfLj2EEiiiiiiS1_IjLj3EES5_S5_
	.p2align	8
	.type	_ZL33flash_attn_stream_k_fixup_uniformILi96ELi16ELi4EEvPfPK15HIP_vector_typeIfLj2EEiiiiiiS1_IjLj3EES5_S5_,@function
_ZL33flash_attn_stream_k_fixup_uniformILi96ELi16ELi4EEvPfPK15HIP_vector_typeIfLj2EEiiiiiiS1_IjLj3EES5_S5_: ; @_ZL33flash_attn_stream_k_fixup_uniformILi96ELi16ELi4EEvPfPK15HIP_vector_typeIfLj2EEiiiiiiS1_IjLj3EES5_S5_
; %bb.0:
	s_load_b256 s[4:11], s[0:1], 0x1c
	s_bfe_u32 s2, ttmp6, 0x40014
	s_lshr_b32 s3, ttmp7, 16
	s_add_co_i32 s2, s2, 1
	s_bfe_u32 s13, ttmp6, 0x40010
	s_mul_i32 s2, s3, s2
	s_bfe_u32 s12, ttmp6, 0x40008
	s_and_b32 s15, ttmp7, 0xffff
	s_add_co_i32 s13, s13, 1
	s_bfe_u32 s14, ttmp6, 0x4000c
	s_add_co_i32 s2, s12, s2
	s_mul_i32 s12, s15, s13
	s_bfe_u32 s13, ttmp6, 0x40004
	s_add_co_i32 s14, s14, 1
	s_add_co_i32 s13, s13, s12
	s_and_b32 s12, ttmp6, 15
	s_mul_i32 s14, ttmp9, s14
	s_getreg_b32 s20, hwreg(HW_REG_IB_STS2, 6, 4)
	s_add_co_i32 s12, s12, s14
	s_load_b128 s[16:19], s[0:1], 0x3c
	s_cmp_eq_u32 s20, 0
	s_cselect_b32 s14, ttmp9, s12
	s_cselect_b32 s12, s15, s13
	s_wait_kmcnt 0x0
	s_mul_hi_u32 s7, s7, s14
	s_cselect_b32 s13, s3, s2
	s_add_co_i32 s2, s14, s7
	s_delay_alu instid0(SALU_CYCLE_1) | instskip(NEXT) | instid1(SALU_CYCLE_1)
	s_lshr_b32 s7, s2, s8
	s_mul_i32 s2, s7, s9
	s_delay_alu instid0(SALU_CYCLE_1) | instskip(NEXT) | instid1(SALU_CYCLE_1)
	s_sub_co_i32 s8, s14, s2
	s_mul_hi_u32 s2, s8, s10
	s_delay_alu instid0(SALU_CYCLE_1) | instskip(SKIP_2) | instid1(SALU_CYCLE_1)
	s_add_co_i32 s9, s8, s2
	s_load_b64 s[2:3], s[0:1], 0x10
	s_lshr_b32 s15, s9, s11
	s_mul_i32 s9, s15, s16
	s_delay_alu instid0(SALU_CYCLE_1) | instskip(NEXT) | instid1(SALU_CYCLE_1)
	s_sub_co_i32 s8, s8, s9
	s_mul_hi_u32 s9, s8, s17
	s_delay_alu instid0(SALU_CYCLE_1) | instskip(NEXT) | instid1(SALU_CYCLE_1)
	s_add_co_i32 s9, s8, s9
	s_lshr_b32 s9, s9, s18
	s_delay_alu instid0(SALU_CYCLE_1) | instskip(SKIP_2) | instid1(SALU_CYCLE_1)
	s_mul_i32 s10, s9, s19
	s_lshl_b32 s17, s9, 2
	s_sub_co_i32 s16, s8, s10
	s_lshl_b32 s8, s16, 4
	s_delay_alu instid0(SALU_CYCLE_1) | instskip(SKIP_4) | instid1(SALU_CYCLE_1)
	s_add_co_i32 s8, s8, s12
	s_wait_kmcnt 0x0
	s_cmp_lt_i32 s8, s2
	s_cselect_b32 s8, -1, 0
	s_add_co_i32 s17, s17, s13
	s_cmp_lt_i32 s17, s5
	s_cselect_b32 s9, -1, 0
	s_delay_alu instid0(SALU_CYCLE_1) | instskip(NEXT) | instid1(SALU_CYCLE_1)
	s_and_b32 s8, s8, s9
	s_and_not1_b32 vcc_lo, exec_lo, s8
	s_cbranch_vccnz .LBB19_6
; %bb.1:
	s_load_b128 s[8:11], s[0:1], 0x0
	s_wait_xcnt 0x0
	s_mul_i32 s0, s7, s2
	s_mul_i32 s15, s15, s5
	s_add_co_i32 s0, s0, s12
	s_add_co_i32 s1, s17, s15
	s_mul_i32 s0, s0, s3
	s_mul_i32 s2, s3, s16
	s_add_co_i32 s0, s1, s0
	s_mulk_i32 s2, 0x600
	s_mulk_i32 s0, 0x60
	s_mul_i32 s7, s6, s14
	v_add3_u32 v4, s0, s2, v0
	s_lshl_b32 s5, s12, 2
	s_add_co_i32 s15, s7, s6
	s_add_co_i32 s0, s5, s13
	s_lshl_b32 s1, s15, 6
	v_ashrrev_i32_e32 v5, 31, v4
	s_add_co_i32 s0, s0, s1
	s_add_co_i32 s2, s15, -2
	s_sub_co_i32 s0, s0, 64
	s_wait_kmcnt 0x0
	global_load_b32 v3, v4, s[8:9] scale_offset
	s_ashr_i32 s1, s0, 31
	s_delay_alu instid0(SALU_CYCLE_1)
	s_lshl_b64 s[0:1], s[0:1], 3
	s_cmp_lt_i32 s2, s7
	s_add_nc_u64 s[0:1], s[10:11], s[0:1]
	s_load_b32 s16, s[0:1], 0x4
	s_cbranch_scc1 .LBB19_4
; %bb.2:
	s_wait_xcnt 0x0
	s_load_b32 s0, s[0:1], 0x0
	s_add_co_i32 s14, s14, 1
	s_mulk_i32 s12, 0x180
	s_wait_xcnt 0x0
	s_mul_i32 s1, s6, s14
	s_lshl_b32 s2, s4, 8
	s_lshl_b32 s6, s1, 6
	s_mulk_i32 s1, 0x1800
	s_add_co_i32 s6, s13, s6
	s_mulk_i32 s13, 0x60
	s_lshl_b32 s4, s4, 6
	s_add_co_i32 s12, s13, s12
	s_ashr_i32 s3, s2, 31
	s_add_co_i32 s12, s12, s1
	s_add_co_i32 s1, s6, s4
	v_add3_u32 v0, s12, v0, 0xffffd000
	s_wait_kmcnt 0x0
	v_mov_b32_e32 v2, s16
	s_lshl_b64 s[2:3], s[2:3], 2
	s_add_co_i32 s4, s1, s5
	s_add_nc_u64 s[2:3], s[10:11], s[2:3]
	s_add_co_i32 s1, s15, -1
	s_addk_co_i32 s4, 0xff80
.LBB19_3:                               ; =>This Inner Loop Header: Depth=1
	global_load_b32 v7, v0, s[2:3] scale_offset
	s_ashr_i32 s5, s4, 31
	v_max_num_f32_e64 v1, s0, s0
	s_lshl_b64 s[12:13], s[4:5], 3
	s_delay_alu instid0(SALU_CYCLE_1) | instskip(SKIP_1) | instid1(VALU_DEP_1)
	s_add_nc_u64 s[12:13], s[10:11], s[12:13]
	s_load_b64 s[12:13], s[12:13], 0x0
	v_readfirstlane_b32 s5, v1
	v_add_nc_u32_e32 v0, 0xffffe800, v0
	s_wait_kmcnt 0x0
	v_max_num_f32_e64 v1, s12, s12
	s_delay_alu instid0(VALU_DEP_1) | instskip(SKIP_1) | instid1(SALU_CYCLE_3)
	v_readfirstlane_b32 s6, v1
	s_max_num_f32 s5, s5, s6
	s_sub_f32 s0, s0, s5
	s_sub_f32 s6, s12, s5
	s_delay_alu instid0(SALU_CYCLE_2) | instskip(NEXT) | instid1(SALU_CYCLE_2)
	s_mul_f32 s12, s0, 0x3fb8aa3b
	s_mul_f32 s14, s6, 0x3fb8aa3b
	s_delay_alu instid0(SALU_CYCLE_2)
	s_xor_b32 s15, s12, 0x80000000
	s_rndne_f32 s16, s12
	s_fmamk_f32 s15, s0, 0x3fb8aa3b, s15
	s_cmp_nlt_f32 s0, 0xc2ce8ed0
	s_rndne_f32 s17, s14
	s_sub_f32 s12, s12, s16
	s_fmamk_f32 s15, s0, 0x32a5705f, s15
	s_cselect_b32 vcc_lo, -1, 0
	s_cmp_ngt_f32 s0, 0x42b17218
	s_delay_alu instid0(SALU_CYCLE_1) | instskip(SKIP_2) | instid1(SALU_CYCLE_1)
	s_add_f32 s12, s12, s15
	s_cvt_i32_f32 s15, s16
	s_sub_f32 s16, s14, s17
	v_s_exp_f32 s12, s12
	v_nop
	s_delay_alu instid0(TRANS32_DEP_1) | instskip(SKIP_1) | instid1(VALU_DEP_1)
	v_ldexp_f32 v1, s12, s15
	s_cvt_i32_f32 s12, s17
	v_cndmask_b32_e32 v1, 0, v1, vcc_lo
	s_cselect_b32 vcc_lo, -1, 0
	s_cmp_ge_f32 s0, 0xc1a00000
	s_delay_alu instid0(VALU_DEP_1)
	v_cndmask_b32_e32 v1, 0x7f800000, v1, vcc_lo
	s_cselect_b32 vcc_lo, -1, 0
	s_xor_b32 s0, s14, 0x80000000
	s_cmp_nlt_f32 s6, 0xc2ce8ed0
	s_fmamk_f32 s0, s6, 0x3fb8aa3b, s0
	v_cndmask_b32_e32 v10, 0, v1, vcc_lo
	s_delay_alu instid0(SALU_CYCLE_2) | instskip(NEXT) | instid1(SALU_CYCLE_3)
	s_fmamk_f32 s0, s6, 0x32a5705f, s0
	s_add_f32 s0, s16, s0
	s_delay_alu instid0(SALU_CYCLE_3) | instskip(SKIP_1) | instid1(TRANS32_DEP_1)
	v_s_exp_f32 s0, s0
	v_nop
	v_ldexp_f32 v6, s0, s12
	s_cselect_b32 s0, -1, 0
	s_cmp_ngt_f32 s6, 0x42b17218
	s_delay_alu instid0(VALU_DEP_1) | instskip(SKIP_2) | instid1(VALU_DEP_1)
	v_cndmask_b32_e64 v6, 0, v6, s0
	s_cselect_b32 s0, -1, 0
	s_cmp_ge_f32 s6, 0xc1a00000
	v_cndmask_b32_e64 v8, 0x7f800000, v6, s0
	s_cselect_b32 s0, -1, 0
	v_mov_b32_e32 v6, s13
	s_add_co_i32 s1, s1, -1
	s_sub_co_i32 s4, s4, 64
	v_cndmask_b32_e64 v8, 0, v8, s0
	s_cmp_le_i32 s1, s7
	s_mov_b32 s0, s5
	s_wait_loadcnt 0x0
	s_delay_alu instid0(VALU_DEP_1) | instskip(NEXT) | instid1(VALU_DEP_1)
	v_pk_mul_f32 v[6:7], v[6:7], v[8:9] op_sel_hi:[1,0]
	v_pk_fma_f32 v[2:3], v[2:3], v[10:11], v[6:7] op_sel_hi:[1,0,1]
	s_cbranch_scc0 .LBB19_3
	s_branch .LBB19_5
.LBB19_4:
	s_wait_kmcnt 0x0
	v_mov_b32_e32 v2, s16
.LBB19_5:
	v_lshl_add_u64 v[0:1], v[4:5], 2, s[8:9]
	s_wait_loadcnt 0x0
	s_delay_alu instid0(VALU_DEP_2) | instskip(NEXT) | instid1(VALU_DEP_1)
	v_div_scale_f32 v4, null, v2, v2, v3
	v_rcp_f32_e32 v5, v4
	v_nop
	s_delay_alu instid0(TRANS32_DEP_1) | instskip(NEXT) | instid1(VALU_DEP_1)
	v_fma_f32 v6, -v4, v5, 1.0
	v_fmac_f32_e32 v5, v6, v5
	v_div_scale_f32 v6, vcc_lo, v3, v2, v3
	s_delay_alu instid0(VALU_DEP_1) | instskip(NEXT) | instid1(VALU_DEP_1)
	v_mul_f32_e32 v7, v6, v5
	v_fma_f32 v8, -v4, v7, v6
	s_delay_alu instid0(VALU_DEP_1) | instskip(NEXT) | instid1(VALU_DEP_1)
	v_fmac_f32_e32 v7, v8, v5
	v_fma_f32 v4, -v4, v7, v6
	s_delay_alu instid0(VALU_DEP_1) | instskip(NEXT) | instid1(VALU_DEP_1)
	v_div_fmas_f32 v4, v4, v5, v7
	v_div_fixup_f32 v2, v4, v2, v3
	global_store_b32 v[0:1], v2, off
.LBB19_6:
	s_endpgm
	.section	.rodata,"a",@progbits
	.p2align	6, 0x0
	.amdhsa_kernel _ZL33flash_attn_stream_k_fixup_uniformILi96ELi16ELi4EEvPfPK15HIP_vector_typeIfLj2EEiiiiiiS1_IjLj3EES5_S5_
		.amdhsa_group_segment_fixed_size 0
		.amdhsa_private_segment_fixed_size 0
		.amdhsa_kernarg_size 76
		.amdhsa_user_sgpr_count 2
		.amdhsa_user_sgpr_dispatch_ptr 0
		.amdhsa_user_sgpr_queue_ptr 0
		.amdhsa_user_sgpr_kernarg_segment_ptr 1
		.amdhsa_user_sgpr_dispatch_id 0
		.amdhsa_user_sgpr_kernarg_preload_length 0
		.amdhsa_user_sgpr_kernarg_preload_offset 0
		.amdhsa_user_sgpr_private_segment_size 0
		.amdhsa_wavefront_size32 1
		.amdhsa_uses_dynamic_stack 0
		.amdhsa_enable_private_segment 0
		.amdhsa_system_sgpr_workgroup_id_x 1
		.amdhsa_system_sgpr_workgroup_id_y 1
		.amdhsa_system_sgpr_workgroup_id_z 1
		.amdhsa_system_sgpr_workgroup_info 0
		.amdhsa_system_vgpr_workitem_id 0
		.amdhsa_next_free_vgpr 12
		.amdhsa_next_free_sgpr 21
		.amdhsa_named_barrier_count 0
		.amdhsa_reserve_vcc 1
		.amdhsa_float_round_mode_32 0
		.amdhsa_float_round_mode_16_64 0
		.amdhsa_float_denorm_mode_32 3
		.amdhsa_float_denorm_mode_16_64 3
		.amdhsa_fp16_overflow 0
		.amdhsa_memory_ordered 1
		.amdhsa_forward_progress 1
		.amdhsa_inst_pref_size 9
		.amdhsa_round_robin_scheduling 0
		.amdhsa_exception_fp_ieee_invalid_op 0
		.amdhsa_exception_fp_denorm_src 0
		.amdhsa_exception_fp_ieee_div_zero 0
		.amdhsa_exception_fp_ieee_overflow 0
		.amdhsa_exception_fp_ieee_underflow 0
		.amdhsa_exception_fp_ieee_inexact 0
		.amdhsa_exception_int_div_zero 0
	.end_amdhsa_kernel
	.section	.text._ZL33flash_attn_stream_k_fixup_uniformILi96ELi16ELi4EEvPfPK15HIP_vector_typeIfLj2EEiiiiiiS1_IjLj3EES5_S5_,"axG",@progbits,_ZL33flash_attn_stream_k_fixup_uniformILi96ELi16ELi4EEvPfPK15HIP_vector_typeIfLj2EEiiiiiiS1_IjLj3EES5_S5_,comdat
.Lfunc_end19:
	.size	_ZL33flash_attn_stream_k_fixup_uniformILi96ELi16ELi4EEvPfPK15HIP_vector_typeIfLj2EEiiiiiiS1_IjLj3EES5_S5_, .Lfunc_end19-_ZL33flash_attn_stream_k_fixup_uniformILi96ELi16ELi4EEvPfPK15HIP_vector_typeIfLj2EEiiiiiiS1_IjLj3EES5_S5_
                                        ; -- End function
	.set _ZL33flash_attn_stream_k_fixup_uniformILi96ELi16ELi4EEvPfPK15HIP_vector_typeIfLj2EEiiiiiiS1_IjLj3EES5_S5_.num_vgpr, 12
	.set _ZL33flash_attn_stream_k_fixup_uniformILi96ELi16ELi4EEvPfPK15HIP_vector_typeIfLj2EEiiiiiiS1_IjLj3EES5_S5_.num_agpr, 0
	.set _ZL33flash_attn_stream_k_fixup_uniformILi96ELi16ELi4EEvPfPK15HIP_vector_typeIfLj2EEiiiiiiS1_IjLj3EES5_S5_.numbered_sgpr, 21
	.set _ZL33flash_attn_stream_k_fixup_uniformILi96ELi16ELi4EEvPfPK15HIP_vector_typeIfLj2EEiiiiiiS1_IjLj3EES5_S5_.num_named_barrier, 0
	.set _ZL33flash_attn_stream_k_fixup_uniformILi96ELi16ELi4EEvPfPK15HIP_vector_typeIfLj2EEiiiiiiS1_IjLj3EES5_S5_.private_seg_size, 0
	.set _ZL33flash_attn_stream_k_fixup_uniformILi96ELi16ELi4EEvPfPK15HIP_vector_typeIfLj2EEiiiiiiS1_IjLj3EES5_S5_.uses_vcc, 1
	.set _ZL33flash_attn_stream_k_fixup_uniformILi96ELi16ELi4EEvPfPK15HIP_vector_typeIfLj2EEiiiiiiS1_IjLj3EES5_S5_.uses_flat_scratch, 0
	.set _ZL33flash_attn_stream_k_fixup_uniformILi96ELi16ELi4EEvPfPK15HIP_vector_typeIfLj2EEiiiiiiS1_IjLj3EES5_S5_.has_dyn_sized_stack, 0
	.set _ZL33flash_attn_stream_k_fixup_uniformILi96ELi16ELi4EEvPfPK15HIP_vector_typeIfLj2EEiiiiiiS1_IjLj3EES5_S5_.has_recursion, 0
	.set _ZL33flash_attn_stream_k_fixup_uniformILi96ELi16ELi4EEvPfPK15HIP_vector_typeIfLj2EEiiiiiiS1_IjLj3EES5_S5_.has_indirect_call, 0
	.section	.AMDGPU.csdata,"",@progbits
; Kernel info:
; codeLenInByte = 1084
; TotalNumSgprs: 23
; NumVgprs: 12
; ScratchSize: 0
; MemoryBound: 0
; FloatMode: 240
; IeeeMode: 1
; LDSByteSize: 0 bytes/workgroup (compile time only)
; SGPRBlocks: 0
; VGPRBlocks: 0
; NumSGPRsForWavesPerEU: 23
; NumVGPRsForWavesPerEU: 12
; NamedBarCnt: 0
; Occupancy: 16
; WaveLimiterHint : 0
; COMPUTE_PGM_RSRC2:SCRATCH_EN: 0
; COMPUTE_PGM_RSRC2:USER_SGPR: 2
; COMPUTE_PGM_RSRC2:TRAP_HANDLER: 0
; COMPUTE_PGM_RSRC2:TGID_X_EN: 1
; COMPUTE_PGM_RSRC2:TGID_Y_EN: 1
; COMPUTE_PGM_RSRC2:TGID_Z_EN: 1
; COMPUTE_PGM_RSRC2:TIDIG_COMP_CNT: 0
	.section	.text._ZL33flash_attn_stream_k_fixup_generalILi96ELi16ELi4EEvPfPK15HIP_vector_typeIfLj2EEiiiiS1_IjLj3EES5_S5_S5_,"axG",@progbits,_ZL33flash_attn_stream_k_fixup_generalILi96ELi16ELi4EEvPfPK15HIP_vector_typeIfLj2EEiiiiS1_IjLj3EES5_S5_S5_,comdat
	.globl	_ZL33flash_attn_stream_k_fixup_generalILi96ELi16ELi4EEvPfPK15HIP_vector_typeIfLj2EEiiiiS1_IjLj3EES5_S5_S5_ ; -- Begin function _ZL33flash_attn_stream_k_fixup_generalILi96ELi16ELi4EEvPfPK15HIP_vector_typeIfLj2EEiiiiS1_IjLj3EES5_S5_S5_
	.p2align	8
	.type	_ZL33flash_attn_stream_k_fixup_generalILi96ELi16ELi4EEvPfPK15HIP_vector_typeIfLj2EEiiiiS1_IjLj3EES5_S5_S5_,@function
_ZL33flash_attn_stream_k_fixup_generalILi96ELi16ELi4EEvPfPK15HIP_vector_typeIfLj2EEiiiiS1_IjLj3EES5_S5_S5_: ; @_ZL33flash_attn_stream_k_fixup_generalILi96ELi16ELi4EEvPfPK15HIP_vector_typeIfLj2EEiiiiS1_IjLj3EES5_S5_S5_
; %bb.0:
	s_clause 0x1
	s_load_b128 s[4:7], s[0:1], 0x10
	s_load_b32 s16, s[0:1], 0x50
	s_bfe_u32 s2, ttmp6, 0x4000c
	s_and_b32 s3, ttmp6, 15
	s_add_co_i32 s2, s2, 1
	s_getreg_b32 s15, hwreg(HW_REG_IB_STS2, 6, 4)
	s_mul_i32 s2, ttmp9, s2
	s_mov_b32 s17, 0
	s_add_co_i32 s3, s3, s2
	s_cmp_eq_u32 s15, 0
	s_cselect_b32 s2, ttmp9, s3
	s_delay_alu instid0(SALU_CYCLE_1) | instskip(SKIP_3) | instid1(SALU_CYCLE_1)
	s_ashr_i32 s3, s2, 31
	s_wait_kmcnt 0x0
	s_ashr_i32 s19, s7, 31
	s_mov_b32 s18, s7
	s_mul_u64 s[8:9], s[18:19], s[2:3]
	s_delay_alu instid0(SALU_CYCLE_1) | instskip(NEXT) | instid1(SALU_CYCLE_1)
	s_and_b64 s[10:11], s[8:9], 0xffffffff00000000
	s_cmp_lg_u64 s[10:11], 0
	s_cbranch_scc0 .LBB20_21
; %bb.1:
	s_add_nc_u64 s[10:11], s[16:17], 0
	s_mov_b32 s23, s17
	s_xor_b64 s[10:11], s[10:11], 0
	s_mov_b32 s27, s17
	s_cvt_f32_u32 s3, s10
	s_cvt_f32_u32 s7, s11
	s_sub_nc_u64 s[20:21], 0, s[10:11]
	s_delay_alu instid0(SALU_CYCLE_2) | instskip(NEXT) | instid1(SALU_CYCLE_3)
	s_fmamk_f32 s3, s7, 0x4f800000, s3
	v_s_rcp_f32 s3, s3
	s_delay_alu instid0(TRANS32_DEP_1) | instskip(NEXT) | instid1(SALU_CYCLE_3)
	s_mul_f32 s3, s3, 0x5f7ffffc
	s_mul_f32 s7, s3, 0x2f800000
	s_delay_alu instid0(SALU_CYCLE_3) | instskip(NEXT) | instid1(SALU_CYCLE_3)
	s_trunc_f32 s7, s7
	s_fmamk_f32 s3, s7, 0xcf800000, s3
	s_cvt_u32_f32 s13, s7
	s_delay_alu instid0(SALU_CYCLE_2) | instskip(NEXT) | instid1(SALU_CYCLE_3)
	s_cvt_u32_f32 s12, s3
	s_mul_u64 s[24:25], s[20:21], s[12:13]
	s_delay_alu instid0(SALU_CYCLE_1)
	s_mul_hi_u32 s29, s12, s25
	s_mul_i32 s28, s12, s25
	s_mul_hi_u32 s22, s12, s24
	s_mul_i32 s7, s13, s24
	s_add_nc_u64 s[22:23], s[22:23], s[28:29]
	s_mul_hi_u32 s3, s13, s24
	s_mul_hi_u32 s14, s13, s25
	s_add_co_u32 s7, s22, s7
	s_add_co_ci_u32 s26, s23, s3
	s_mul_i32 s24, s13, s25
	s_add_co_ci_u32 s25, s14, 0
	s_delay_alu instid0(SALU_CYCLE_1) | instskip(SKIP_3) | instid1(SALU_CYCLE_1)
	s_add_nc_u64 s[22:23], s[26:27], s[24:25]
	s_mov_b32 s25, s17
	s_add_co_u32 s12, s12, s22
	s_cselect_b32 s3, -1, 0
	s_cmp_lg_u32 s3, 0
	s_add_co_ci_u32 s13, s13, s23
	s_mov_b32 s23, s17
	s_mul_u64 s[20:21], s[20:21], s[12:13]
	s_delay_alu instid0(SALU_CYCLE_1)
	s_mul_hi_u32 s27, s12, s21
	s_mul_i32 s26, s12, s21
	s_mul_hi_u32 s22, s12, s20
	s_mul_i32 s7, s13, s20
	s_add_nc_u64 s[22:23], s[22:23], s[26:27]
	s_mul_hi_u32 s3, s13, s20
	s_mul_hi_u32 s14, s13, s21
	s_add_co_u32 s7, s22, s7
	s_add_co_ci_u32 s24, s23, s3
	s_mul_i32 s20, s13, s21
	s_add_co_ci_u32 s21, s14, 0
	s_mov_b32 s23, s17
	s_add_nc_u64 s[20:21], s[24:25], s[20:21]
	s_delay_alu instid0(SALU_CYCLE_1) | instskip(SKIP_1) | instid1(SALU_CYCLE_1)
	s_add_co_u32 s3, s12, s20
	s_cselect_b32 s7, -1, 0
	s_cmp_lg_u32 s7, 0
	s_add_co_ci_u32 s7, s13, s21
	s_ashr_i32 s12, s9, 31
	s_delay_alu instid0(SALU_CYCLE_1) | instskip(NEXT) | instid1(SALU_CYCLE_1)
	s_mov_b32 s13, s12
	s_add_nc_u64 s[20:21], s[8:9], s[12:13]
	s_delay_alu instid0(SALU_CYCLE_1) | instskip(NEXT) | instid1(SALU_CYCLE_1)
	s_xor_b64 s[20:21], s[20:21], s[12:13]
	s_mul_hi_u32 s27, s20, s7
	s_mul_i32 s26, s20, s7
	s_mul_hi_u32 s22, s20, s3
	s_mul_hi_u32 s14, s21, s3
	s_mul_i32 s3, s21, s3
	s_add_nc_u64 s[22:23], s[22:23], s[26:27]
	s_mul_hi_u32 s9, s21, s7
	s_add_co_u32 s3, s22, s3
	s_add_co_ci_u32 s24, s23, s14
	s_mul_i32 s26, s21, s7
	s_add_co_ci_u32 s27, s9, 0
	s_delay_alu instid0(SALU_CYCLE_1) | instskip(NEXT) | instid1(SALU_CYCLE_1)
	s_add_nc_u64 s[22:23], s[24:25], s[26:27]
	s_and_b64 s[24:25], s[22:23], 0xffffffff00000000
	s_delay_alu instid0(SALU_CYCLE_1) | instskip(NEXT) | instid1(SALU_CYCLE_1)
	s_or_b32 s24, s24, s22
	s_mul_u64 s[22:23], s[10:11], s[24:25]
	s_add_nc_u64 s[26:27], s[24:25], 1
	s_sub_co_u32 s3, s20, s22
	s_cselect_b32 s7, -1, 0
	s_sub_co_i32 s9, s21, s23
	s_cmp_lg_u32 s7, 0
	s_add_nc_u64 s[28:29], s[24:25], 2
	s_sub_co_ci_u32 s9, s9, s11
	s_sub_co_u32 s14, s3, s10
	s_cselect_b32 s20, -1, 0
	s_delay_alu instid0(SALU_CYCLE_1) | instskip(SKIP_1) | instid1(SALU_CYCLE_1)
	s_cmp_lg_u32 s20, 0
	s_sub_co_ci_u32 s9, s9, 0
	s_cmp_ge_u32 s9, s11
	s_cselect_b32 s20, -1, 0
	s_cmp_ge_u32 s14, s10
	s_cselect_b32 s14, -1, 0
	s_cmp_eq_u32 s9, s11
	s_cselect_b32 s9, s14, s20
	s_delay_alu instid0(SALU_CYCLE_1) | instskip(SKIP_4) | instid1(SALU_CYCLE_1)
	s_cmp_lg_u32 s9, 0
	s_cselect_b32 s9, s28, s26
	s_cselect_b32 s14, s29, s27
	s_cmp_lg_u32 s7, 0
	s_sub_co_ci_u32 s7, s21, s23
	s_cmp_ge_u32 s7, s11
	s_cselect_b32 s20, -1, 0
	s_cmp_ge_u32 s3, s10
	s_cselect_b32 s3, -1, 0
	s_cmp_eq_u32 s7, s11
	s_cselect_b32 s3, s3, s20
	s_delay_alu instid0(SALU_CYCLE_1) | instskip(SKIP_4) | instid1(SALU_CYCLE_1)
	s_cmp_lg_u32 s3, 0
	s_mov_b32 s3, s17
	s_cselect_b32 s11, s14, s25
	s_cselect_b32 s10, s9, s24
	s_xor_b64 s[12:13], s[12:13], 0
	s_xor_b64 s[10:11], s[10:11], s[12:13]
	s_delay_alu instid0(SALU_CYCLE_1)
	s_sub_nc_u64 s[20:21], s[10:11], s[12:13]
	s_and_not1_b32 vcc_lo, exec_lo, s3
	s_cbranch_vccnz .LBB20_3
.LBB20_2:
	v_cvt_f32_u32_e32 v1, s16
	s_sub_co_i32 s7, 0, s16
	s_mov_b32 s21, 0
	s_delay_alu instid0(VALU_DEP_1) | instskip(SKIP_1) | instid1(TRANS32_DEP_1)
	v_rcp_iflag_f32_e32 v1, v1
	v_nop
	v_mul_f32_e32 v1, 0x4f7ffffe, v1
	s_delay_alu instid0(VALU_DEP_1) | instskip(NEXT) | instid1(VALU_DEP_1)
	v_cvt_u32_f32_e32 v1, v1
	v_readfirstlane_b32 s3, v1
	s_mul_i32 s7, s7, s3
	s_delay_alu instid0(SALU_CYCLE_1) | instskip(NEXT) | instid1(SALU_CYCLE_1)
	s_mul_hi_u32 s7, s3, s7
	s_add_co_i32 s3, s3, s7
	s_delay_alu instid0(SALU_CYCLE_1) | instskip(NEXT) | instid1(SALU_CYCLE_1)
	s_mul_hi_u32 s3, s8, s3
	s_mul_i32 s7, s3, s16
	s_delay_alu instid0(SALU_CYCLE_1)
	s_sub_co_i32 s7, s8, s7
	s_add_co_i32 s8, s3, 1
	s_sub_co_i32 s9, s7, s16
	s_cmp_ge_u32 s7, s16
	s_cselect_b32 s3, s8, s3
	s_cselect_b32 s7, s9, s7
	s_add_co_i32 s8, s3, 1
	s_cmp_ge_u32 s7, s16
	s_cselect_b32 s20, s8, s3
.LBB20_3:
	s_add_co_i32 s8, s2, 1
	s_delay_alu instid0(SALU_CYCLE_1) | instskip(NEXT) | instid1(SALU_CYCLE_1)
	s_ashr_i32 s9, s8, 31
	s_mul_u64 s[8:9], s[18:19], s[8:9]
	s_delay_alu instid0(SALU_CYCLE_1) | instskip(NEXT) | instid1(SALU_CYCLE_1)
	s_and_b64 s[10:11], s[8:9], 0xffffffff00000000
	s_cmp_lg_u64 s[10:11], 0
	s_cbranch_scc0 .LBB20_22
; %bb.4:
	s_add_nc_u64 s[10:11], s[16:17], 0
	s_delay_alu instid0(SALU_CYCLE_1) | instskip(SKIP_4) | instid1(SALU_CYCLE_2)
	s_xor_b64 s[12:13], s[10:11], 0
	s_mov_b32 s11, 0
	s_cvt_f32_u32 s3, s12
	s_cvt_f32_u32 s7, s13
	s_sub_nc_u64 s[24:25], 0, s[12:13]
	s_fmamk_f32 s3, s7, 0x4f800000, s3
	s_delay_alu instid0(SALU_CYCLE_3) | instskip(NEXT) | instid1(TRANS32_DEP_1)
	v_s_rcp_f32 s3, s3
	s_mul_f32 s3, s3, 0x5f7ffffc
	s_delay_alu instid0(SALU_CYCLE_3) | instskip(NEXT) | instid1(SALU_CYCLE_3)
	s_mul_f32 s7, s3, 0x2f800000
	s_trunc_f32 s7, s7
	s_delay_alu instid0(SALU_CYCLE_3) | instskip(SKIP_1) | instid1(SALU_CYCLE_2)
	s_fmamk_f32 s3, s7, 0xcf800000, s3
	s_cvt_u32_f32 s23, s7
	s_cvt_u32_f32 s22, s3
	s_delay_alu instid0(SALU_CYCLE_3) | instskip(NEXT) | instid1(SALU_CYCLE_1)
	s_mul_u64 s[26:27], s[24:25], s[22:23]
	s_mul_hi_u32 s29, s22, s27
	s_mul_i32 s28, s22, s27
	s_mul_hi_u32 s10, s22, s26
	s_mul_i32 s7, s23, s26
	s_add_nc_u64 s[28:29], s[10:11], s[28:29]
	s_mul_hi_u32 s3, s23, s26
	s_mul_hi_u32 s14, s23, s27
	s_add_co_u32 s7, s28, s7
	s_add_co_ci_u32 s10, s29, s3
	s_mul_i32 s26, s23, s27
	s_add_co_ci_u32 s27, s14, 0
	s_delay_alu instid0(SALU_CYCLE_1) | instskip(NEXT) | instid1(SALU_CYCLE_1)
	s_add_nc_u64 s[26:27], s[10:11], s[26:27]
	s_add_co_u32 s22, s22, s26
	s_cselect_b32 s3, -1, 0
	s_delay_alu instid0(SALU_CYCLE_1) | instskip(SKIP_1) | instid1(SALU_CYCLE_1)
	s_cmp_lg_u32 s3, 0
	s_add_co_ci_u32 s23, s23, s27
	s_mul_u64 s[24:25], s[24:25], s[22:23]
	s_delay_alu instid0(SALU_CYCLE_1)
	s_mul_hi_u32 s27, s22, s25
	s_mul_i32 s26, s22, s25
	s_mul_hi_u32 s10, s22, s24
	s_mul_i32 s7, s23, s24
	s_add_nc_u64 s[26:27], s[10:11], s[26:27]
	s_mul_hi_u32 s3, s23, s24
	s_mul_hi_u32 s14, s23, s25
	s_add_co_u32 s7, s26, s7
	s_add_co_ci_u32 s10, s27, s3
	s_mul_i32 s24, s23, s25
	s_add_co_ci_u32 s25, s14, 0
	s_delay_alu instid0(SALU_CYCLE_1) | instskip(NEXT) | instid1(SALU_CYCLE_1)
	s_add_nc_u64 s[24:25], s[10:11], s[24:25]
	s_add_co_u32 s3, s22, s24
	s_cselect_b32 s7, -1, 0
	s_delay_alu instid0(SALU_CYCLE_1) | instskip(SKIP_2) | instid1(SALU_CYCLE_1)
	s_cmp_lg_u32 s7, 0
	s_add_co_ci_u32 s7, s23, s25
	s_ashr_i32 s22, s9, 31
	s_mov_b32 s23, s22
	s_delay_alu instid0(SALU_CYCLE_1) | instskip(NEXT) | instid1(SALU_CYCLE_1)
	s_add_nc_u64 s[24:25], s[8:9], s[22:23]
	s_xor_b64 s[24:25], s[24:25], s[22:23]
	s_delay_alu instid0(SALU_CYCLE_1)
	s_mul_hi_u32 s27, s24, s7
	s_mul_i32 s26, s24, s7
	s_mul_hi_u32 s10, s24, s3
	s_mul_hi_u32 s14, s25, s3
	s_mul_i32 s3, s25, s3
	s_add_nc_u64 s[26:27], s[10:11], s[26:27]
	s_mul_hi_u32 s9, s25, s7
	s_add_co_u32 s3, s26, s3
	s_add_co_ci_u32 s10, s27, s14
	s_mul_i32 s28, s25, s7
	s_add_co_ci_u32 s29, s9, 0
	s_delay_alu instid0(SALU_CYCLE_1) | instskip(NEXT) | instid1(SALU_CYCLE_1)
	s_add_nc_u64 s[26:27], s[10:11], s[28:29]
	s_and_b64 s[28:29], s[26:27], 0xffffffff00000000
	s_delay_alu instid0(SALU_CYCLE_1) | instskip(NEXT) | instid1(SALU_CYCLE_1)
	s_or_b32 s28, s28, s26
	s_mul_u64 s[26:27], s[12:13], s[28:29]
	s_add_nc_u64 s[30:31], s[28:29], 1
	s_sub_co_u32 s3, s24, s26
	s_cselect_b32 s7, -1, 0
	s_sub_co_i32 s9, s25, s27
	s_cmp_lg_u32 s7, 0
	s_add_nc_u64 s[34:35], s[28:29], 2
	s_sub_co_ci_u32 s9, s9, s13
	s_sub_co_u32 s10, s3, s12
	s_cselect_b32 s14, -1, 0
	s_delay_alu instid0(SALU_CYCLE_1) | instskip(SKIP_1) | instid1(SALU_CYCLE_1)
	s_cmp_lg_u32 s14, 0
	s_sub_co_ci_u32 s9, s9, 0
	s_cmp_ge_u32 s9, s13
	s_cselect_b32 s14, -1, 0
	s_cmp_ge_u32 s10, s12
	s_cselect_b32 s10, -1, 0
	s_cmp_eq_u32 s9, s13
	s_cselect_b32 s9, s10, s14
	s_delay_alu instid0(SALU_CYCLE_1) | instskip(SKIP_4) | instid1(SALU_CYCLE_1)
	s_cmp_lg_u32 s9, 0
	s_cselect_b32 s9, s34, s30
	s_cselect_b32 s10, s35, s31
	s_cmp_lg_u32 s7, 0
	s_sub_co_ci_u32 s7, s25, s27
	s_cmp_ge_u32 s7, s13
	s_cselect_b32 s14, -1, 0
	s_cmp_ge_u32 s3, s12
	s_cselect_b32 s3, -1, 0
	s_cmp_eq_u32 s7, s13
	s_cselect_b32 s3, s3, s14
	s_delay_alu instid0(SALU_CYCLE_1) | instskip(SKIP_3) | instid1(SALU_CYCLE_1)
	s_cmp_lg_u32 s3, 0
	s_cselect_b32 s13, s10, s29
	s_cselect_b32 s12, s9, s28
	s_xor_b64 s[22:23], s[22:23], 0
	s_xor_b64 s[12:13], s[12:13], s[22:23]
	s_delay_alu instid0(SALU_CYCLE_1)
	s_sub_nc_u64 s[24:25], s[12:13], s[22:23]
	s_load_b96 s[12:14], s[0:1], 0x44
	s_cbranch_execnz .LBB20_6
.LBB20_5:
	v_cvt_f32_u32_e32 v1, s16
	s_sub_co_i32 s7, 0, s16
	s_delay_alu instid0(VALU_DEP_1) | instskip(SKIP_1) | instid1(TRANS32_DEP_1)
	v_rcp_iflag_f32_e32 v1, v1
	v_nop
	v_mul_f32_e32 v1, 0x4f7ffffe, v1
	s_delay_alu instid0(VALU_DEP_1) | instskip(NEXT) | instid1(VALU_DEP_1)
	v_cvt_u32_f32_e32 v1, v1
	v_readfirstlane_b32 s3, v1
	s_mul_i32 s7, s7, s3
	s_delay_alu instid0(SALU_CYCLE_1) | instskip(NEXT) | instid1(SALU_CYCLE_1)
	s_mul_hi_u32 s7, s3, s7
	s_add_co_i32 s3, s3, s7
	s_delay_alu instid0(SALU_CYCLE_1) | instskip(NEXT) | instid1(SALU_CYCLE_1)
	s_mul_hi_u32 s3, s8, s3
	s_mul_i32 s7, s3, s16
	s_delay_alu instid0(SALU_CYCLE_1)
	s_sub_co_i32 s7, s8, s7
	s_add_co_i32 s8, s3, 1
	s_sub_co_i32 s9, s7, s16
	s_cmp_ge_u32 s7, s16
	s_cselect_b32 s3, s8, s3
	s_cselect_b32 s7, s9, s7
	s_add_co_i32 s8, s3, 1
	s_cmp_ge_u32 s7, s16
	s_cselect_b32 s24, s8, s3
.LBB20_6:
	s_delay_alu instid0(SALU_CYCLE_1)
	s_cmp_eq_u32 s20, s24
	s_mov_b64 s[8:9], 0xffffffff
	s_cselect_b32 s3, -1, 0
	s_and_b64 s[8:9], s[20:21], s[8:9]
	s_mov_b32 s23, 0
	s_wait_kmcnt 0x0
	s_mov_b32 s22, s12
	s_mov_b32 s25, s23
	s_mul_u64 s[10:11], s[8:9], s[22:23]
	s_delay_alu instid0(SALU_CYCLE_1) | instskip(SKIP_2) | instid1(SALU_CYCLE_1)
	s_add_co_i32 s7, s11, s20
	s_mul_u64 s[10:11], s[24:25], s[22:23]
	s_lshr_b32 s12, s7, s13
	s_mul_i32 s7, s12, s14
	s_delay_alu instid0(SALU_CYCLE_1) | instskip(SKIP_2) | instid1(SALU_CYCLE_1)
	s_cmp_eq_u32 s7, s20
	s_cselect_b32 s7, -1, 0
	s_add_co_i32 s10, s11, s24
	s_lshr_b32 s10, s10, s13
	s_delay_alu instid0(SALU_CYCLE_1)
	s_cmp_eq_u32 s12, s10
	s_mul_i32 s10, s10, s14
	s_cselect_b32 s11, -1, 0
	s_cmp_lg_u32 s10, s24
	s_cselect_b32 s10, -1, 0
	s_or_b32 s3, s3, s7
	s_and_b32 s10, s11, s10
	s_delay_alu instid0(SALU_CYCLE_1) | instskip(NEXT) | instid1(SALU_CYCLE_1)
	s_or_b32 s3, s3, s10
	s_and_b32 vcc_lo, exec_lo, s3
	s_cbranch_vccnz .LBB20_24
; %bb.7:
	s_load_b256 s[24:31], s[0:1], 0x20
	s_bfe_u32 s7, ttmp6, 0x40014
	s_bfe_u32 s33, ttmp6, 0x40010
	s_lshr_b32 s3, ttmp7, 16
	s_add_co_i32 s7, s7, 1
	s_and_b32 s21, ttmp7, 0xffff
	s_add_co_i32 s33, s33, 1
	s_bfe_u32 s10, ttmp6, 0x40008
	s_mul_i32 s7, s3, s7
	s_bfe_u32 s34, ttmp6, 0x40004
	s_mul_i32 s33, s21, s33
	s_mov_b32 s11, s23
	s_add_co_i32 s35, s10, s7
	s_add_co_i32 s34, s34, s33
	s_cmp_eq_u32 s15, 0
	s_cselect_b32 s7, s21, s34
	s_cselect_b32 s3, s3, s35
	s_wait_kmcnt 0x0
	s_mov_b32 s10, s24
	s_delay_alu instid0(SALU_CYCLE_1) | instskip(NEXT) | instid1(SALU_CYCLE_1)
	s_mul_u64 s[8:9], s[8:9], s[10:11]
	s_add_co_i32 s8, s9, s20
	s_delay_alu instid0(SALU_CYCLE_1) | instskip(SKIP_2) | instid1(SALU_CYCLE_1)
	s_lshr_b32 s15, s8, s25
	s_load_b32 s8, s[0:1], 0x40
	s_mul_i32 s9, s15, s26
	s_sub_co_i32 s9, s20, s9
	s_delay_alu instid0(SALU_CYCLE_1) | instskip(NEXT) | instid1(SALU_CYCLE_1)
	s_mul_hi_u32 s10, s9, s27
	s_add_co_i32 s10, s9, s10
	s_delay_alu instid0(SALU_CYCLE_1) | instskip(NEXT) | instid1(SALU_CYCLE_1)
	s_lshr_b32 s21, s10, s28
	s_mul_i32 s10, s21, s29
	s_delay_alu instid0(SALU_CYCLE_1) | instskip(NEXT) | instid1(SALU_CYCLE_1)
	s_sub_co_i32 s10, s9, s10
	s_mul_hi_u32 s9, s10, s30
	s_delay_alu instid0(SALU_CYCLE_1) | instskip(NEXT) | instid1(SALU_CYCLE_1)
	s_add_co_i32 s9, s10, s9
	s_lshr_b32 s25, s9, s31
	s_mov_b32 s9, s23
	s_wait_kmcnt 0x0
	s_mul_i32 s8, s25, s8
	s_lshl_b32 s25, s25, 2
	s_sub_co_i32 s8, s10, s8
	s_delay_alu instid0(SALU_CYCLE_1) | instskip(NEXT) | instid1(SALU_CYCLE_1)
	s_mul_u64 s[10:11], s[8:9], s[22:23]
	s_add_co_i32 s8, s8, s11
	s_delay_alu instid0(SALU_CYCLE_1) | instskip(NEXT) | instid1(SALU_CYCLE_1)
	s_lshr_b32 s24, s8, s13
	s_lshl_b32 s8, s24, 4
	s_delay_alu instid0(SALU_CYCLE_1) | instskip(NEXT) | instid1(SALU_CYCLE_1)
	s_add_co_i32 s8, s8, s7
	s_cmp_lt_i32 s8, s4
	s_cselect_b32 s8, -1, 0
	s_add_co_i32 s25, s25, s3
	s_delay_alu instid0(SALU_CYCLE_1) | instskip(SKIP_1) | instid1(SALU_CYCLE_1)
	s_cmp_lt_i32 s25, s6
	s_cselect_b32 s9, -1, 0
	s_and_b32 s8, s8, s9
	s_delay_alu instid0(SALU_CYCLE_1)
	s_and_not1_b32 vcc_lo, exec_lo, s8
	s_cbranch_vccnz .LBB20_24
; %bb.8:
	s_load_b128 s[8:11], s[0:1], 0x0
	s_wait_xcnt 0x0
	s_mul_i32 s0, s15, s4
	s_mul_i32 s21, s21, s6
	s_add_co_i32 s0, s0, s7
	s_add_co_i32 s1, s25, s21
	s_mul_i32 s0, s0, s5
	s_mul_i32 s4, s5, s24
	s_add_co_i32 s0, s1, s0
	s_mulk_i32 s4, 0x600
	s_mulk_i32 s0, 0x60
	s_lshl_b32 s15, s7, 2
	v_add3_u32 v2, s4, s0, v0
	s_add_nc_u64 s[0:1], s[16:17], 0
	s_add_co_i32 s15, s15, s3
	s_xor_b64 s[6:7], s[0:1], 0
	s_lshl_b32 s0, s2, 6
	s_cvt_f32_u32 s3, s6
	s_cvt_f32_u32 s4, s7
	s_add_co_i32 s0, s15, s0
	v_cvt_f32_u32_e32 v4, s16
	s_wait_kmcnt 0x0
	global_load_b32 v1, v2, s[8:9] scale_offset
	s_fmamk_f32 s3, s4, 0x4f800000, s3
	s_ashr_i32 s1, s0, 31
	s_lshl_b32 s24, s16, 8
	s_lshl_b64 s[0:1], s[0:1], 3
	v_s_rcp_f32 s3, s3
	s_add_nc_u64 s[0:1], s[10:11], s[0:1]
	v_rcp_iflag_f32_e32 v4, v4
	s_load_b64 s[28:29], s[0:1], 0x0
	s_mov_b32 s25, 0
	v_mad_u32 v6, 0x60, s15, v0
	v_ashrrev_i32_e32 v3, 31, v2
	s_wait_xcnt 0x0
	s_lshl_b64 s[0:1], s[24:25], 2
	s_mul_f32 s3, s3, 0x5f7ffffc
	v_mul_f32_e32 v4, 0x4f7ffffe, v4
	s_add_nc_u64 s[26:27], s[10:11], s[0:1]
	v_lshl_add_u64 v[2:3], v[2:3], 2, s[8:9]
	s_mul_f32 s4, s3, 0x2f800000
	s_mov_b64 s[8:9], 0xffffffff
	v_cvt_u32_f32_e32 v7, v4
	s_add_co_i32 s36, s2, -1
	s_trunc_f32 s4, s4
	s_sub_nc_u64 s[34:35], 0, s[6:7]
	s_delay_alu instid0(SALU_CYCLE_2)
	s_fmamk_f32 s0, s4, 0xcf800000, s3
	s_cvt_u32_f32 s31, s4
	s_wait_kmcnt 0x0
	v_mov_b32_e32 v0, s29
	s_cvt_u32_f32 s30, s0
.LBB20_9:                               ; =>This Inner Loop Header: Depth=1
	s_ashr_i32 s37, s36, 31
                                        ; implicit-def: $sgpr40_sgpr41
	s_delay_alu instid0(SALU_CYCLE_1) | instskip(NEXT) | instid1(SALU_CYCLE_1)
	s_mul_u64 s[0:1], s[36:37], s[18:19]
	s_and_b64 s[2:3], s[0:1], 0xffffffff00000000
	s_delay_alu instid0(SALU_CYCLE_1)
	s_cmp_lg_u64 s[2:3], 0
	s_mov_b32 s2, -1
	s_cbranch_scc0 .LBB20_11
; %bb.10:                               ;   in Loop: Header=BB20_9 Depth=1
	s_mul_u64 s[2:3], s[34:35], s[30:31]
	s_delay_alu instid0(SALU_CYCLE_1)
	s_mul_hi_u32 s5, s30, s3
	s_mul_i32 s4, s30, s3
	s_mul_hi_u32 s24, s30, s2
	s_mul_hi_u32 s17, s31, s2
	s_add_nc_u64 s[4:5], s[24:25], s[4:5]
	s_mul_i32 s2, s31, s2
	s_mul_hi_u32 s21, s31, s3
	s_add_co_u32 s2, s4, s2
	s_add_co_ci_u32 s24, s5, s17
	s_add_co_ci_u32 s5, s21, 0
	s_mul_i32 s4, s31, s3
	s_delay_alu instid0(SALU_CYCLE_1) | instskip(NEXT) | instid1(SALU_CYCLE_1)
	s_add_nc_u64 s[2:3], s[24:25], s[4:5]
	s_add_co_u32 s2, s30, s2
	s_cselect_b32 s4, -1, 0
	s_delay_alu instid0(SALU_CYCLE_1) | instskip(SKIP_1) | instid1(SALU_CYCLE_1)
	s_cmp_lg_u32 s4, 0
	s_add_co_ci_u32 s3, s31, s3
	s_mul_u64 s[4:5], s[34:35], s[2:3]
	s_delay_alu instid0(SALU_CYCLE_1)
	s_mul_hi_u32 s39, s2, s5
	s_mul_i32 s38, s2, s5
	s_mul_hi_u32 s24, s2, s4
	s_mul_hi_u32 s17, s3, s4
	s_mul_i32 s4, s3, s4
	s_add_nc_u64 s[38:39], s[24:25], s[38:39]
	s_mul_hi_u32 s21, s3, s5
	s_add_co_u32 s4, s38, s4
	s_add_co_ci_u32 s24, s39, s17
	s_mul_i32 s4, s3, s5
	s_add_co_ci_u32 s5, s21, 0
	s_delay_alu instid0(SALU_CYCLE_1) | instskip(NEXT) | instid1(SALU_CYCLE_1)
	s_add_nc_u64 s[4:5], s[24:25], s[4:5]
	s_add_co_u32 s17, s2, s4
	s_cselect_b32 s2, -1, 0
	s_delay_alu instid0(SALU_CYCLE_1) | instskip(SKIP_2) | instid1(SALU_CYCLE_1)
	s_cmp_lg_u32 s2, 0
	s_add_co_ci_u32 s21, s3, s5
	s_ashr_i32 s2, s1, 31
	s_mov_b32 s3, s2
	s_delay_alu instid0(SALU_CYCLE_1) | instskip(NEXT) | instid1(SALU_CYCLE_1)
	s_add_nc_u64 s[4:5], s[0:1], s[2:3]
	s_xor_b64 s[4:5], s[4:5], s[2:3]
	s_delay_alu instid0(SALU_CYCLE_1)
	s_mul_hi_u32 s39, s4, s21
	s_mul_i32 s38, s4, s21
	s_mul_hi_u32 s24, s4, s17
	s_mul_hi_u32 s29, s5, s17
	s_mul_i32 s17, s5, s17
	s_add_nc_u64 s[38:39], s[24:25], s[38:39]
	s_mul_hi_u32 s1, s5, s21
	s_add_co_u32 s17, s38, s17
	s_add_co_ci_u32 s24, s39, s29
	s_mul_i32 s40, s5, s21
	s_add_co_ci_u32 s41, s1, 0
	s_delay_alu instid0(SALU_CYCLE_1) | instskip(NEXT) | instid1(SALU_CYCLE_1)
	s_add_nc_u64 s[38:39], s[24:25], s[40:41]
	s_and_b64 s[40:41], s[38:39], 0xffffffff00000000
	s_delay_alu instid0(SALU_CYCLE_1) | instskip(NEXT) | instid1(SALU_CYCLE_1)
	s_or_b32 s40, s40, s38
	s_mul_u64 s[38:39], s[6:7], s[40:41]
	s_add_nc_u64 s[42:43], s[40:41], 1
	s_sub_co_u32 s1, s4, s38
	s_cselect_b32 s4, -1, 0
	s_sub_co_i32 s17, s5, s39
	s_cmp_lg_u32 s4, 0
	s_add_nc_u64 s[44:45], s[40:41], 2
	s_sub_co_ci_u32 s17, s17, s7
	s_sub_co_u32 s21, s1, s6
	s_cselect_b32 s24, -1, 0
	s_delay_alu instid0(SALU_CYCLE_1) | instskip(SKIP_1) | instid1(SALU_CYCLE_1)
	s_cmp_lg_u32 s24, 0
	s_sub_co_ci_u32 s17, s17, 0
	s_cmp_ge_u32 s17, s7
	s_cselect_b32 s24, -1, 0
	s_cmp_ge_u32 s21, s6
	s_cselect_b32 s21, -1, 0
	s_cmp_eq_u32 s17, s7
	s_cselect_b32 s17, s21, s24
	s_delay_alu instid0(SALU_CYCLE_1) | instskip(SKIP_4) | instid1(SALU_CYCLE_1)
	s_cmp_lg_u32 s17, 0
	s_cselect_b32 s17, s44, s42
	s_cselect_b32 s21, s45, s43
	s_cmp_lg_u32 s4, 0
	s_sub_co_ci_u32 s4, s5, s39
	s_cmp_ge_u32 s4, s7
	s_cselect_b32 s5, -1, 0
	s_cmp_ge_u32 s1, s6
	s_cselect_b32 s1, -1, 0
	s_cmp_eq_u32 s4, s7
	s_cselect_b32 s1, s1, s5
	s_delay_alu instid0(SALU_CYCLE_1) | instskip(SKIP_3) | instid1(SALU_CYCLE_1)
	s_cmp_lg_u32 s1, 0
	s_cselect_b32 s5, s21, s41
	s_cselect_b32 s4, s17, s40
	s_xor_b64 s[2:3], s[2:3], 0
	s_xor_b64 s[4:5], s[4:5], s[2:3]
	s_delay_alu instid0(SALU_CYCLE_1)
	s_sub_nc_u64 s[40:41], s[4:5], s[2:3]
	s_mov_b32 s2, 0
.LBB20_11:                              ;   in Loop: Header=BB20_9 Depth=1
	s_delay_alu instid0(SALU_CYCLE_1)
	s_and_not1_b32 vcc_lo, exec_lo, s2
	s_cbranch_vccnz .LBB20_13
; %bb.12:                               ;   in Loop: Header=BB20_9 Depth=1
	v_readfirstlane_b32 s1, v7
	s_sub_co_i32 s2, 0, s16
	s_delay_alu instid0(SALU_CYCLE_1) | instskip(NEXT) | instid1(SALU_CYCLE_1)
	s_mul_i32 s2, s2, s1
	s_mul_hi_u32 s2, s1, s2
	s_delay_alu instid0(SALU_CYCLE_1) | instskip(NEXT) | instid1(SALU_CYCLE_1)
	s_add_co_i32 s1, s1, s2
	s_mul_hi_u32 s1, s0, s1
	s_delay_alu instid0(SALU_CYCLE_1) | instskip(NEXT) | instid1(SALU_CYCLE_1)
	s_mul_i32 s2, s1, s16
	s_sub_co_i32 s0, s0, s2
	s_add_co_i32 s2, s1, 1
	s_sub_co_i32 s3, s0, s16
	s_cmp_ge_u32 s0, s16
	s_cselect_b32 s1, s2, s1
	s_cselect_b32 s0, s3, s0
	s_add_co_i32 s2, s1, 1
	s_cmp_ge_u32 s0, s16
	s_cselect_b32 s24, s2, s1
	s_delay_alu instid0(SALU_CYCLE_1)
	s_mov_b64 s[40:41], s[24:25]
.LBB20_13:                              ;   in Loop: Header=BB20_9 Depth=1
	s_delay_alu instid0(SALU_CYCLE_1)
	s_cmp_lg_u32 s20, s40
	s_mov_b32 s0, -1
                                        ; implicit-def: $vgpr4_vgpr5
                                        ; implicit-def: $sgpr24
                                        ; implicit-def: $sgpr17
                                        ; implicit-def: $sgpr21
                                        ; implicit-def: $sgpr29
	s_cbranch_scc0 .LBB20_18
; %bb.14:                               ;   in Loop: Header=BB20_9 Depth=1
	s_add_co_i32 s0, s36, s16
	v_max_num_f32_e64 v4, s28, s28
	s_lshl_b32 s0, s0, 6
	s_mov_b32 s29, s20
	s_add_co_i32 s0, s0, s15
	s_load_b64 s[38:39], s[10:11], s0 offset:0x0 scale_offset
	s_wait_xcnt 0x0
	v_readfirstlane_b32 s0, v4
	s_wait_kmcnt 0x0
	v_max_num_f32_e64 v5, s38, s38
	s_delay_alu instid0(VALU_DEP_1) | instskip(SKIP_1) | instid1(SALU_CYCLE_3)
	v_readfirstlane_b32 s1, v5
	s_max_num_f32 s17, s0, s1
	s_sub_f32 s33, s28, s17
	s_sub_f32 s37, s38, s17
	s_delay_alu instid0(SALU_CYCLE_2)
	s_cmp_nlt_f32 s33, 0xc2ce8ed0
	s_cselect_b32 s1, -1, 0
	s_cmp_ngt_f32 s33, 0x42b17218
	s_cselect_b32 s2, -1, 0
	s_cmp_ge_f32 s33, 0xc1a00000
	s_cselect_b32 s0, -1, 0
	s_cmp_nlt_f32 s37, 0xc2ce8ed0
	s_cselect_b32 s3, -1, 0
	s_cmp_ngt_f32 s37, 0x42b17218
	s_cselect_b32 s4, -1, 0
	s_cmp_ge_f32 s37, 0xc1a00000
	s_cselect_b32 s5, -1, 0
	s_and_b64 s[42:43], s[40:41], s[8:9]
	s_delay_alu instid0(SALU_CYCLE_1) | instskip(NEXT) | instid1(SALU_CYCLE_1)
	s_mul_u64 s[42:43], s[42:43], s[22:23]
	s_add_co_i32 s21, s43, s40
	s_delay_alu instid0(SALU_CYCLE_1) | instskip(NEXT) | instid1(SALU_CYCLE_1)
	s_lshr_b32 s21, s21, s13
	s_mul_i32 s24, s21, s14
	s_delay_alu instid0(SALU_CYCLE_1) | instskip(SKIP_3) | instid1(SALU_CYCLE_1)
	s_cmp_eq_u32 s24, s40
	s_cselect_b32 s24, -1, 0
	s_cmp_lt_u32 s21, s12
	s_cselect_b32 s21, -1, 0
	s_or_b32 s21, s21, s24
	s_mov_b32 s24, -1
	s_and_b32 vcc_lo, exec_lo, s21
	s_mov_b32 s21, s36
	s_cbranch_vccnz .LBB20_16
; %bb.15:                               ;   in Loop: Header=BB20_9 Depth=1
	s_add_co_i32 s21, s36, -1
	s_mov_b32 s24, 0
	s_mov_b32 s29, s40
.LBB20_16:                              ;   in Loop: Header=BB20_9 Depth=1
	v_mad_u32 v4, 0x1800, s36, v6
	s_mul_f32 s40, s33, 0x3fb8aa3b
	s_mul_f32 s38, s37, 0x3fb8aa3b
	s_delay_alu instid0(SALU_CYCLE_2)
	s_xor_b32 s42, s40, 0x80000000
	s_rndne_f32 s44, s40
	s_fmamk_f32 s42, s33, 0x3fb8aa3b, s42
	s_xor_b32 s41, s38, 0x80000000
	s_rndne_f32 s43, s38
	s_sub_f32 s40, s40, s44
	global_load_b32 v5, v4, s[26:27] scale_offset
	s_fmamk_f32 s33, s33, 0x32a5705f, s42
	s_fmamk_f32 s41, s37, 0x3fb8aa3b, s41
	s_sub_f32 s38, s38, s43
	s_delay_alu instid0(SALU_CYCLE_1) | instskip(NEXT) | instid1(SALU_CYCLE_1)
	s_add_f32 s33, s40, s33
	s_fmamk_f32 s37, s37, 0x32a5705f, s41
	s_cvt_i32_f32 s40, s44
	s_delay_alu instid0(SALU_CYCLE_1) | instskip(NEXT) | instid1(SALU_CYCLE_1)
	v_s_exp_f32 s33, s33
	s_add_f32 s37, s38, s37
	s_cvt_i32_f32 s38, s43
	s_delay_alu instid0(SALU_CYCLE_2) | instskip(NEXT) | instid1(TRANS32_DEP_2)
	v_s_exp_f32 s37, s37
	v_ldexp_f32 v8, s33, s40
	s_wait_xcnt 0x0
	s_delay_alu instid0(TRANS32_DEP_1) | instskip(NEXT) | instid1(VALU_DEP_2)
	v_ldexp_f32 v4, s37, s38
	v_cndmask_b32_e64 v8, 0, v8, s1
	s_delay_alu instid0(VALU_DEP_1) | instskip(NEXT) | instid1(VALU_DEP_1)
	v_cndmask_b32_e64 v9, 0x7f800000, v8, s2
	v_dual_cndmask_b32 v4, 0, v4, s3 :: v_dual_cndmask_b32 v10, 0, v9, s0
	s_delay_alu instid0(VALU_DEP_1) | instskip(NEXT) | instid1(VALU_DEP_1)
	v_cndmask_b32_e64 v4, 0x7f800000, v4, s4
	v_dual_cndmask_b32 v8, 0, v4, s5 :: v_dual_mov_b32 v4, s39
	s_wait_loadcnt 0x0
	s_delay_alu instid0(VALU_DEP_1) | instskip(NEXT) | instid1(VALU_DEP_1)
	v_pk_mul_f32 v[4:5], v[4:5], v[8:9] op_sel_hi:[1,0]
	v_pk_fma_f32 v[4:5], v[0:1], v[10:11], v[4:5] op_sel_hi:[1,0,1]
	s_cbranch_execz .LBB20_19
.LBB20_17:                              ;   in Loop: Header=BB20_9 Depth=1
	s_and_not1_b32 vcc_lo, exec_lo, s24
	s_cbranch_vccnz .LBB20_20
	s_branch .LBB20_23
.LBB20_18:                              ;   in Loop: Header=BB20_9 Depth=1
	s_and_not1_b32 vcc_lo, exec_lo, s0
	s_cbranch_vccnz .LBB20_17
.LBB20_19:                              ;   in Loop: Header=BB20_9 Depth=1
	s_wait_loadcnt 0x0
	v_mov_b64_e32 v[4:5], v[0:1]
	s_add_co_i32 s21, s36, -1
	s_mov_b32 s29, s20
	s_mov_b32 s17, s28
	s_cbranch_execz .LBB20_23
.LBB20_20:                              ;   in Loop: Header=BB20_9 Depth=1
	s_wait_loadcnt 0x0
	s_delay_alu instid0(VALU_DEP_1)
	v_mov_b64_e32 v[0:1], v[4:5]
	s_mov_b32 s20, s29
	s_mov_b32 s36, s21
	s_mov_b32 s28, s17
	s_branch .LBB20_9
.LBB20_21:
                                        ; implicit-def: $sgpr20_sgpr21
	s_branch .LBB20_2
.LBB20_22:
                                        ; implicit-def: $sgpr24_sgpr25
	s_load_b96 s[12:14], s[0:1], 0x44
	s_branch .LBB20_5
.LBB20_23:
	s_delay_alu instid0(VALU_DEP_1) | instskip(SKIP_1) | instid1(VALU_DEP_1)
	v_div_scale_f32 v0, null, v4, v4, v5
	s_wait_loadcnt 0x0
	v_rcp_f32_e32 v1, v0
	v_nop
	s_delay_alu instid0(TRANS32_DEP_1) | instskip(NEXT) | instid1(VALU_DEP_1)
	v_fma_f32 v6, -v0, v1, 1.0
	v_fmac_f32_e32 v1, v6, v1
	v_div_scale_f32 v6, vcc_lo, v5, v4, v5
	s_delay_alu instid0(VALU_DEP_1) | instskip(NEXT) | instid1(VALU_DEP_1)
	v_mul_f32_e32 v7, v6, v1
	v_fma_f32 v8, -v0, v7, v6
	s_delay_alu instid0(VALU_DEP_1) | instskip(NEXT) | instid1(VALU_DEP_1)
	v_fmac_f32_e32 v7, v8, v1
	v_fma_f32 v0, -v0, v7, v6
	s_delay_alu instid0(VALU_DEP_1) | instskip(NEXT) | instid1(VALU_DEP_1)
	v_div_fmas_f32 v0, v0, v1, v7
	v_div_fixup_f32 v0, v0, v4, v5
	global_store_b32 v[2:3], v0, off
.LBB20_24:
	s_endpgm
	.section	.rodata,"a",@progbits
	.p2align	6, 0x0
	.amdhsa_kernel _ZL33flash_attn_stream_k_fixup_generalILi96ELi16ELi4EEvPfPK15HIP_vector_typeIfLj2EEiiiiS1_IjLj3EES5_S5_S5_
		.amdhsa_group_segment_fixed_size 0
		.amdhsa_private_segment_fixed_size 0
		.amdhsa_kernarg_size 336
		.amdhsa_user_sgpr_count 2
		.amdhsa_user_sgpr_dispatch_ptr 0
		.amdhsa_user_sgpr_queue_ptr 0
		.amdhsa_user_sgpr_kernarg_segment_ptr 1
		.amdhsa_user_sgpr_dispatch_id 0
		.amdhsa_user_sgpr_kernarg_preload_length 0
		.amdhsa_user_sgpr_kernarg_preload_offset 0
		.amdhsa_user_sgpr_private_segment_size 0
		.amdhsa_wavefront_size32 1
		.amdhsa_uses_dynamic_stack 0
		.amdhsa_enable_private_segment 0
		.amdhsa_system_sgpr_workgroup_id_x 1
		.amdhsa_system_sgpr_workgroup_id_y 1
		.amdhsa_system_sgpr_workgroup_id_z 1
		.amdhsa_system_sgpr_workgroup_info 0
		.amdhsa_system_vgpr_workitem_id 0
		.amdhsa_next_free_vgpr 12
		.amdhsa_next_free_sgpr 46
		.amdhsa_named_barrier_count 0
		.amdhsa_reserve_vcc 1
		.amdhsa_float_round_mode_32 0
		.amdhsa_float_round_mode_16_64 0
		.amdhsa_float_denorm_mode_32 3
		.amdhsa_float_denorm_mode_16_64 3
		.amdhsa_fp16_overflow 0
		.amdhsa_memory_ordered 1
		.amdhsa_forward_progress 1
		.amdhsa_inst_pref_size 27
		.amdhsa_round_robin_scheduling 0
		.amdhsa_exception_fp_ieee_invalid_op 0
		.amdhsa_exception_fp_denorm_src 0
		.amdhsa_exception_fp_ieee_div_zero 0
		.amdhsa_exception_fp_ieee_overflow 0
		.amdhsa_exception_fp_ieee_underflow 0
		.amdhsa_exception_fp_ieee_inexact 0
		.amdhsa_exception_int_div_zero 0
	.end_amdhsa_kernel
	.section	.text._ZL33flash_attn_stream_k_fixup_generalILi96ELi16ELi4EEvPfPK15HIP_vector_typeIfLj2EEiiiiS1_IjLj3EES5_S5_S5_,"axG",@progbits,_ZL33flash_attn_stream_k_fixup_generalILi96ELi16ELi4EEvPfPK15HIP_vector_typeIfLj2EEiiiiS1_IjLj3EES5_S5_S5_,comdat
.Lfunc_end20:
	.size	_ZL33flash_attn_stream_k_fixup_generalILi96ELi16ELi4EEvPfPK15HIP_vector_typeIfLj2EEiiiiS1_IjLj3EES5_S5_S5_, .Lfunc_end20-_ZL33flash_attn_stream_k_fixup_generalILi96ELi16ELi4EEvPfPK15HIP_vector_typeIfLj2EEiiiiS1_IjLj3EES5_S5_S5_
                                        ; -- End function
	.set _ZL33flash_attn_stream_k_fixup_generalILi96ELi16ELi4EEvPfPK15HIP_vector_typeIfLj2EEiiiiS1_IjLj3EES5_S5_S5_.num_vgpr, 12
	.set _ZL33flash_attn_stream_k_fixup_generalILi96ELi16ELi4EEvPfPK15HIP_vector_typeIfLj2EEiiiiS1_IjLj3EES5_S5_S5_.num_agpr, 0
	.set _ZL33flash_attn_stream_k_fixup_generalILi96ELi16ELi4EEvPfPK15HIP_vector_typeIfLj2EEiiiiS1_IjLj3EES5_S5_S5_.numbered_sgpr, 46
	.set _ZL33flash_attn_stream_k_fixup_generalILi96ELi16ELi4EEvPfPK15HIP_vector_typeIfLj2EEiiiiS1_IjLj3EES5_S5_S5_.num_named_barrier, 0
	.set _ZL33flash_attn_stream_k_fixup_generalILi96ELi16ELi4EEvPfPK15HIP_vector_typeIfLj2EEiiiiS1_IjLj3EES5_S5_S5_.private_seg_size, 0
	.set _ZL33flash_attn_stream_k_fixup_generalILi96ELi16ELi4EEvPfPK15HIP_vector_typeIfLj2EEiiiiS1_IjLj3EES5_S5_S5_.uses_vcc, 1
	.set _ZL33flash_attn_stream_k_fixup_generalILi96ELi16ELi4EEvPfPK15HIP_vector_typeIfLj2EEiiiiS1_IjLj3EES5_S5_S5_.uses_flat_scratch, 0
	.set _ZL33flash_attn_stream_k_fixup_generalILi96ELi16ELi4EEvPfPK15HIP_vector_typeIfLj2EEiiiiS1_IjLj3EES5_S5_S5_.has_dyn_sized_stack, 0
	.set _ZL33flash_attn_stream_k_fixup_generalILi96ELi16ELi4EEvPfPK15HIP_vector_typeIfLj2EEiiiiS1_IjLj3EES5_S5_S5_.has_recursion, 0
	.set _ZL33flash_attn_stream_k_fixup_generalILi96ELi16ELi4EEvPfPK15HIP_vector_typeIfLj2EEiiiiS1_IjLj3EES5_S5_S5_.has_indirect_call, 0
	.section	.AMDGPU.csdata,"",@progbits
; Kernel info:
; codeLenInByte = 3352
; TotalNumSgprs: 48
; NumVgprs: 12
; ScratchSize: 0
; MemoryBound: 0
; FloatMode: 240
; IeeeMode: 1
; LDSByteSize: 0 bytes/workgroup (compile time only)
; SGPRBlocks: 0
; VGPRBlocks: 0
; NumSGPRsForWavesPerEU: 48
; NumVGPRsForWavesPerEU: 12
; NamedBarCnt: 0
; Occupancy: 16
; WaveLimiterHint : 0
; COMPUTE_PGM_RSRC2:SCRATCH_EN: 0
; COMPUTE_PGM_RSRC2:USER_SGPR: 2
; COMPUTE_PGM_RSRC2:TRAP_HANDLER: 0
; COMPUTE_PGM_RSRC2:TGID_X_EN: 1
; COMPUTE_PGM_RSRC2:TGID_Y_EN: 1
; COMPUTE_PGM_RSRC2:TGID_Z_EN: 1
; COMPUTE_PGM_RSRC2:TIDIG_COMP_CNT: 0
	.section	.text._ZL15flash_attn_tileILi96ELi96ELi8ELi4ELb0EEvPKcS1_S1_S1_S1_PKiPfP15HIP_vector_typeIfLj2EEffffjfiS5_IjLj3EEiiiiiiiiiiiliiliiiiil,"axG",@progbits,_ZL15flash_attn_tileILi96ELi96ELi8ELi4ELb0EEvPKcS1_S1_S1_S1_PKiPfP15HIP_vector_typeIfLj2EEffffjfiS5_IjLj3EEiiiiiiiiiiiliiliiiiil,comdat
	.globl	_ZL15flash_attn_tileILi96ELi96ELi8ELi4ELb0EEvPKcS1_S1_S1_S1_PKiPfP15HIP_vector_typeIfLj2EEffffjfiS5_IjLj3EEiiiiiiiiiiiliiliiiiil ; -- Begin function _ZL15flash_attn_tileILi96ELi96ELi8ELi4ELb0EEvPKcS1_S1_S1_S1_PKiPfP15HIP_vector_typeIfLj2EEffffjfiS5_IjLj3EEiiiiiiiiiiiliiliiiiil
	.p2align	8
	.type	_ZL15flash_attn_tileILi96ELi96ELi8ELi4ELb0EEvPKcS1_S1_S1_S1_PKiPfP15HIP_vector_typeIfLj2EEffffjfiS5_IjLj3EEiiiiiiiiiiiliiliiiiil,@function
_ZL15flash_attn_tileILi96ELi96ELi8ELi4ELb0EEvPKcS1_S1_S1_S1_PKiPfP15HIP_vector_typeIfLj2EEffffjfiS5_IjLj3EEiiiiiiiiiiiliiliiiiil: ; @_ZL15flash_attn_tileILi96ELi96ELi8ELi4ELb0EEvPKcS1_S1_S1_S1_PKiPfP15HIP_vector_typeIfLj2EEffffjfiS5_IjLj3EEiiiiiiiiiiiliiliiiiil
; %bb.0:
	s_clause 0x1
	s_load_b128 s[24:27], s[0:1], 0x5c
	s_load_b64 s[30:31], s[0:1], 0x80
	s_bfe_u32 s6, ttmp6, 0x40014
	s_lshr_b32 s5, ttmp7, 16
	s_add_co_i32 s6, s6, 1
	s_bfe_u32 s7, ttmp6, 0x40008
	s_mul_i32 s6, s5, s6
	s_getreg_b32 s4, hwreg(HW_REG_IB_STS2, 6, 4)
	s_add_co_i32 s7, s7, s6
	s_mov_b32 s37, 0
	s_mov_b64 s[34:35], 0
	s_wait_kmcnt 0x0
	s_ashr_i32 s2, s27, 31
	s_delay_alu instid0(SALU_CYCLE_1) | instskip(NEXT) | instid1(SALU_CYCLE_1)
	s_lshr_b32 s2, s2, 30
	s_add_co_i32 s2, s27, s2
	s_delay_alu instid0(SALU_CYCLE_1) | instskip(NEXT) | instid1(SALU_CYCLE_1)
	s_ashr_i32 s2, s2, 2
	s_cvt_f32_u32 s3, s2
	s_sub_co_i32 s8, 0, s2
	s_delay_alu instid0(SALU_CYCLE_2) | instskip(SKIP_1) | instid1(TRANS32_DEP_1)
	v_rcp_iflag_f32_e32 v1, s3
	v_nop
	v_readfirstlane_b32 s3, v1
	s_mul_f32 s3, s3, 0x4f7ffffe
	s_delay_alu instid0(SALU_CYCLE_3) | instskip(NEXT) | instid1(SALU_CYCLE_3)
	s_cvt_u32_f32 s3, s3
	s_mul_i32 s8, s8, s3
	s_delay_alu instid0(SALU_CYCLE_1) | instskip(NEXT) | instid1(SALU_CYCLE_1)
	s_mul_hi_u32 s8, s3, s8
	s_add_co_i32 s3, s3, s8
	s_cmp_eq_u32 s4, 0
	s_cselect_b32 s5, s5, s7
	s_delay_alu instid0(SALU_CYCLE_1) | instskip(NEXT) | instid1(SALU_CYCLE_1)
	s_mul_hi_u32 s3, s5, s3
	s_mul_i32 s6, s3, s2
	s_add_co_i32 s7, s3, 1
	s_sub_co_i32 s6, s5, s6
	s_delay_alu instid0(SALU_CYCLE_1)
	s_sub_co_i32 s8, s6, s2
	s_cmp_ge_u32 s6, s2
	s_cselect_b32 s3, s7, s3
	s_cselect_b32 s6, s8, s6
	s_add_co_i32 s7, s3, 1
	s_cmp_ge_u32 s6, s2
	s_cselect_b32 s28, s7, s3
	s_abs_i32 s2, s31
	s_abs_i32 s7, s27
	s_cvt_f32_u32 s3, s2
	s_sub_co_i32 s6, 0, s2
	s_lshl_b32 s5, s5, 2
	s_delay_alu instid0(SALU_CYCLE_1) | instskip(SKIP_1) | instid1(TRANS32_DEP_1)
	v_rcp_iflag_f32_e32 v1, s3
	v_nop
	v_readfirstlane_b32 s3, v1
	s_mul_f32 s3, s3, 0x4f7ffffe
	s_delay_alu instid0(SALU_CYCLE_3) | instskip(NEXT) | instid1(SALU_CYCLE_3)
	s_cvt_u32_f32 s3, s3
	s_mul_i32 s6, s6, s3
	s_delay_alu instid0(SALU_CYCLE_1) | instskip(NEXT) | instid1(SALU_CYCLE_1)
	s_mul_hi_u32 s6, s3, s6
	s_add_co_i32 s3, s3, s6
	s_xor_b32 s6, s27, s31
	s_mul_hi_u32 s3, s7, s3
	s_ashr_i32 s6, s6, 31
	s_mul_i32 s8, s3, s2
	s_delay_alu instid0(SALU_CYCLE_1)
	s_sub_co_i32 s7, s7, s8
	s_add_co_i32 s8, s3, 1
	s_sub_co_i32 s9, s7, s2
	s_cmp_ge_u32 s7, s2
	s_cselect_b32 s3, s8, s3
	s_cselect_b32 s7, s9, s7
	s_add_co_i32 s8, s3, 1
	s_cmp_ge_u32 s7, s2
	s_cselect_b32 s2, s8, s3
	s_load_b512 s[8:23], s[0:1], 0x0
	s_xor_b32 s7, s2, s6
	s_load_b64 s[2:3], s[0:1], 0xb8
	s_sub_co_i32 s29, s7, s6
	s_delay_alu instid0(SALU_CYCLE_1) | instskip(NEXT) | instid1(SALU_CYCLE_1)
	s_abs_i32 s33, s29
	s_cvt_f32_u32 s6, s33
	s_delay_alu instid0(SALU_CYCLE_3) | instskip(SKIP_2) | instid1(TRANS32_DEP_1)
	v_rcp_iflag_f32_e32 v1, s6
	s_mul_i32 s6, s28, s27
	v_nop
	v_readfirstlane_b32 s36, v1
	s_wait_kmcnt 0x0
	s_cmp_eq_u64 s[14:15], 0
	s_cbranch_scc1 .LBB21_2
; %bb.1:
	s_abs_i32 s2, s2
	s_abs_i32 s38, s28
	s_cvt_f32_u32 s7, s2
	s_sub_co_i32 s31, 0, s2
	s_load_b64 s[34:35], s[0:1], 0xc8
	s_delay_alu instid0(SALU_CYCLE_1) | instskip(SKIP_1) | instid1(TRANS32_DEP_1)
	v_rcp_iflag_f32_e32 v1, s7
	v_nop
	v_readfirstlane_b32 s7, v1
	s_mul_f32 s7, s7, 0x4f7ffffe
	s_delay_alu instid0(SALU_CYCLE_3) | instskip(NEXT) | instid1(SALU_CYCLE_3)
	s_cvt_u32_f32 s7, s7
	s_mul_i32 s31, s31, s7
	s_delay_alu instid0(SALU_CYCLE_1) | instskip(NEXT) | instid1(SALU_CYCLE_1)
	s_mul_hi_u32 s31, s7, s31
	s_add_co_i32 s7, s7, s31
	s_ashr_i32 s31, s28, 31
	s_mul_hi_u32 s7, s38, s7
	s_delay_alu instid0(SALU_CYCLE_1) | instskip(NEXT) | instid1(SALU_CYCLE_1)
	s_mul_i32 s7, s7, s2
	s_sub_co_i32 s7, s38, s7
	s_delay_alu instid0(SALU_CYCLE_1) | instskip(SKIP_2) | instid1(SALU_CYCLE_1)
	s_sub_co_i32 s38, s7, s2
	s_cmp_ge_u32 s7, s2
	s_cselect_b32 s7, s38, s7
	s_sub_co_i32 s38, s7, s2
	s_cmp_ge_u32 s7, s2
	s_cselect_b32 s2, s38, s7
	s_delay_alu instid0(SALU_CYCLE_1) | instskip(NEXT) | instid1(SALU_CYCLE_1)
	s_xor_b32 s2, s2, s31
	s_sub_co_i32 s38, s2, s31
	s_delay_alu instid0(SALU_CYCLE_1) | instskip(SKIP_2) | instid1(SALU_CYCLE_1)
	s_ashr_i32 s39, s38, 31
	s_wait_kmcnt 0x0
	s_mul_u64 s[34:35], s[34:35], s[38:39]
	s_add_nc_u64 s[34:35], s[14:15], s[34:35]
.LBB21_2:
	s_bfe_u32 s2, ttmp6, 0x4000c
	s_sub_co_i32 s14, s5, s6
	s_add_co_i32 s2, s2, 1
	s_and_b32 s5, ttmp6, 15
	s_mul_i32 s2, ttmp9, s2
	v_bfe_u32 v2, v0, 10, 10
	s_add_co_i32 s5, s5, s2
	s_cmp_eq_u32 s4, 0
	v_and_b32_e32 v92, 0x3ff, v0
	s_cselect_b32 s5, ttmp9, s5
	s_delay_alu instid0(SALU_CYCLE_1) | instskip(NEXT) | instid1(VALU_DEP_2)
	v_lshl_add_u32 v93, s5, 3, v2
	v_cmp_gt_u32_e64 s2, 24, v92
	v_dual_lshlrev_b32 v81, 2, v92 :: v_dual_lshlrev_b32 v94, 3, v92
	s_delay_alu instid0(VALU_DEP_3) | instskip(NEXT) | instid1(VALU_DEP_1)
	v_mul_hi_u32 v1, s24, v93
	v_add_nc_u32_e32 v1, v93, v1
	s_delay_alu instid0(VALU_DEP_1) | instskip(NEXT) | instid1(VALU_DEP_1)
	v_lshrrev_b32_e32 v1, s25, v1
	v_mul_lo_u32 v1, v1, s26
	s_delay_alu instid0(VALU_DEP_1)
	v_sub_nc_u32_e32 v0, v93, v1
	s_and_saveexec_b32 s6, s2
	s_cbranch_execz .LBB21_4
; %bb.3:
	s_clause 0x1
	s_load_b96 s[40:42], s[0:1], 0x70
	s_load_b32 s7, s[0:1], 0x40
	v_dual_mov_b32 v1, 0 :: v_dual_lshlrev_b32 v6, 2, v81
	s_delay_alu instid0(VALU_DEP_1)
	v_mov_b32_e32 v7, v1
	s_wait_kmcnt 0x0
	s_ashr_i32 s25, s40, 31
	s_mov_b32 s24, s40
	s_mul_i32 s38, s14, s41
	s_lshr_b64 s[24:25], s[24:25], 2
	s_ashr_i32 s39, s38, 31
	v_mul_u64_e32 v[4:5], s[24:25], v[0:1]
	s_mul_i32 s24, s28, s42
	s_delay_alu instid0(SALU_CYCLE_1) | instskip(NEXT) | instid1(SALU_CYCLE_1)
	s_ashr_i32 s25, s24, 31
	s_add_nc_u64 s[8:9], s[8:9], s[24:25]
	s_delay_alu instid0(SALU_CYCLE_1)
	s_add_nc_u64 s[8:9], s[8:9], s[38:39]
	s_delay_alu instid0(VALU_DEP_1) | instid1(SALU_CYCLE_1)
	v_lshl_add_u64 v[4:5], v[4:5], 2, s[8:9]
	s_ashr_i32 s9, s41, 31
	s_mov_b32 s8, s41
	s_delay_alu instid0(SALU_CYCLE_1) | instskip(NEXT) | instid1(VALU_DEP_1)
	s_lshr_b64 s[24:25], s[8:9], 2
	v_add_nc_u64_e32 v[8:9], v[4:5], v[6:7]
	s_and_b64 s[38:39], s[8:9], -4
	s_delay_alu instid0(VALU_DEP_1)
	v_mad_nc_u64_u32 v[20:21], s24, 12, v[8:9]
	v_add_nc_u64_e32 v[18:19], s[38:39], v[8:9]
	global_load_b128 v[4:7], v[8:9], off
	v_lshl_add_u64 v[16:17], s[24:25], 3, v[8:9]
	s_clause 0x1
	global_load_b128 v[8:11], v[16:17], off
	global_load_b128 v[12:15], v[18:19], off
	v_mad_u32 v21, s9, 12, v21
	global_load_b128 v[16:19], v[20:21], off
	s_wait_xcnt 0x0
	v_mad_u32_u24 v20, 0x300, v2, v94
	s_wait_loadcnt 0x3
	v_fma_mixlo_f16 v1, s7, v5, 0
	v_fma_mixlo_f16 v3, s7, v4, 0
	;; [unrolled: 1-line block ×4, first 2 shown]
	s_delay_alu instid0(VALU_DEP_4) | instskip(NEXT) | instid1(VALU_DEP_4)
	v_lshlrev_b32_e32 v1, 16, v1
	v_and_b32_e32 v3, 0xffff, v3
	s_wait_loadcnt 0x2
	v_fma_mixlo_f16 v6, s7, v8, 0
	v_fma_mixlo_f16 v7, s7, v9, 0
	;; [unrolled: 1-line block ×4, first 2 shown]
	s_wait_loadcnt 0x1
	v_fma_mixlo_f16 v10, s7, v12, 0
	v_fma_mixlo_f16 v11, s7, v13, 0
	v_dual_lshlrev_b32 v4, 16, v4 :: v_dual_bitop2_b32 v1, v1, v3 bitop3:0x54
	v_and_b32_e32 v5, 0xffff, v5
	v_fma_mixlo_f16 v12, s7, v14, 0
	v_fma_mixlo_f16 v13, s7, v15, 0
	v_lshlrev_b32_e32 v3, 16, v7
	v_and_b32_e32 v6, 0xffff, v6
	v_lshlrev_b32_e32 v7, 16, v11
	v_and_b32_e32 v10, 0xffff, v10
	v_or3_b32 v5, v4, v5, 0
	v_lshlrev_b32_e32 v11, 16, v13
	v_and_b32_e32 v12, 0xffff, v12
	v_or3_b32 v4, 0, 0, v1
	v_or_b32_e32 v1, v3, v6
	v_dual_lshlrev_b32 v9, 16, v9 :: v_dual_bitop2_b32 v3, v7, v10 bitop3:0x54
	s_wait_loadcnt 0x0
	v_fma_mixlo_f16 v6, s7, v17, 0
	v_fma_mixlo_f16 v10, s7, v16, 0
	v_or3_b32 v7, v11, v12, 0
	v_fma_mixlo_f16 v11, s7, v18, 0
	v_fma_mixlo_f16 v12, s7, v19, 0
	v_lshlrev_b32_e32 v6, 16, v6
	v_and_b32_e32 v10, 0xffff, v10
	v_and_b32_e32 v8, 0xffff, v8
	;; [unrolled: 1-line block ×3, first 2 shown]
	s_delay_alu instid0(VALU_DEP_3) | instskip(SKIP_1) | instid1(VALU_DEP_4)
	v_dual_lshlrev_b32 v12, 16, v12 :: v_dual_bitop2_b32 v10, v6, v10 bitop3:0x54
	v_or3_b32 v6, 0, 0, v3
	v_or3_b32 v9, v9, v8, 0
	;; [unrolled: 1-line block ×3, first 2 shown]
	s_delay_alu instid0(VALU_DEP_4)
	v_or3_b32 v11, v12, v11, 0
	v_or3_b32 v10, 0, 0, v10
	ds_store_2addr_b64 v20, v[4:5], v[6:7] offset1:24
	ds_store_2addr_b64 v20, v[8:9], v[10:11] offset0:48 offset1:72
.LBB21_4:
	s_or_b32 exec_lo, exec_lo, s6
	s_cmp_eq_u64 s[18:19], 0
	s_wait_dscnt 0x0
	s_barrier_signal -1
	s_barrier_wait -1
	s_cbranch_scc1 .LBB21_6
; %bb.5:
	s_load_b32 s6, s[0:1], 0xd0
	s_wait_kmcnt 0x0
	s_mul_i32 s6, s6, s28
	s_delay_alu instid0(SALU_CYCLE_1)
	s_add_co_i32 s6, s6, s5
	s_load_b32 s30, s[18:19], s6 offset:0x0 scale_offset
.LBB21_6:
	s_bfe_u32 s5, ttmp6, 0x40010
	s_wait_xcnt 0x0
	s_and_b32 s6, ttmp7, 0xffff
	s_add_co_i32 s5, s5, 1
	s_bfe_u32 s7, ttmp6, 0x40004
	s_mul_i32 s5, s6, s5
	v_mbcnt_lo_u32_b32 v95, -1, 0
	s_add_co_i32 s7, s7, s5
	s_cmp_eq_u32 s4, 0
	s_mov_b32 s4, 0
	s_cselect_b32 s31, s6, s7
	s_delay_alu instid0(SALU_CYCLE_1)
	s_lshl_b32 s18, s31, 5
	s_wait_kmcnt 0x0
	s_cmp_lt_i32 s18, s30
	s_cbranch_scc1 .LBB21_9
; %bb.7:
	v_mbcnt_lo_u32_b32 v4, -1, 0
	s_delay_alu instid0(VALU_DEP_1)
	v_dual_mov_b32 v96, 32 :: v_dual_bitop2_b32 v113, 16, v4 bitop3:0x14
	v_xor_b32_e32 v114, 8, v4
	v_xor_b32_e32 v115, 4, v4
	;; [unrolled: 1-line block ×4, first 2 shown]
	s_and_not1_b32 vcc_lo, exec_lo, s4
	s_cbranch_vccz .LBB21_10
; %bb.8:
	v_dual_mov_b32 v111, 0 :: v_dual_mov_b32 v69, 0
	v_dual_mov_b32 v3, 0xfeffffff :: v_dual_mov_b32 v2, 0xfeffffff
	;; [unrolled: 1-line block ×3, first 2 shown]
	s_delay_alu instid0(VALU_DEP_3)
	v_dual_mov_b32 v68, v69 :: v_dual_mov_b32 v71, v69
	v_dual_mov_b32 v70, v69 :: v_dual_mov_b32 v112, 0
	;; [unrolled: 1-line block ×5, first 2 shown]
	s_branch .LBB21_30
.LBB21_9:
                                        ; implicit-def: $vgpr4
                                        ; implicit-def: $vgpr96
                                        ; implicit-def: $vgpr113
                                        ; implicit-def: $vgpr114
                                        ; implicit-def: $vgpr115
                                        ; implicit-def: $vgpr116
                                        ; implicit-def: $vgpr117
.LBB21_10:
	s_clause 0x1
	s_load_b64 s[8:9], s[0:1], 0x8c
	s_load_b128 s[4:7], s[0:1], 0x98
	s_mul_f32 s15, s36, 0x4f7ffffe
	s_sub_co_i32 s19, 0, s33
	v_dual_lshrrev_b32 v1, 1, v92 :: v_dual_lshrrev_b32 v3, 2, v92
	s_delay_alu instid0(SALU_CYCLE_1) | instskip(SKIP_2) | instid1(VALU_DEP_1)
	s_cvt_u32_f32 s15, s15
	s_abs_i32 s36, s14
	s_mov_b32 s25, s37
	v_lshl_add_u32 v1, v2, 4, v1
	s_mul_i32 s19, s19, s15
	v_and_b32_e32 v8, 12, v81
	s_mul_hi_u32 s19, s15, s19
	v_and_b32_e32 v6, 4, v81
	s_add_co_i32 s24, s15, s19
	s_ashr_i32 s15, s3, 1
	s_mul_u64 s[24:25], s[36:37], s[24:25]
	s_load_b64 s[38:39], s[0:1], 0xa8
	s_mul_i32 s3, s25, s33
	v_lshl_add_u32 v3, v2, 3, v3
	s_sub_co_i32 s3, s36, s3
	s_wait_kmcnt 0x0
	s_ashr_i32 s36, s8, 2
	v_cmp_gt_u32_e32 vcc_lo, 32, v1
	v_mul_lo_u32 v72, s36, v1
	v_mul_u32_u24_e32 v1, 0x70, v1
	v_dual_lshlrev_b32 v7, 2, v8 :: v_dual_lshlrev_b32 v4, 2, v6
	v_dual_lshrrev_b32 v9, 3, v92 :: v_dual_mov_b32 v77, 0
	s_ashr_i32 s40, s14, 31
	s_ashr_i32 s41, s29, 31
	;; [unrolled: 1-line block ×3, first 2 shown]
	s_xor_b32 s19, s40, s41
	s_ashr_i32 s24, s6, 2
	s_add_co_i32 s6, s25, 1
	s_sub_co_i32 s8, s3, s33
	s_cmp_ge_u32 s3, s33
	v_add3_u32 v103, v1, v4, 0x1840
	v_lshl_add_u32 v1, v2, 2, v9
	v_mul_lo_u32 v78, s24, v3
	s_cselect_b32 s6, s6, s25
	s_cselect_b32 s3, s8, s3
	s_add_co_i32 s8, s6, 1
	s_cmp_ge_u32 s3, s33
	v_mul_lo_u32 v74, s36, v3
	v_mul_lo_u32 v82, s24, v1
	s_cselect_b32 s3, s8, s6
	v_mul_u32_u24_e32 v4, 0xc0, v3
	v_and_b32_e32 v80, 28, v81
	s_xor_b32 s3, s3, s19
	v_mad_u32 v105, v0, s15, v92
	s_sub_co_i32 s3, s3, s19
	v_mul_u32_u24_e32 v102, 0x300, v2
	v_mul_u32_u24_e32 v5, 0x70, v3
	v_lshl_add_u32 v106, v2, 8, 0x2680
	v_mul_u32_u24_e32 v2, 0xc0, v1
	v_dual_ashrrev_i32 v79, 31, v78 :: v_dual_bitop2_b32 v0, v4, v7 bitop3:0x54
	v_lshlrev_b32_e32 v4, 2, v80
	s_mul_u64 s[4:5], s[4:5], s[28:29]
	s_mul_i32 s8, s3, s9
	s_mul_u64 s[38:39], s[38:39], s[28:29]
	s_add_nc_u64 s[4:5], s[10:11], s[4:5]
	s_ashr_i32 s9, s8, 31
	s_mul_i32 s6, s3, s7
	s_add_nc_u64 s[10:11], s[12:13], s[38:39]
	s_add_nc_u64 s[38:39], s[4:5], s[8:9]
	v_cmp_gt_u32_e64 s3, 32, v3
	v_mul_u32_u24_e32 v101, 0x70, v92
	v_dual_ashrrev_i32 v73, 31, v72 :: v_dual_ashrrev_i32 v75, 31, v74
	v_add3_u32 v104, v5, v7, 0x1800
	v_cmp_gt_u32_e64 s4, 16, v3
	v_cmp_gt_u32_e64 s5, 16, v1
	v_dual_mov_b32 v97, v77 :: v_dual_add_nc_u32 v108, 0x1880, v0
	v_add3_u32 v109, v2, v4, 0x1800
	v_dual_mov_b32 v4, 0xfeffffff :: v_dual_ashrrev_i32 v83, 31, v82
	v_dual_mov_b32 v96, 32 :: v_dual_lshlrev_b32 v76, 2, v6
	v_dual_lshlrev_b32 v84, 2, v8 :: v_dual_mov_b32 v98, v77
	v_dual_mov_b32 v100, v77 :: v_dual_mov_b32 v99, v77
	v_dual_mov_b32 v110, v77 :: v_dual_mov_b32 v107, v77
	;; [unrolled: 1-line block ×6, first 2 shown]
	v_mov_b32_e32 v69, v77
	s_ashr_i32 s7, s6, 31
	s_ashr_i32 s37, s36, 31
	s_add_nc_u64 s[40:41], s[10:11], s[6:7]
	s_ashr_i32 s25, s24, 31
	s_add_nc_u64 s[42:43], s[0:1], 0xd0
.LBB21_11:                              ; =>This Inner Loop Header: Depth=1
	s_ashr_i32 s19, s18, 31
	s_delay_alu instid0(SALU_CYCLE_1) | instskip(NEXT) | instid1(SALU_CYCLE_1)
	s_mul_u64 s[6:7], s[18:19], s[36:37]
	s_lshl_b64 s[6:7], s[6:7], 2
	s_delay_alu instid0(SALU_CYCLE_1) | instskip(NEXT) | instid1(SALU_CYCLE_1)
	s_add_nc_u64 s[6:7], s[38:39], s[6:7]
	v_lshl_add_u64 v[0:1], v[72:73], 2, s[6:7]
	s_and_saveexec_b32 s8, vcc_lo
	s_cbranch_execz .LBB21_13
; %bb.12:                               ;   in Loop: Header=BB21_11 Depth=1
	s_delay_alu instid0(VALU_DEP_1)
	v_add_nc_u64_e32 v[2:3], v[0:1], v[76:77]
	global_load_b128 v[6:9], v[2:3], off offset:64
	s_wait_loadcnt 0x0
	ds_store_b128 v103, v[6:9]
.LBB21_13:                              ;   in Loop: Header=BB21_11 Depth=1
	s_or_b32 exec_lo, exec_lo, s8
	v_lshl_add_u64 v[2:3], v[74:75], 2, s[6:7]
	s_and_saveexec_b32 s6, s3
	s_cbranch_execz .LBB21_15
; %bb.14:                               ;   in Loop: Header=BB21_11 Depth=1
	v_mov_b32_e32 v85, v77
	s_delay_alu instid0(VALU_DEP_1)
	v_add_nc_u64_e32 v[6:7], v[2:3], v[84:85]
	global_load_b128 v[6:9], v[6:7], off
	s_wait_loadcnt 0x0
	ds_store_b128 v104, v[6:9]
.LBB21_15:                              ;   in Loop: Header=BB21_11 Depth=1
	s_or_b32 exec_lo, exec_lo, s6
	s_wait_dscnt 0x0
	s_barrier_signal -1
	s_barrier_wait -1
	ds_load_b128 v[10:13], v101 offset:6144
	ds_load_b128 v[14:17], v102
	ds_load_b128 v[18:21], v102 offset:192
	ds_load_b128 v[22:25], v102 offset:384
	;; [unrolled: 1-line block ×3, first 2 shown]
	v_dual_mov_b32 v6, 0 :: v_dual_mov_b32 v7, 0
	v_dual_mov_b32 v8, 0 :: v_dual_mov_b32 v9, 0
	s_wait_dscnt 0x3
	;;#ASMSTART
	v_dot2_f32_f16 v6, v10, v14, v6
	;;#ASMEND
	;;#ASMSTART
	v_dot2_f32_f16 v6, v11, v15, v6
	;;#ASMEND
	;;#ASMSTART
	v_dot2_f32_f16 v6, v12, v16, v6
	;;#ASMEND
	;;#ASMSTART
	v_dot2_f32_f16 v6, v13, v17, v6
	;;#ASMEND
	s_wait_dscnt 0x2
	;;#ASMSTART
	v_dot2_f32_f16 v7, v10, v18, v7
	;;#ASMEND
	;;#ASMSTART
	v_dot2_f32_f16 v7, v11, v19, v7
	;;#ASMEND
	;;#ASMSTART
	v_dot2_f32_f16 v7, v12, v20, v7
	;;#ASMEND
	;;#ASMSTART
	v_dot2_f32_f16 v7, v13, v21, v7
	;;#ASMEND
	s_wait_dscnt 0x1
	;;#ASMSTART
	v_dot2_f32_f16 v8, v10, v22, v8
	;;#ASMEND
	;;#ASMSTART
	v_dot2_f32_f16 v8, v11, v23, v8
	;;#ASMEND
	;;#ASMSTART
	v_dot2_f32_f16 v8, v12, v24, v8
	;;#ASMEND
	;;#ASMSTART
	v_dot2_f32_f16 v8, v13, v25, v8
	;;#ASMEND
	s_wait_dscnt 0x0
	;;#ASMSTART
	v_dot2_f32_f16 v9, v10, v26, v9
	;;#ASMEND
	;;#ASMSTART
	v_dot2_f32_f16 v9, v11, v27, v9
	;;#ASMEND
	;;#ASMSTART
	v_dot2_f32_f16 v9, v12, v28, v9
	;;#ASMEND
	;;#ASMSTART
	v_dot2_f32_f16 v9, v13, v29, v9
	;;#ASMEND
	ds_load_b128 v[10:13], v101 offset:6160
	ds_load_b128 v[14:17], v102 offset:16
	ds_load_b128 v[18:21], v102 offset:208
	ds_load_b128 v[22:25], v102 offset:400
	ds_load_b128 v[26:29], v102 offset:592
	s_wait_dscnt 0x3
	;;#ASMSTART
	v_dot2_f32_f16 v6, v10, v14, v6
	;;#ASMEND
	;;#ASMSTART
	v_dot2_f32_f16 v6, v11, v15, v6
	;;#ASMEND
	;;#ASMSTART
	v_dot2_f32_f16 v6, v12, v16, v6
	;;#ASMEND
	;;#ASMSTART
	v_dot2_f32_f16 v6, v13, v17, v6
	;;#ASMEND
	s_wait_dscnt 0x2
	;;#ASMSTART
	v_dot2_f32_f16 v7, v10, v18, v7
	;;#ASMEND
	;;#ASMSTART
	v_dot2_f32_f16 v7, v11, v19, v7
	;;#ASMEND
	;;#ASMSTART
	v_dot2_f32_f16 v7, v12, v20, v7
	;;#ASMEND
	;;#ASMSTART
	v_dot2_f32_f16 v7, v13, v21, v7
	;;#ASMEND
	s_wait_dscnt 0x1
	;;#ASMSTART
	v_dot2_f32_f16 v8, v10, v22, v8
	;;#ASMEND
	;;#ASMSTART
	v_dot2_f32_f16 v8, v11, v23, v8
	;;#ASMEND
	;;#ASMSTART
	v_dot2_f32_f16 v8, v12, v24, v8
	;;#ASMEND
	;;#ASMSTART
	v_dot2_f32_f16 v8, v13, v25, v8
	;;#ASMEND
	s_wait_dscnt 0x0
	;;#ASMSTART
	v_dot2_f32_f16 v9, v10, v26, v9
	;;#ASMEND
	;;#ASMSTART
	v_dot2_f32_f16 v9, v11, v27, v9
	;;#ASMEND
	;;#ASMSTART
	v_dot2_f32_f16 v9, v12, v28, v9
	;;#ASMEND
	;;#ASMSTART
	v_dot2_f32_f16 v9, v13, v29, v9
	;;#ASMEND
	ds_load_b128 v[10:13], v101 offset:6176
	ds_load_b128 v[14:17], v102 offset:32
	ds_load_b128 v[18:21], v102 offset:224
	ds_load_b128 v[22:25], v102 offset:416
	ds_load_b128 v[26:29], v102 offset:608
	;; [unrolled: 57-line block ×5, first 2 shown]
	s_wait_dscnt 0x3
	;;#ASMSTART
	v_dot2_f32_f16 v6, v10, v14, v6
	;;#ASMEND
	;;#ASMSTART
	v_dot2_f32_f16 v6, v11, v15, v6
	;;#ASMEND
	;;#ASMSTART
	v_dot2_f32_f16 v6, v12, v16, v6
	;;#ASMEND
	;;#ASMSTART
	v_dot2_f32_f16 v6, v13, v17, v6
	;;#ASMEND
	s_wait_dscnt 0x2
	;;#ASMSTART
	v_dot2_f32_f16 v7, v10, v18, v7
	;;#ASMEND
	;;#ASMSTART
	v_dot2_f32_f16 v7, v11, v19, v7
	;;#ASMEND
	;;#ASMSTART
	v_dot2_f32_f16 v7, v12, v20, v7
	;;#ASMEND
	;;#ASMSTART
	v_dot2_f32_f16 v7, v13, v21, v7
	;;#ASMEND
	;; [unrolled: 13-line block ×4, first 2 shown]
	s_barrier_signal -1
	s_barrier_wait -1
	s_and_saveexec_b32 s6, vcc_lo
	s_cbranch_execz .LBB21_17
; %bb.16:                               ;   in Loop: Header=BB21_11 Depth=1
	v_add_nc_u64_e32 v[0:1], v[0:1], v[76:77]
	global_load_b128 v[10:13], v[0:1], off offset:160
	s_wait_loadcnt 0x0
	ds_store_b128 v103, v[10:13]
.LBB21_17:                              ;   in Loop: Header=BB21_11 Depth=1
	s_or_b32 exec_lo, exec_lo, s6
	s_and_saveexec_b32 s6, s3
	s_cbranch_execz .LBB21_19
; %bb.18:                               ;   in Loop: Header=BB21_11 Depth=1
	v_mov_b32_e32 v85, v77
	s_delay_alu instid0(VALU_DEP_1)
	v_add_nc_u64_e32 v[0:1], v[2:3], v[84:85]
	global_load_b128 v[0:3], v[0:1], off offset:96
	s_wait_loadcnt 0x0
	ds_store_b128 v104, v[0:3]
.LBB21_19:                              ;   in Loop: Header=BB21_11 Depth=1
	s_or_b32 exec_lo, exec_lo, s6
	s_wait_dscnt 0x0
	s_barrier_signal -1
	s_barrier_wait -1
	ds_load_b128 v[0:3], v101 offset:6144
	ds_load_b128 v[10:13], v102 offset:96
	;; [unrolled: 1-line block ×5, first 2 shown]
	v_dual_add_nc_u32 v26, s18, v105 :: v_dual_bitop2_b32 v113, 16, v95 bitop3:0x14
	v_xor_b32_e32 v115, 4, v95
	s_wait_dscnt 0x3
	;;#ASMSTART
	v_dot2_f32_f16 v6, v0, v10, v6
	;;#ASMEND
	;;#ASMSTART
	v_dot2_f32_f16 v6, v1, v11, v6
	;;#ASMEND
	;;#ASMSTART
	v_dot2_f32_f16 v6, v2, v12, v6
	;;#ASMEND
	;;#ASMSTART
	v_dot2_f32_f16 v6, v3, v13, v6
	;;#ASMEND
	s_wait_dscnt 0x2
	;;#ASMSTART
	v_dot2_f32_f16 v7, v0, v14, v7
	;;#ASMEND
	;;#ASMSTART
	v_dot2_f32_f16 v7, v1, v15, v7
	;;#ASMEND
	;;#ASMSTART
	v_dot2_f32_f16 v7, v2, v16, v7
	;;#ASMEND
	;;#ASMSTART
	v_dot2_f32_f16 v7, v3, v17, v7
	;;#ASMEND
	;; [unrolled: 13-line block ×4, first 2 shown]
	ds_load_b128 v[0:3], v101 offset:6160
	ds_load_b128 v[10:13], v102 offset:112
	;; [unrolled: 1-line block ×5, first 2 shown]
	v_cmp_gt_i32_e64 s6, 32, v113
	s_wait_dscnt 0x3
	;;#ASMSTART
	v_dot2_f32_f16 v6, v0, v10, v6
	;;#ASMEND
	;;#ASMSTART
	v_dot2_f32_f16 v6, v1, v11, v6
	;;#ASMEND
	;;#ASMSTART
	v_dot2_f32_f16 v6, v2, v12, v6
	;;#ASMEND
	;;#ASMSTART
	v_dot2_f32_f16 v6, v3, v13, v6
	;;#ASMEND
	s_wait_dscnt 0x2
	;;#ASMSTART
	v_dot2_f32_f16 v7, v0, v14, v7
	;;#ASMEND
	;;#ASMSTART
	v_dot2_f32_f16 v7, v1, v15, v7
	;;#ASMEND
	;;#ASMSTART
	v_dot2_f32_f16 v7, v2, v16, v7
	;;#ASMEND
	;;#ASMSTART
	v_dot2_f32_f16 v7, v3, v17, v7
	;;#ASMEND
	s_wait_dscnt 0x1
	;;#ASMSTART
	v_dot2_f32_f16 v8, v0, v18, v8
	;;#ASMEND
	;;#ASMSTART
	v_dot2_f32_f16 v8, v1, v19, v8
	;;#ASMEND
	;;#ASMSTART
	v_dot2_f32_f16 v8, v2, v20, v8
	;;#ASMEND
	;;#ASMSTART
	v_dot2_f32_f16 v8, v3, v21, v8
	;;#ASMEND
	s_wait_dscnt 0x0
	;;#ASMSTART
	v_dot2_f32_f16 v9, v0, v22, v9
	;;#ASMEND
	;;#ASMSTART
	v_dot2_f32_f16 v9, v1, v23, v9
	;;#ASMEND
	;;#ASMSTART
	v_dot2_f32_f16 v9, v2, v24, v9
	;;#ASMEND
	;;#ASMSTART
	v_dot2_f32_f16 v9, v3, v25, v9
	;;#ASMEND
	ds_load_b128 v[0:3], v101 offset:6176
	ds_load_b128 v[10:13], v102 offset:128
	ds_load_b128 v[14:17], v102 offset:320
	ds_load_b128 v[18:21], v102 offset:512
	ds_load_b128 v[22:25], v102 offset:704
	s_wait_dscnt 0x3
	;;#ASMSTART
	v_dot2_f32_f16 v6, v0, v10, v6
	;;#ASMEND
	;;#ASMSTART
	v_dot2_f32_f16 v6, v1, v11, v6
	;;#ASMEND
	;;#ASMSTART
	v_dot2_f32_f16 v6, v2, v12, v6
	;;#ASMEND
	;;#ASMSTART
	v_dot2_f32_f16 v6, v3, v13, v6
	;;#ASMEND
	s_wait_dscnt 0x2
	;;#ASMSTART
	v_dot2_f32_f16 v7, v0, v14, v7
	;;#ASMEND
	;;#ASMSTART
	v_dot2_f32_f16 v7, v1, v15, v7
	;;#ASMEND
	;;#ASMSTART
	v_dot2_f32_f16 v7, v2, v16, v7
	;;#ASMEND
	;;#ASMSTART
	v_dot2_f32_f16 v7, v3, v17, v7
	;;#ASMEND
	s_wait_dscnt 0x1
	;;#ASMSTART
	v_dot2_f32_f16 v8, v0, v18, v8
	;;#ASMEND
	;;#ASMSTART
	v_dot2_f32_f16 v8, v1, v19, v8
	;;#ASMEND
	;;#ASMSTART
	v_dot2_f32_f16 v8, v2, v20, v8
	;;#ASMEND
	;;#ASMSTART
	v_dot2_f32_f16 v8, v3, v21, v8
	;;#ASMEND
	s_wait_dscnt 0x0
	;;#ASMSTART
	v_dot2_f32_f16 v9, v0, v22, v9
	;;#ASMEND
	;;#ASMSTART
	v_dot2_f32_f16 v9, v1, v23, v9
	;;#ASMEND
	;;#ASMSTART
	v_dot2_f32_f16 v9, v2, v24, v9
	;;#ASMEND
	;;#ASMSTART
	v_dot2_f32_f16 v9, v3, v25, v9
	;;#ASMEND
	ds_load_b128 v[0:3], v101 offset:6192
	ds_load_b128 v[10:13], v102 offset:144
	ds_load_b128 v[14:17], v102 offset:336
	ds_load_b128 v[18:21], v102 offset:528
	ds_load_b128 v[22:25], v102 offset:720
	;; [unrolled: 57-line block ×4, first 2 shown]
	s_wait_dscnt 0x3
	;;#ASMSTART
	v_dot2_f32_f16 v6, v0, v10, v6
	;;#ASMEND
	;;#ASMSTART
	v_dot2_f32_f16 v6, v1, v11, v6
	;;#ASMEND
	;;#ASMSTART
	v_dot2_f32_f16 v6, v2, v12, v6
	;;#ASMEND
	;;#ASMSTART
	v_dot2_f32_f16 v6, v3, v13, v6
	;;#ASMEND
	s_wait_dscnt 0x2
	;;#ASMSTART
	v_dot2_f32_f16 v7, v0, v14, v7
	;;#ASMEND
	;;#ASMSTART
	v_dot2_f32_f16 v7, v1, v15, v7
	;;#ASMEND
	;;#ASMSTART
	v_dot2_f32_f16 v7, v2, v16, v7
	;;#ASMEND
	;;#ASMSTART
	v_dot2_f32_f16 v7, v3, v17, v7
	;;#ASMEND
	;; [unrolled: 13-line block ×4, first 2 shown]
	global_load_u16 v0, v26, s[34:35] scale_offset
	v_dual_max_num_f32 v1, v4, v4 :: v_dual_max_num_f32 v2, v5, v5
	v_dual_max_num_f32 v3, v118, v118 :: v_dual_max_num_f32 v10, v119, v119
	s_wait_loadcnt 0x0
	s_barrier_signal -1
	s_barrier_wait -1
	v_dual_cndmask_b32 v11, v95, v113, s6 :: v_dual_bitop2_b32 v114, 8, v95 bitop3:0x14
	v_xor_b32_e32 v117, 1, v95
	s_delay_alu instid0(VALU_DEP_2) | instskip(SKIP_1) | instid1(VALU_DEP_1)
	v_cmp_gt_i32_e64 s6, 32, v114
	v_cvt_f32_f16_e32 v0, v0
	v_dual_add_f32 v6, v6, v0 :: v_dual_add_f32 v7, v7, v0
	v_dual_add_f32 v8, v8, v0 :: v_dual_add_f32 v9, v9, v0
	s_delay_alu instid0(VALU_DEP_2) | instskip(NEXT) | instid1(VALU_DEP_2)
	v_add_f32_e32 v0, 0x40051340, v6
	v_dual_add_f32 v12, 0x40051340, v7 :: v_dual_add_f32 v13, 0x40051340, v8
	s_delay_alu instid0(VALU_DEP_3) | instskip(NEXT) | instid1(VALU_DEP_3)
	v_dual_add_f32 v14, 0x40051340, v9 :: v_dual_lshlrev_b32 v11, 2, v11
	v_max_num_f32_e32 v0, v1, v0
	s_delay_alu instid0(VALU_DEP_3) | instskip(NEXT) | instid1(VALU_DEP_3)
	v_dual_max_num_f32 v1, v2, v12 :: v_dual_max_num_f32 v2, v3, v13
	v_max_num_f32_e32 v3, v10, v14
	ds_bpermute_b32 v10, v11, v0
	ds_bpermute_b32 v12, v11, v1
	v_cndmask_b32_e64 v14, v95, v114, s6
	ds_bpermute_b32 v13, v11, v2
	v_cmp_gt_i32_e64 s6, 32, v115
	s_wait_dscnt 0x1
	v_dual_max_num_f32 v10, v10, v10 :: v_dual_max_num_f32 v12, v12, v12
	v_lshlrev_b32_e32 v14, 2, v14
	ds_bpermute_b32 v11, v11, v3
	s_wait_dscnt 0x1
	v_dual_max_num_f32 v13, v13, v13 :: v_dual_max_num_f32 v0, v0, v10
	s_delay_alu instid0(VALU_DEP_1) | instskip(SKIP_4) | instid1(VALU_DEP_1)
	v_dual_max_num_f32 v1, v1, v12 :: v_dual_max_num_f32 v2, v2, v13
	ds_bpermute_b32 v10, v14, v0
	ds_bpermute_b32 v12, v14, v2
	s_wait_dscnt 0x2
	v_max_num_f32_e32 v11, v11, v11
	v_max_num_f32_e32 v3, v3, v11
	ds_bpermute_b32 v11, v14, v1
	s_wait_dscnt 0x2
	v_max_num_f32_e32 v10, v10, v10
	ds_bpermute_b32 v13, v14, v3
	s_wait_dscnt 0x2
	v_dual_cndmask_b32 v14, v95, v115, s6 :: v_dual_max_num_f32 v12, v12, v12
	s_wait_dscnt 0x1
	s_delay_alu instid0(VALU_DEP_1) | instskip(SKIP_2) | instid1(VALU_DEP_2)
	v_dual_max_num_f32 v11, v11, v11 :: v_dual_lshlrev_b32 v14, 2, v14
	s_wait_dscnt 0x0
	v_dual_max_num_f32 v13, v13, v13 :: v_dual_max_num_f32 v0, v0, v10
	v_dual_max_num_f32 v1, v1, v11 :: v_dual_max_num_f32 v2, v2, v12
	s_delay_alu instid0(VALU_DEP_2)
	v_max_num_f32_e32 v3, v3, v13
	ds_bpermute_b32 v10, v14, v0
	ds_bpermute_b32 v11, v14, v1
	ds_bpermute_b32 v12, v14, v2
	v_xor_b32_e32 v116, 2, v95
	ds_bpermute_b32 v13, v14, v3
	s_wait_dscnt 0x3
	v_max_num_f32_e32 v10, v10, v10
	v_cmp_gt_i32_e64 s6, 32, v116
	s_wait_dscnt 0x1
	v_dual_max_num_f32 v11, v11, v11 :: v_dual_max_num_f32 v12, v12, v12
	s_wait_dscnt 0x0
	s_delay_alu instid0(VALU_DEP_2) | instskip(NEXT) | instid1(VALU_DEP_2)
	v_dual_max_num_f32 v13, v13, v13 :: v_dual_cndmask_b32 v14, v95, v116, s6
	v_dual_max_num_f32 v1, v1, v11 :: v_dual_max_num_f32 v0, v0, v10
	s_delay_alu instid0(VALU_DEP_2) | instskip(NEXT) | instid1(VALU_DEP_3)
	v_dual_max_num_f32 v2, v2, v12 :: v_dual_max_num_f32 v3, v3, v13
	v_lshlrev_b32_e32 v14, 2, v14
	v_cmp_gt_i32_e64 s6, 32, v117
	ds_bpermute_b32 v10, v14, v0
	ds_bpermute_b32 v11, v14, v1
	;; [unrolled: 1-line block ×4, first 2 shown]
	s_wait_dscnt 0x3
	v_dual_cndmask_b32 v14, v95, v117, s6 :: v_dual_max_num_f32 v10, v10, v10
	s_wait_dscnt 0x2
	s_delay_alu instid0(VALU_DEP_1) | instskip(SKIP_2) | instid1(VALU_DEP_2)
	v_dual_max_num_f32 v11, v11, v11 :: v_dual_lshlrev_b32 v14, 2, v14
	s_wait_dscnt 0x0
	v_dual_max_num_f32 v12, v12, v12 :: v_dual_max_num_f32 v13, v13, v13
	v_dual_max_num_f32 v0, v0, v10 :: v_dual_max_num_f32 v1, v1, v11
	s_delay_alu instid0(VALU_DEP_2)
	v_dual_max_num_f32 v2, v2, v12 :: v_dual_max_num_f32 v3, v3, v13
	ds_bpermute_b32 v10, v14, v0
	ds_bpermute_b32 v11, v14, v1
	;; [unrolled: 1-line block ×4, first 2 shown]
	s_wait_dscnt 0x2
	v_dual_max_num_f32 v10, v10, v10 :: v_dual_max_num_f32 v11, v11, v11
	s_wait_dscnt 0x0
	v_dual_max_num_f32 v12, v12, v12 :: v_dual_max_num_f32 v13, v13, v13
	s_delay_alu instid0(VALU_DEP_2) | instskip(NEXT) | instid1(VALU_DEP_2)
	v_dual_max_num_f32 v0, v0, v10 :: v_dual_max_num_f32 v1, v1, v11
	v_dual_max_num_f32 v2, v2, v12 :: v_dual_max_num_f32 v3, v3, v13
	s_delay_alu instid0(VALU_DEP_2) | instskip(NEXT) | instid1(VALU_DEP_2)
	v_dual_sub_f32 v6, v6, v0 :: v_dual_sub_f32 v7, v7, v1
	v_dual_sub_f32 v8, v8, v2 :: v_dual_sub_f32 v9, v9, v3
	s_delay_alu instid0(VALU_DEP_2) | instskip(SKIP_1) | instid1(VALU_DEP_3)
	v_mul_f32_e32 v10, 0x3fb8aa3b, v6
	v_cmp_ngt_f32_e64 s6, 0xc2ce8ed0, v6
	v_dual_mul_f32 v11, 0x3fb8aa3b, v7 :: v_dual_mul_f32 v12, 0x3fb8aa3b, v8
	s_delay_alu instid0(VALU_DEP_4) | instskip(NEXT) | instid1(VALU_DEP_4)
	v_mul_f32_e32 v13, 0x3fb8aa3b, v9
	v_fma_f32 v14, 0x3fb8aa3b, v6, -v10
	v_rndne_f32_e32 v15, v10
	s_delay_alu instid0(VALU_DEP_4) | instskip(SKIP_4) | instid1(VALU_DEP_4)
	v_fma_f32 v16, 0x3fb8aa3b, v7, -v11
	v_rndne_f32_e32 v17, v11
	v_rndne_f32_e32 v19, v12
	v_fma_f32 v20, 0x3fb8aa3b, v9, -v13
	v_rndne_f32_e32 v21, v13
	v_dual_fmac_f32 v14, 0x32a5705f, v6 :: v_dual_sub_f32 v11, v11, v17
	v_sub_f32_e32 v10, v10, v15
	v_fma_f32 v18, 0x3fb8aa3b, v8, -v12
	v_fmac_f32_e32 v20, 0x32a5705f, v9
	v_dual_sub_f32 v13, v13, v21 :: v_dual_fmac_f32 v16, 0x32a5705f, v7
	s_delay_alu instid0(VALU_DEP_4) | instskip(SKIP_1) | instid1(VALU_DEP_3)
	v_dual_sub_f32 v12, v12, v19 :: v_dual_add_f32 v10, v10, v14
	v_cvt_i32_f32_e32 v15, v15
	v_add_f32_e32 v13, v13, v20
	s_delay_alu instid0(VALU_DEP_4)
	v_add_f32_e32 v11, v11, v16
	v_fmac_f32_e32 v18, 0x32a5705f, v8
	v_exp_f32_e32 v10, v10
	v_cvt_i32_f32_e32 v14, v17
	v_cvt_i32_f32_e32 v16, v19
	v_exp_f32_e32 v11, v11
	v_exp_f32_e32 v13, v13
	v_cvt_i32_f32_e32 v17, v21
	s_delay_alu instid0(TRANS32_DEP_3) | instskip(NEXT) | instid1(TRANS32_DEP_2)
	v_ldexp_f32 v10, v10, v15
	v_ldexp_f32 v11, v11, v14
	s_delay_alu instid0(TRANS32_DEP_1) | instid1(VALU_DEP_3)
	v_ldexp_f32 v13, v13, v17
	s_delay_alu instid0(VALU_DEP_3) | instskip(SKIP_1) | instid1(VALU_DEP_1)
	v_cndmask_b32_e64 v10, 0, v10, s6
	v_cmp_ngt_f32_e64 s6, 0xc2ce8ed0, v7
	v_dual_add_f32 v12, v12, v18 :: v_dual_cndmask_b32 v11, 0, v11, s6
	s_delay_alu instid0(VALU_DEP_1) | instskip(SKIP_1) | instid1(TRANS32_DEP_1)
	v_exp_f32_e32 v12, v12
	v_cmp_ngt_f32_e64 s6, 0xc2ce8ed0, v8
	v_ldexp_f32 v12, v12, v16
	s_delay_alu instid0(VALU_DEP_1) | instskip(SKIP_1) | instid1(VALU_DEP_1)
	v_cndmask_b32_e64 v12, 0, v12, s6
	v_cmp_ngt_f32_e64 s6, 0xc2ce8ed0, v9
	v_cndmask_b32_e64 v13, 0, v13, s6
	v_cmp_nlt_f32_e64 s6, 0x42b17218, v6
	s_delay_alu instid0(VALU_DEP_1) | instskip(SKIP_2) | instid1(VALU_DEP_2)
	v_cndmask_b32_e64 v86, 0x7f800000, v10, s6
	v_cmp_nlt_f32_e64 s6, 0x42b17218, v8
	v_add_nc_u32_e32 v8, v106, v94
	v_cndmask_b32_e64 v88, 0x7f800000, v12, s6
	v_cmp_nlt_f32_e64 s6, 0x42b17218, v9
	s_delay_alu instid0(VALU_DEP_1) | instskip(SKIP_1) | instid1(VALU_DEP_2)
	v_cndmask_b32_e64 v89, 0x7f800000, v13, s6
	v_cmp_nlt_f32_e64 s6, 0x42b17218, v7
	v_cvt_pk_f16_f32 v7, v88, v89
	s_delay_alu instid0(VALU_DEP_2) | instskip(SKIP_1) | instid1(SALU_CYCLE_1)
	v_cndmask_b32_e64 v87, 0x7f800000, v11, s6
	s_mul_u64 s[6:7], s[18:19], s[24:25]
	s_lshl_b64 s[6:7], s[6:7], 2
	s_delay_alu instid0(VALU_DEP_1)
	v_cvt_pk_f16_f32 v6, v86, v87
	s_add_nc_u64 s[6:7], s[40:41], s[6:7]
	ds_store_b64 v8, v[6:7]
	s_wait_xcnt 0x0
	s_and_saveexec_b32 s8, s4
	s_cbranch_execz .LBB21_21
; %bb.20:                               ;   in Loop: Header=BB21_11 Depth=1
	v_lshl_add_u64 v[6:7], v[78:79], 2, s[6:7]
	v_mov_b32_e32 v85, v77
	s_delay_alu instid0(VALU_DEP_1)
	v_add_nc_u64_e32 v[6:7], v[6:7], v[84:85]
	global_load_b128 v[6:9], v[6:7], off offset:128
	s_wait_loadcnt 0x0
	ds_store_b128 v108, v[6:9]
.LBB21_21:                              ;   in Loop: Header=BB21_11 Depth=1
	s_or_b32 exec_lo, exec_lo, s8
	v_lshlrev_b32_e32 v90, 2, v80
	s_and_saveexec_b32 s8, s5
	s_cbranch_execz .LBB21_23
; %bb.22:                               ;   in Loop: Header=BB21_11 Depth=1
	v_lshl_add_u64 v[6:7], v[82:83], 2, s[6:7]
	v_mov_b32_e32 v91, v77
	s_delay_alu instid0(VALU_DEP_1)
	v_add_nc_u64_e32 v[6:7], v[6:7], v[90:91]
	global_load_b128 v[6:9], v[6:7], off
	s_wait_loadcnt 0x0
	ds_store_b128 v109, v[6:9]
.LBB21_23:                              ;   in Loop: Header=BB21_11 Depth=1
	s_or_b32 exec_lo, exec_lo, s8
	v_add_nc_u32_e32 v122, 0x1800, v94
	v_add_nc_u32_e32 v121, 0x1c00, v94
	;; [unrolled: 1-line block ×3, first 2 shown]
	v_dual_sub_f32 v124, v4, v0 :: v_dual_sub_f32 v123, v5, v1
	s_wait_dscnt 0x0
	s_barrier_signal -1
	s_barrier_wait -1
	ds_load_2addr_b64 v[32:35], v122 offset1:24
	ds_load_b128 v[64:67], v106
	ds_load_b128 v[60:63], v106 offset:16
	ds_load_b128 v[56:59], v106 offset:32
	;; [unrolled: 1-line block ×3, first 2 shown]
	ds_load_2addr_b64 v[28:31], v122 offset0:48 offset1:72
	ds_load_2addr_b64 v[24:27], v122 offset0:96 offset1:120
	;; [unrolled: 1-line block ×3, first 2 shown]
	v_dual_sub_f32 v125, v118, v2 :: v_dual_sub_f32 v118, v119, v3
	ds_load_2addr_b64 v[16:19], v122 offset0:192 offset1:216
	ds_load_2addr_b64 v[12:15], v121 offset0:112 offset1:136
	ds_load_b128 v[48:51], v106 offset:64
	ds_load_b128 v[44:47], v106 offset:80
	ds_load_2addr_b64 v[8:11], v120 offset0:32 offset1:56
	ds_load_2addr_b64 v[4:7], v120 offset0:80 offset1:104
	ds_load_b128 v[40:43], v106 offset:96
	ds_load_b128 v[36:39], v106 offset:112
	s_or_b32 s44, s18, 16
	v_cmp_ngt_f32_e64 s10, 0xc2ce8ed0, v124
	s_ashr_i32 s45, s44, 31
	v_cmp_nlt_f32_e64 s6, 0x42b17218, v124
	s_mul_u64 s[44:45], s[44:45], s[24:25]
	v_cmp_ngt_f32_e64 s12, 0xc2ce8ed0, v123
	v_cmp_nlt_f32_e64 s7, 0x42b17218, v123
	v_cmp_ngt_f32_e64 s13, 0xc2ce8ed0, v125
	v_cmp_nlt_f32_e64 s8, 0x42b17218, v125
	;; [unrolled: 2-line block ×3, first 2 shown]
	s_lshl_b64 s[44:45], s[44:45], 2
	s_wait_dscnt 0x0
	s_add_nc_u64 s[44:45], s[40:41], s[44:45]
	s_barrier_signal -1
	s_barrier_wait -1
	s_and_saveexec_b32 s15, s4
	s_cbranch_execz .LBB21_25
; %bb.24:                               ;   in Loop: Header=BB21_11 Depth=1
	v_lshl_add_u64 v[126:127], v[78:79], 2, s[44:45]
	v_mov_b32_e32 v85, v77
	s_delay_alu instid0(VALU_DEP_1)
	v_add_nc_u64_e32 v[126:127], v[126:127], v[84:85]
	global_load_b128 v[126:129], v[126:127], off offset:128
	s_wait_loadcnt 0x0
	ds_store_b128 v108, v[126:129]
.LBB21_25:                              ;   in Loop: Header=BB21_11 Depth=1
	s_or_b32 exec_lo, exec_lo, s15
	s_and_saveexec_b32 s15, s5
	s_cbranch_execz .LBB21_27
; %bb.26:                               ;   in Loop: Header=BB21_11 Depth=1
	v_lshl_add_u64 v[126:127], v[82:83], 2, s[44:45]
	v_mov_b32_e32 v91, v77
	s_delay_alu instid0(VALU_DEP_1)
	v_add_nc_u64_e32 v[90:91], v[126:127], v[90:91]
	global_load_b128 v[126:129], v[90:91], off
	s_wait_loadcnt 0x0
	ds_store_b128 v109, v[126:129]
.LBB21_27:                              ;   in Loop: Header=BB21_11 Depth=1
	s_or_b32 exec_lo, exec_lo, s15
	v_dual_mul_f32 v85, 0x3fb8aa3b, v124 :: v_dual_mul_f32 v90, 0x3fb8aa3b, v123
	v_and_b32_e32 v132, 0xffff, v62
	v_lshrrev_b32_e32 v62, 16, v62
	v_and_b32_e32 v133, 0xffff, v63
	s_delay_alu instid0(VALU_DEP_4) | instskip(SKIP_4) | instid1(VALU_DEP_4)
	v_fma_f32 v126, 0x3fb8aa3b, v124, -v85
	v_rndne_f32_e32 v127, v85
	v_fma_f32 v128, 0x3fb8aa3b, v123, -v90
	v_rndne_f32_e32 v129, v90
	v_mul_f32_e32 v119, 0x3fb8aa3b, v118
	v_dual_fmac_f32 v126, 0x32a5705f, v124 :: v_dual_sub_f32 v85, v85, v127
	s_delay_alu instid0(VALU_DEP_4) | instskip(NEXT) | instid1(VALU_DEP_4)
	v_fmac_f32_e32 v128, 0x32a5705f, v123
	v_sub_f32_e32 v90, v90, v129
	s_delay_alu instid0(VALU_DEP_4) | instskip(SKIP_2) | instid1(VALU_DEP_4)
	v_fma_f32 v131, 0x3fb8aa3b, v118, -v119
	v_rndne_f32_e32 v123, v119
	v_add_f32_e32 v85, v85, v126
	v_dual_mul_f32 v91, 0x3fb8aa3b, v125 :: v_dual_add_f32 v90, v90, v128
	s_delay_alu instid0(VALU_DEP_3) | instskip(NEXT) | instid1(VALU_DEP_3)
	v_dual_fmac_f32 v131, 0x32a5705f, v118 :: v_dual_sub_f32 v118, v119, v123
	v_exp_f32_e32 v85, v85
	s_delay_alu instid0(VALU_DEP_2) | instskip(SKIP_4) | instid1(VALU_DEP_3)
	v_fma_f32 v130, 0x3fb8aa3b, v125, -v91
	v_rndne_f32_e32 v124, v91
	v_cvt_i32_f32_e32 v119, v127
	v_exp_f32_e32 v90, v90
	v_and_b32_e32 v126, 0xffff, v64
	v_dual_fmac_f32 v130, 0x32a5705f, v125 :: v_dual_sub_f32 v91, v91, v124
	v_cvt_i32_f32_e32 v125, v129
	v_add_f32_e32 v118, v118, v131
	v_cvt_i32_f32_e32 v124, v124
	v_ldexp_f32 v85, v85, v119
	v_add_f32_e32 v91, v91, v130
	v_cvt_i32_f32_e32 v119, v123
	v_exp_f32_e32 v118, v118
	v_ldexp_f32 v90, v90, v125
	v_cndmask_b32_e64 v85, 0, v85, s10
	v_exp_f32_e32 v91, v91
	v_lshrrev_b32_e32 v64, 16, v64
	v_and_b32_e32 v127, 0xffff, v65
	v_cndmask_b32_e64 v123, 0, v90, s12
	v_ldexp_f32 v118, v118, v119
	v_cndmask_b32_e64 v90, 0x7f800000, v85, s6
	v_lshrrev_b32_e32 v65, 16, v65
	v_ldexp_f32 v91, v91, v124
	v_mul_u32_u24_e32 v126, 0x10001, v126
	v_cndmask_b32_e64 v85, 0, v118, s11
	v_mul_u32_u24_e32 v64, 0x10001, v64
	v_mul_u32_u24_e32 v127, 0x10001, v127
	v_cndmask_b32_e64 v119, 0, v91, s13
	v_cndmask_b32_e64 v91, 0x7f800000, v123, s7
	v_cvt_f16_f32_e32 v123, v90
	v_and_b32_e32 v128, 0xffff, v66
	v_lshrrev_b32_e32 v66, 16, v66
	v_cndmask_b32_e64 v118, 0x7f800000, v119, s8
	v_cndmask_b32_e64 v119, 0x7f800000, v85, s9
	v_cvt_f16_f32_e32 v124, v91
	v_and_b32_e32 v123, 0xffff, v123
	v_and_b32_e32 v129, 0xffff, v67
	v_cvt_f16_f32_e32 v85, v118
	v_cvt_f16_f32_e32 v125, v119
	v_and_b32_e32 v124, 0xffff, v124
	v_mul_u32_u24_e32 v123, 0x10001, v123
	v_mul_u32_u24_e32 v65, 0x10001, v65
	v_and_b32_e32 v85, 0xffff, v85
	v_and_b32_e32 v125, 0xffff, v125
	v_mul_u32_u24_e32 v124, 0x10001, v124
	v_lshrrev_b32_e32 v67, 16, v67
	v_pk_mul_f16 v112, v112, v123
	v_mul_u32_u24_e32 v85, 0x10001, v85
	v_mul_u32_u24_e32 v125, 0x10001, v125
	v_pk_mul_f16 v110, v110, v124
	v_pk_mul_f16 v158, v32, v126
	;; [unrolled: 1-line block ×7, first 2 shown]
	v_mul_u32_u24_e32 v128, 0x10001, v128
	v_mul_u32_u24_e32 v66, 0x10001, v66
	v_mul_u32_u24_e32 v129, 0x10001, v129
	v_and_b32_e32 v130, 0xffff, v60
	v_lshrrev_b32_e32 v60, 16, v60
	v_and_b32_e32 v131, 0xffff, v61
	v_mul_u32_u24_e32 v67, 0x10001, v67
	v_lshrrev_b32_e32 v61, 16, v61
	v_pk_fma_f16 v111, v111, v123, v158
	v_pk_fma_f16 v107, v107, v124, v159
	v_pk_fma_f16 v85, v99, v85, v160
	v_pk_fma_f16 v32, v32, v65, v97
	v_pk_fma_f16 v97, v33, v126, v112
	v_pk_fma_f16 v64, v33, v64, v110
	v_pk_fma_f16 v99, v33, v127, v100
	v_pk_fma_f16 v33, v33, v65, v98
	v_mul_u32_u24_e32 v130, 0x10001, v130
	v_mul_u32_u24_e32 v60, 0x10001, v60
	v_mul_u32_u24_e32 v131, 0x10001, v131
	v_mul_u32_u24_e32 v61, 0x10001, v61
	v_lshrrev_b32_e32 v63, 16, v63
	v_pk_fma_f16 v65, v34, v128, v111
	v_pk_fma_f16 v98, v34, v66, v107
	v_pk_fma_f16 v85, v34, v129, v85
	v_pk_fma_f16 v32, v34, v67, v32
	v_pk_fma_f16 v34, v35, v128, v97
	v_pk_fma_f16 v64, v35, v66, v64
	v_pk_fma_f16 v66, v35, v129, v99
	v_pk_fma_f16 v33, v35, v67, v33
	v_mul_u32_u24_e32 v132, 0x10001, v132
	v_mul_u32_u24_e32 v62, 0x10001, v62
	v_mul_u32_u24_e32 v133, 0x10001, v133
	v_and_b32_e32 v134, 0xffff, v56
	v_lshrrev_b32_e32 v56, 16, v56
	v_and_b32_e32 v135, 0xffff, v57
	v_mul_u32_u24_e32 v63, 0x10001, v63
	v_lshrrev_b32_e32 v57, 16, v57
	v_pk_fma_f16 v35, v28, v130, v65
	v_pk_fma_f16 v65, v28, v60, v98
	v_pk_fma_f16 v67, v28, v131, v85
	v_pk_fma_f16 v28, v28, v61, v32
	v_pk_fma_f16 v32, v29, v130, v34
	v_pk_fma_f16 v34, v29, v60, v64
	v_pk_fma_f16 v60, v29, v131, v66
	v_pk_fma_f16 v29, v29, v61, v33
	v_mul_u32_u24_e32 v134, 0x10001, v134
	v_mul_u32_u24_e32 v56, 0x10001, v56
	v_mul_u32_u24_e32 v135, 0x10001, v135
	v_and_b32_e32 v136, 0xffff, v58
	v_lshrrev_b32_e32 v58, 16, v58
	v_and_b32_e32 v137, 0xffff, v59
	v_mul_u32_u24_e32 v57, 0x10001, v57
	;; [unrolled: 16-line block ×10, first 2 shown]
	v_lshrrev_b32_e32 v43, 16, v43
	v_pk_fma_f16 v17, v14, v148, v19
	v_pk_fma_f16 v19, v14, v46, v21
	;; [unrolled: 1-line block ×8, first 2 shown]
	v_mul_u32_u24_e32 v152, 0x10001, v152
	v_mul_u32_u24_e32 v42, 0x10001, v42
	;; [unrolled: 1-line block ×3, first 2 shown]
	v_and_b32_e32 v154, 0xffff, v36
	v_lshrrev_b32_e32 v36, 16, v36
	v_mul_u32_u24_e32 v43, 0x10001, v43
	v_pk_fma_f16 v15, v8, v150, v17
	v_pk_fma_f16 v17, v8, v40, v19
	v_pk_fma_f16 v19, v8, v151, v21
	v_pk_fma_f16 v8, v8, v41, v12
	v_pk_fma_f16 v12, v9, v150, v14
	v_pk_fma_f16 v14, v9, v40, v16
	v_pk_fma_f16 v16, v9, v151, v18
	v_pk_fma_f16 v9, v9, v41, v13
	v_and_b32_e32 v155, 0xffff, v37
	v_lshrrev_b32_e32 v37, 16, v37
	v_mul_u32_u24_e32 v154, 0x10001, v154
	v_mul_u32_u24_e32 v36, 0x10001, v36
	v_and_b32_e32 v156, 0xffff, v38
	v_lshrrev_b32_e32 v38, 16, v38
	v_pk_fma_f16 v13, v10, v152, v15
	v_pk_fma_f16 v15, v10, v42, v17
	;; [unrolled: 1-line block ×8, first 2 shown]
	s_wait_dscnt 0x0
	s_barrier_signal -1
	s_barrier_wait -1
	ds_load_b128 v[8:11], v106 offset:128
	v_mul_u32_u24_e32 v155, 0x10001, v155
	v_and_b32_e32 v157, 0xffff, v39
	v_lshrrev_b32_e32 v39, 16, v39
	v_mul_u32_u24_e32 v37, 0x10001, v37
	v_mul_u32_u24_e32 v156, 0x10001, v156
	;; [unrolled: 1-line block ×3, first 2 shown]
	v_pk_fma_f16 v13, v4, v154, v13
	v_pk_fma_f16 v15, v4, v36, v15
	;; [unrolled: 1-line block ×8, first 2 shown]
	ds_load_2addr_b64 v[12:15], v122 offset1:24
	v_mul_u32_u24_e32 v157, 0x10001, v157
	v_mul_u32_u24_e32 v39, 0x10001, v39
	v_pk_fma_f16 v16, v5, v155, v16
	v_pk_fma_f16 v5, v5, v37, v19
	v_pk_fma_f16 v28, v7, v156, v18
	v_pk_fma_f16 v26, v6, v157, v17
	v_pk_fma_f16 v27, v6, v39, v4
	v_pk_fma_f16 v29, v7, v38, v20
	v_pk_fma_f16 v30, v7, v157, v16
	v_pk_fma_f16 v31, v7, v39, v5
	ds_load_b128 v[4:7], v106 offset:144
	s_wait_dscnt 0x2
	v_and_b32_e32 v16, 0xffff, v8
	v_lshrrev_b32_e32 v8, 16, v8
	v_and_b32_e32 v17, 0xffff, v9
	v_lshrrev_b32_e32 v9, 16, v9
	v_pk_fma_f32 v[68:69], v[68:69], v[118:119], v[88:89]
	v_mul_u32_u24_e32 v32, 0x10001, v16
	v_mul_u32_u24_e32 v8, 0x10001, v8
	;; [unrolled: 1-line block ×4, first 2 shown]
	v_lshrrev_b32_e32 v9, 16, v10
	s_wait_dscnt 0x1
	v_pk_fma_f16 v24, v12, v32, v24
	v_pk_fma_f16 v25, v12, v8, v25
	;; [unrolled: 1-line block ×6, first 2 shown]
	v_and_b32_e32 v8, 0xffff, v10
	ds_load_b128 v[16:19], v106 offset:160
	ds_load_b128 v[20:23], v106 offset:176
	v_pk_fma_f16 v29, v13, v33, v30
	v_and_b32_e32 v30, 0xffff, v11
	v_lshrrev_b32_e32 v32, 16, v11
	v_mul_u32_u24_e32 v33, 0x10001, v8
	v_mul_u32_u24_e32 v35, 0x10001, v9
	ds_load_2addr_b64 v[8:11], v122 offset0:48 offset1:72
	v_mul_u32_u24_e32 v30, 0x10001, v30
	v_mul_u32_u24_e32 v32, 0x10001, v32
	v_pk_fma_f16 v13, v13, v34, v31
	v_pk_fma_f16 v24, v14, v33, v24
	;; [unrolled: 1-line block ×7, first 2 shown]
	s_wait_dscnt 0x3
	v_and_b32_e32 v28, 0xffff, v4
	v_lshrrev_b32_e32 v4, 16, v4
	v_and_b32_e32 v31, 0xffff, v5
	v_lshrrev_b32_e32 v5, 16, v5
	v_pk_fma_f16 v29, v15, v30, v29
	v_mul_u32_u24_e32 v28, 0x10001, v28
	v_mul_u32_u24_e32 v4, 0x10001, v4
	;; [unrolled: 1-line block ×4, first 2 shown]
	v_pk_fma_f16 v13, v15, v32, v13
	s_wait_dscnt 0x0
	v_pk_fma_f16 v15, v8, v28, v24
	v_pk_fma_f16 v24, v8, v4, v25
	v_pk_fma_f16 v25, v8, v30, v26
	v_pk_fma_f16 v8, v8, v31, v12
	v_pk_fma_f16 v12, v9, v28, v14
	v_pk_fma_f16 v14, v9, v4, v27
	v_and_b32_e32 v4, 0xffff, v6
	v_dual_lshrrev_b32 v5, 16, v6 :: v_dual_lshrrev_b32 v28, 16, v7
	v_pk_fma_f16 v26, v9, v30, v29
	v_and_b32_e32 v27, 0xffff, v7
	s_delay_alu instid0(VALU_DEP_4) | instskip(NEXT) | instid1(VALU_DEP_4)
	v_mul_u32_u24_e32 v29, 0x10001, v4
	v_mul_u32_u24_e32 v30, 0x10001, v5
	ds_load_2addr_b64 v[4:7], v122 offset0:96 offset1:120
	v_mul_u32_u24_e32 v28, 0x10001, v28
	v_mul_u32_u24_e32 v27, 0x10001, v27
	v_pk_fma_f16 v9, v9, v31, v13
	v_pk_fma_f16 v13, v10, v29, v15
	;; [unrolled: 1-line block ×7, first 2 shown]
	v_and_b32_e32 v14, 0xffff, v16
	v_lshrrev_b32_e32 v16, 16, v16
	v_and_b32_e32 v25, 0xffff, v17
	v_lshrrev_b32_e32 v17, 16, v17
	v_pk_fma_f16 v26, v11, v27, v26
	v_mul_u32_u24_e32 v14, 0x10001, v14
	v_mul_u32_u24_e32 v16, 0x10001, v16
	;; [unrolled: 1-line block ×4, first 2 shown]
	v_pk_fma_f16 v27, v11, v28, v9
	s_wait_dscnt 0x0
	v_pk_fma_f16 v13, v4, v14, v13
	v_pk_fma_f16 v15, v4, v16, v15
	;; [unrolled: 1-line block ×4, first 2 shown]
	v_and_b32_e32 v8, 0xffff, v18
	v_lshrrev_b32_e32 v9, 16, v18
	v_pk_fma_f16 v14, v5, v14, v10
	v_pk_fma_f16 v12, v5, v16, v12
	;; [unrolled: 1-line block ×3, first 2 shown]
	v_and_b32_e32 v18, 0xffff, v19
	v_lshrrev_b32_e32 v19, 16, v19
	v_mul_u32_u24_e32 v25, 0x10001, v8
	v_mul_u32_u24_e32 v26, 0x10001, v9
	ds_load_2addr_b64 v[8:11], v122 offset0:144 offset1:168
	v_mul_u32_u24_e32 v18, 0x10001, v18
	v_mul_u32_u24_e32 v19, 0x10001, v19
	v_pk_fma_f16 v5, v5, v17, v27
	v_pk_fma_f16 v13, v6, v25, v13
	v_pk_fma_f16 v15, v6, v26, v15
	v_pk_fma_f16 v17, v6, v18, v24
	v_pk_fma_f16 v4, v6, v19, v4
	v_pk_fma_f16 v6, v7, v25, v14
	v_and_b32_e32 v14, 0xffff, v20
	v_lshrrev_b32_e32 v20, 16, v20
	v_and_b32_e32 v24, 0xffff, v21
	v_lshrrev_b32_e32 v21, 16, v21
	v_pk_fma_f16 v16, v7, v18, v16
	v_mul_u32_u24_e32 v14, 0x10001, v14
	v_mul_u32_u24_e32 v18, 0x10001, v20
	;; [unrolled: 1-line block ×4, first 2 shown]
	v_pk_fma_f16 v12, v7, v26, v12
	v_pk_fma_f16 v19, v7, v19, v5
	s_wait_dscnt 0x0
	v_pk_fma_f16 v24, v8, v14, v13
	v_pk_fma_f16 v25, v8, v18, v15
	v_pk_fma_f16 v17, v8, v20, v17
	v_pk_fma_f16 v8, v8, v21, v4
	v_pk_fma_f16 v26, v9, v14, v6
	ds_load_b128 v[4:7], v106 offset:192
	v_pk_fma_f16 v18, v9, v18, v12
	v_and_b32_e32 v12, 0xffff, v22
	v_lshrrev_b32_e32 v13, 16, v22
	v_and_b32_e32 v14, 0xffff, v23
	v_pk_fma_f16 v20, v9, v20, v16
	v_lshrrev_b32_e32 v16, 16, v23
	v_mul_u32_u24_e32 v22, 0x10001, v12
	v_mul_u32_u24_e32 v23, 0x10001, v13
	;; [unrolled: 1-line block ×3, first 2 shown]
	ds_load_2addr_b64 v[12:15], v122 offset0:192 offset1:216
	v_mul_u32_u24_e32 v28, 0x10001, v16
	v_pk_fma_f16 v9, v9, v21, v19
	v_pk_fma_f16 v21, v10, v22, v24
	;; [unrolled: 1-line block ×7, first 2 shown]
	ds_load_b128 v[16:19], v106 offset:208
	s_wait_dscnt 0x2
	v_and_b32_e32 v23, 0xffff, v4
	v_lshrrev_b32_e32 v4, 16, v4
	v_and_b32_e32 v26, 0xffff, v5
	v_lshrrev_b32_e32 v5, 16, v5
	v_pk_fma_f16 v20, v11, v27, v20
	v_mul_u32_u24_e32 v23, 0x10001, v23
	v_mul_u32_u24_e32 v4, 0x10001, v4
	v_mul_u32_u24_e32 v26, 0x10001, v26
	v_mul_u32_u24_e32 v27, 0x10001, v5
	v_pk_fma_f16 v9, v11, v28, v9
	s_wait_dscnt 0x1
	v_pk_fma_f16 v11, v12, v23, v21
	v_pk_fma_f16 v21, v12, v4, v24
	;; [unrolled: 1-line block ×5, first 2 shown]
	v_and_b32_e32 v4, 0xffff, v6
	v_lshrrev_b32_e32 v5, 16, v6
	v_pk_fma_f16 v10, v13, v23, v10
	v_pk_fma_f16 v20, v13, v26, v20
	v_and_b32_e32 v22, 0xffff, v7
	v_lshrrev_b32_e32 v23, 16, v7
	v_mul_u32_u24_e32 v25, 0x10001, v4
	v_mul_u32_u24_e32 v26, 0x10001, v5
	ds_load_2addr_b64 v[4:7], v121 offset0:112 offset1:136
	v_mul_u32_u24_e32 v22, 0x10001, v22
	v_mul_u32_u24_e32 v23, 0x10001, v23
	v_pk_fma_f16 v9, v13, v27, v9
	v_pk_fma_f16 v11, v14, v25, v11
	;; [unrolled: 1-line block ×5, first 2 shown]
	s_wait_dscnt 0x1
	v_and_b32_e32 v14, 0xffff, v16
	v_lshrrev_b32_e32 v16, 16, v16
	v_and_b32_e32 v24, 0xffff, v17
	v_lshrrev_b32_e32 v17, 16, v17
	v_pk_fma_f16 v10, v15, v25, v10
	v_pk_fma_f16 v20, v15, v22, v20
	v_mul_u32_u24_e32 v14, 0x10001, v14
	v_mul_u32_u24_e32 v16, 0x10001, v16
	;; [unrolled: 1-line block ×4, first 2 shown]
	v_pk_fma_f16 v12, v15, v26, v12
	v_pk_fma_f16 v23, v15, v23, v9
	s_wait_dscnt 0x0
	v_pk_fma_f16 v24, v4, v14, v11
	v_pk_fma_f16 v25, v4, v16, v13
	v_pk_fma_f16 v21, v4, v22, v21
	v_pk_fma_f16 v4, v4, v17, v8
	v_pk_fma_f16 v26, v5, v14, v10
	ds_load_b128 v[8:11], v106 offset:224
	v_pk_fma_f16 v16, v5, v16, v12
	v_and_b32_e32 v12, 0xffff, v18
	v_dual_lshrrev_b32 v13, 16, v18 :: v_dual_lshrrev_b32 v18, 16, v19
	v_and_b32_e32 v14, 0xffff, v19
	v_pk_fma_f16 v20, v5, v22, v20
	s_delay_alu instid0(VALU_DEP_4) | instskip(NEXT) | instid1(VALU_DEP_4)
	v_mul_u32_u24_e32 v19, 0x10001, v12
	v_mul_u32_u24_e32 v22, 0x10001, v13
	;; [unrolled: 1-line block ×4, first 2 shown]
	ds_load_2addr_b64 v[12:15], v120 offset0:32 offset1:56
	v_pk_fma_f16 v5, v5, v17, v23
	v_pk_fma_f16 v23, v6, v19, v24
	;; [unrolled: 1-line block ×7, first 2 shown]
	ds_load_b128 v[16:19], v106 offset:240
	s_wait_dscnt 0x2
	v_and_b32_e32 v25, 0xffff, v8
	v_lshrrev_b32_e32 v8, 16, v8
	v_and_b32_e32 v26, 0xffff, v9
	v_lshrrev_b32_e32 v9, 16, v9
	v_pk_fma_f16 v20, v7, v27, v20
	v_mul_u32_u24_e32 v25, 0x10001, v25
	v_mul_u32_u24_e32 v8, 0x10001, v8
	;; [unrolled: 1-line block ×4, first 2 shown]
	v_pk_fma_f16 v27, v7, v28, v5
	v_lshrrev_b32_e32 v5, 16, v10
	s_wait_dscnt 0x1
	v_pk_fma_f16 v23, v12, v25, v23
	v_pk_fma_f16 v24, v12, v8, v24
	;; [unrolled: 1-line block ×4, first 2 shown]
	v_and_b32_e32 v4, 0xffff, v10
	v_pk_fma_f16 v25, v13, v25, v6
	v_pk_fma_f16 v8, v13, v8, v22
	;; [unrolled: 1-line block ×3, first 2 shown]
	v_and_b32_e32 v20, 0xffff, v11
	v_lshrrev_b32_e32 v11, 16, v11
	v_mul_u32_u24_e32 v22, 0x10001, v4
	v_mul_u32_u24_e32 v26, 0x10001, v5
	ds_load_2addr_b64 v[4:7], v120 offset0:80 offset1:104
	v_mul_u32_u24_e32 v20, 0x10001, v20
	v_mul_u32_u24_e32 v11, 0x10001, v11
	s_wait_dscnt 0x0
	s_barrier_signal -1
	s_barrier_wait -1
	s_load_b32 s6, s[42:43], 0x4
	v_pk_fma_f16 v9, v13, v9, v27
	v_pk_fma_f16 v13, v14, v22, v23
	;; [unrolled: 1-line block ×6, first 2 shown]
	v_and_b32_e32 v22, 0xffff, v16
	v_lshrrev_b32_e32 v16, 16, v16
	v_and_b32_e32 v24, 0xffff, v17
	v_lshrrev_b32_e32 v17, 16, v17
	v_pk_fma_f16 v8, v15, v26, v8
	v_pk_fma_f16 v10, v15, v20, v10
	v_mul_u32_u24_e32 v20, 0x10001, v22
	v_mul_u32_u24_e32 v16, 0x10001, v16
	;; [unrolled: 1-line block ×4, first 2 shown]
	v_pk_fma_f16 v9, v15, v11, v9
	v_pk_fma_f16 v11, v4, v20, v13
	;; [unrolled: 1-line block ×7, first 2 shown]
	v_and_b32_e32 v14, 0xffff, v18
	v_lshrrev_b32_e32 v16, 16, v18
	v_and_b32_e32 v18, 0xffff, v19
	v_lshrrev_b32_e32 v19, 16, v19
	v_pk_fma_f16 v10, v5, v22, v10
	v_mul_u32_u24_e32 v14, 0x10001, v14
	v_mul_u32_u24_e32 v16, 0x10001, v16
	;; [unrolled: 1-line block ×4, first 2 shown]
	v_pk_fma_f16 v5, v5, v17, v9
	s_wait_kmcnt 0x0
	s_lshl_b32 s6, s6, 5
	v_pk_fma_f32 v[70:71], v[70:71], v[90:91], v[86:87]
	v_pk_fma_f16 v111, v6, v14, v11
	v_pk_fma_f16 v107, v6, v16, v13
	;; [unrolled: 1-line block ×8, first 2 shown]
	s_add_co_i32 s18, s6, s18
	s_delay_alu instid0(SALU_CYCLE_1)
	s_cmp_ge_i32 s18, s30
	s_cbranch_scc1 .LBB21_29
; %bb.28:                               ;   in Loop: Header=BB21_11 Depth=1
	v_dual_mov_b32 v4, v0 :: v_dual_mov_b32 v5, v1
	v_dual_mov_b32 v118, v2 :: v_dual_mov_b32 v119, v3
	s_branch .LBB21_11
.LBB21_29:
	v_mov_b32_e32 v4, v95
.LBB21_30:
	v_cmp_lt_i32_e32 vcc_lo, v113, v96
	s_cmp_lg_u64 s[16:17], 0
	s_cselect_b32 s3, -1, 0
	s_cmp_eq_u32 s31, 0
	v_cndmask_b32_e32 v5, v4, v113, vcc_lo
	v_cmp_lt_i32_e32 vcc_lo, v114, v96
	s_cselect_b32 s4, -1, 0
	s_delay_alu instid0(SALU_CYCLE_1) | instskip(NEXT) | instid1(VALU_DEP_2)
	s_and_b32 s3, s4, s3
	v_lshlrev_b32_e32 v5, 2, v5
	ds_bpermute_b32 v6, v5, v70
	ds_bpermute_b32 v7, v5, v71
	;; [unrolled: 1-line block ×4, first 2 shown]
	v_cndmask_b32_e32 v5, v4, v114, vcc_lo
	v_cmp_lt_i32_e32 vcc_lo, v115, v96
	s_delay_alu instid0(VALU_DEP_2)
	v_lshlrev_b32_e32 v5, 2, v5
	s_wait_dscnt 0x2
	v_pk_add_f32 v[6:7], v[70:71], v[6:7]
	s_wait_dscnt 0x0
	v_pk_add_f32 v[8:9], v[68:69], v[8:9]
	ds_bpermute_b32 v10, v5, v6
	ds_bpermute_b32 v11, v5, v7
	;; [unrolled: 1-line block ×4, first 2 shown]
	v_cndmask_b32_e32 v5, v4, v115, vcc_lo
	v_cmp_lt_i32_e32 vcc_lo, v116, v96
	s_delay_alu instid0(VALU_DEP_2)
	v_lshlrev_b32_e32 v5, 2, v5
	s_wait_dscnt 0x2
	v_pk_add_f32 v[6:7], v[6:7], v[10:11]
	s_wait_dscnt 0x0
	v_pk_add_f32 v[8:9], v[8:9], v[12:13]
	ds_bpermute_b32 v10, v5, v6
	ds_bpermute_b32 v11, v5, v7
	;; [unrolled: 1-line block ×4, first 2 shown]
	v_cndmask_b32_e32 v5, v4, v116, vcc_lo
	v_cmp_lt_i32_e32 vcc_lo, v117, v96
	s_delay_alu instid0(VALU_DEP_2) | instskip(SKIP_2) | instid1(VALU_DEP_1)
	v_lshlrev_b32_e32 v5, 2, v5
	v_cndmask_b32_e32 v4, v4, v117, vcc_lo
	s_and_b32 vcc_lo, exec_lo, s3
	v_lshlrev_b32_e32 v14, 2, v4
	s_wait_dscnt 0x2
	v_pk_add_f32 v[6:7], v[6:7], v[10:11]
	s_wait_dscnt 0x0
	v_pk_add_f32 v[8:9], v[8:9], v[12:13]
	ds_bpermute_b32 v10, v5, v6
	ds_bpermute_b32 v11, v5, v7
	;; [unrolled: 1-line block ×4, first 2 shown]
	s_wait_dscnt 0x2
	v_pk_add_f32 v[4:5], v[6:7], v[10:11]
	s_wait_dscnt 0x0
	v_pk_add_f32 v[8:9], v[8:9], v[12:13]
	ds_bpermute_b32 v6, v14, v4
	ds_bpermute_b32 v7, v14, v5
	;; [unrolled: 1-line block ×4, first 2 shown]
	s_wait_dscnt 0x2
	v_pk_add_f32 v[6:7], v[4:5], v[6:7]
	s_wait_dscnt 0x0
	v_pk_add_f32 v[4:5], v[8:9], v[10:11]
	s_cbranch_vccz .LBB21_32
; %bb.31:
	s_ashr_i32 s15, s14, 31
	v_dual_mov_b32 v8, 0 :: v_dual_max_num_f32 v12, v0, v0
	s_lshl_b64 s[4:5], s[14:15], 2
	v_dual_max_num_f32 v13, v1, v1 :: v_dual_max_num_f32 v14, v2, v2
	s_add_nc_u64 s[4:5], s[16:17], s[4:5]
	v_max_num_f32_e32 v16, v3, v3
	global_load_b128 v[8:11], v8, s[4:5]
	s_wait_loadcnt 0x0
	v_dual_max_num_f32 v15, v8, v8 :: v_dual_max_num_f32 v17, v9, v9
	v_dual_max_num_f32 v18, v10, v10 :: v_dual_max_num_f32 v19, v11, v11
	s_delay_alu instid0(VALU_DEP_2) | instskip(NEXT) | instid1(VALU_DEP_2)
	v_dual_max_num_f32 v12, v12, v15 :: v_dual_max_num_f32 v13, v13, v17
	v_dual_max_num_f32 v14, v14, v18 :: v_dual_max_num_f32 v15, v16, v19
	s_delay_alu instid0(VALU_DEP_2) | instskip(NEXT) | instid1(VALU_DEP_2)
	v_dual_sub_f32 v0, v0, v12 :: v_dual_sub_f32 v9, v9, v13
	v_dual_sub_f32 v8, v8, v12 :: v_dual_sub_f32 v16, v2, v14
	s_delay_alu instid0(VALU_DEP_3) | instskip(NEXT) | instid1(VALU_DEP_3)
	v_dual_sub_f32 v1, v1, v13 :: v_dual_sub_f32 v11, v11, v15
	v_mul_f32_e32 v2, 0x3fb8aa3b, v0
	v_dual_sub_f32 v10, v10, v14 :: v_dual_sub_f32 v17, v3, v15
	s_delay_alu instid0(VALU_DEP_3) | instskip(SKIP_1) | instid1(VALU_DEP_4)
	v_dual_mul_f32 v3, 0x3fb8aa3b, v8 :: v_dual_mul_f32 v18, 0x3fb8aa3b, v1
	v_dual_mul_f32 v19, 0x3fb8aa3b, v9 :: v_dual_mul_f32 v20, 0x3fb8aa3b, v16
	v_fma_f32 v24, 0x3fb8aa3b, v0, -v2
	v_rndne_f32_e32 v25, v2
	v_mul_f32_e32 v23, 0x3fb8aa3b, v11
	v_fma_f32 v26, 0x3fb8aa3b, v8, -v3
	v_rndne_f32_e32 v27, v3
	v_fma_f32 v30, 0x3fb8aa3b, v9, -v19
	v_rndne_f32_e32 v31, v19
	v_rndne_f32_e32 v33, v20
	s_delay_alu instid0(VALU_DEP_4) | instskip(SKIP_4) | instid1(VALU_DEP_4)
	v_dual_fmac_f32 v24, 0x32a5705f, v0 :: v_dual_sub_f32 v3, v3, v27
	v_sub_f32_e32 v2, v2, v25
	v_fma_f32 v32, 0x3fb8aa3b, v16, -v20
	v_dual_fmac_f32 v26, 0x32a5705f, v8 :: v_dual_sub_f32 v19, v19, v31
	v_fmac_f32_e32 v30, 0x32a5705f, v9
	v_dual_sub_f32 v20, v20, v33 :: v_dual_add_f32 v2, v2, v24
	v_dual_mul_f32 v21, 0x3fb8aa3b, v10 :: v_dual_mul_f32 v22, 0x3fb8aa3b, v17
	v_fma_f32 v28, 0x3fb8aa3b, v1, -v18
	v_rndne_f32_e32 v29, v18
	v_dual_add_f32 v3, v3, v26 :: v_dual_fmac_f32 v32, 0x32a5705f, v16
	v_add_f32_e32 v19, v19, v30
	v_exp_f32_e32 v2, v2
	v_rndne_f32_e32 v35, v21
	v_rndne_f32_e32 v39, v23
	v_cvt_i32_f32_e32 v25, v25
	v_fmac_f32_e32 v28, 0x32a5705f, v1
	v_sub_f32_e32 v18, v18, v29
	v_exp_f32_e32 v3, v3
	v_exp_f32_e32 v19, v19
	v_fma_f32 v34, 0x3fb8aa3b, v10, -v21
	v_fma_f32 v38, 0x3fb8aa3b, v11, -v23
	v_cvt_i32_f32_e32 v27, v27
	v_cvt_i32_f32_e32 v31, v31
	v_sub_f32_e32 v21, v21, v35
	v_dual_sub_f32 v23, v23, v39 :: v_dual_add_f32 v18, v18, v28
	v_ldexp_f32 v2, v2, v25
	v_cmp_ngt_f32_e32 vcc_lo, 0xc2ce8ed0, v0
	v_fma_f32 v36, 0x3fb8aa3b, v17, -v22
	v_rndne_f32_e32 v37, v22
	v_exp_f32_e32 v18, v18
	v_ldexp_f32 v3, v3, v27
	v_ldexp_f32 v19, v19, v31
	v_cndmask_b32_e32 v2, 0, v2, vcc_lo
	v_cmp_ngt_f32_e32 vcc_lo, 0xc2ce8ed0, v8
	v_cvt_i32_f32_e32 v29, v29
	v_fmac_f32_e32 v34, 0x32a5705f, v10
	v_dual_sub_f32 v22, v22, v37 :: v_dual_add_f32 v20, v20, v32
	v_dual_cndmask_b32 v3, 0, v3 :: v_dual_fmac_f32 v36, 0x32a5705f, v17
	s_delay_alu instid0(VALU_DEP_3)
	v_add_f32_e32 v21, v21, v34
	v_ldexp_f32 v18, v18, v29
	v_cmp_ngt_f32_e32 vcc_lo, 0xc2ce8ed0, v1
	v_exp_f32_e32 v20, v20
	v_add_f32_e32 v22, v22, v36
	v_cvt_i32_f32_e32 v33, v33
	v_exp_f32_e32 v21, v21
	v_cndmask_b32_e32 v18, 0, v18, vcc_lo
	v_cmp_ngt_f32_e32 vcc_lo, 0xc2ce8ed0, v9
	v_exp_f32_e32 v22, v22
	v_cvt_i32_f32_e32 v35, v35
	v_cvt_i32_f32_e32 v37, v37
	v_ldexp_f32 v20, v20, v33
	v_cndmask_b32_e32 v19, 0, v19, vcc_lo
	v_cmp_ngt_f32_e32 vcc_lo, 0xc2ce8ed0, v16
	v_ldexp_f32 v21, v21, v35
	v_ldexp_f32 v22, v22, v37
	v_cvt_i32_f32_e32 v39, v39
	v_cndmask_b32_e32 v20, 0, v20, vcc_lo
	v_cmp_ngt_f32_e32 vcc_lo, 0xc2ce8ed0, v10
	v_dual_fmac_f32 v38, 0x32a5705f, v11 :: v_dual_cndmask_b32 v21, 0, v21
	s_delay_alu instid0(VALU_DEP_1) | instskip(SKIP_1) | instid1(VALU_DEP_2)
	v_add_f32_e32 v23, v23, v38
	v_cmp_ngt_f32_e32 vcc_lo, 0xc2ce8ed0, v17
	v_exp_f32_e32 v23, v23
	v_cndmask_b32_e32 v22, 0, v22, vcc_lo
	v_cmp_ngt_f32_e32 vcc_lo, 0xc2ce8ed0, v11
	s_delay_alu instid0(TRANS32_DEP_1) | instskip(NEXT) | instid1(VALU_DEP_1)
	v_ldexp_f32 v23, v23, v39
	v_cndmask_b32_e32 v23, 0, v23, vcc_lo
	v_cmp_nlt_f32_e32 vcc_lo, 0x42b17218, v0
	v_cndmask_b32_e32 v0, 0x7f800000, v2, vcc_lo
	v_cmp_nlt_f32_e32 vcc_lo, 0x42b17218, v8
	v_cndmask_b32_e32 v2, 0x7f800000, v3, vcc_lo
	v_cmp_nlt_f32_e32 vcc_lo, 0x42b17218, v1
	v_cndmask_b32_e32 v1, 0x7f800000, v18, vcc_lo
	v_cmp_nlt_f32_e32 vcc_lo, 0x42b17218, v9
	v_cndmask_b32_e32 v3, 0x7f800000, v19, vcc_lo
	v_cmp_nlt_f32_e32 vcc_lo, 0x42b17218, v16
	v_cvt_f16_f32_e32 v16, v0
	s_delay_alu instid0(VALU_DEP_3) | instskip(SKIP_2) | instid1(VALU_DEP_4)
	v_pk_fma_f32 v[6:7], v[6:7], v[0:1], v[2:3]
	v_cndmask_b32_e32 v8, 0x7f800000, v20, vcc_lo
	v_cmp_nlt_f32_e32 vcc_lo, 0x42b17218, v10
	v_and_b32_e32 v16, 0xffff, v16
	s_delay_alu instid0(VALU_DEP_3)
	v_cvt_f16_f32_e32 v18, v8
	v_cndmask_b32_e32 v10, 0x7f800000, v21, vcc_lo
	v_cmp_nlt_f32_e32 vcc_lo, 0x42b17218, v17
	v_cvt_f16_f32_e32 v17, v1
	v_mul_u32_u24_e32 v3, 0x10001, v16
	v_and_b32_e32 v1, 0xffff, v18
	v_cndmask_b32_e32 v9, 0x7f800000, v22, vcc_lo
	s_delay_alu instid0(VALU_DEP_4) | instskip(SKIP_1) | instid1(VALU_DEP_4)
	v_and_b32_e32 v0, 0xffff, v17
	v_cmp_nlt_f32_e32 vcc_lo, 0x42b17218, v11
	v_mul_u32_u24_e32 v1, 0x10001, v1
	v_pk_mul_f16 v111, v111, v3
	v_cvt_f16_f32_e32 v19, v9
	v_mul_u32_u24_e32 v0, 0x10001, v0
	v_cndmask_b32_e32 v11, 0x7f800000, v23, vcc_lo
	v_pk_mul_f16 v112, v112, v3
	v_pk_mul_f16 v99, v99, v1
	v_and_b32_e32 v2, 0xffff, v19
	v_pk_mul_f16 v107, v107, v0
	v_pk_mul_f16 v110, v110, v0
	;; [unrolled: 1-line block ×3, first 2 shown]
	v_pk_fma_f32 v[4:5], v[4:5], v[8:9], v[10:11]
	v_mul_u32_u24_e32 v2, 0x10001, v2
	s_delay_alu instid0(VALU_DEP_1)
	v_pk_mul_f16 v97, v97, v2
	v_pk_mul_f16 v98, v98, v2
	v_mov_b64_e32 v[0:1], v[12:13]
	v_mov_b64_e32 v[2:3], v[14:15]
.LBB21_32:
	s_mov_b32 s3, exec_lo
	v_cmpx_gt_i32_e64 s26, v93
	s_cbranch_execz .LBB21_51
; %bb.33:
	s_load_b32 s0, s[0:1], 0xd4
	v_mov_b32_e32 v8, 1.0
	s_wait_kmcnt 0x0
	s_cmp_lg_u32 s0, 1
	s_cselect_b32 s1, -1, 0
	s_cmp_eq_u32 s0, 1
	s_cselect_b32 s3, -1, 0
	s_and_b32 vcc_lo, exec_lo, s1
	s_cbranch_vccnz .LBB21_35
; %bb.34:
	v_div_scale_f32 v8, null, v6, v6, 1.0
	s_delay_alu instid0(VALU_DEP_1) | instskip(SKIP_1) | instid1(TRANS32_DEP_1)
	v_rcp_f32_e32 v9, v8
	v_nop
	v_fma_f32 v10, -v8, v9, 1.0
	s_delay_alu instid0(VALU_DEP_1) | instskip(SKIP_1) | instid1(VALU_DEP_1)
	v_fmac_f32_e32 v9, v10, v9
	v_div_scale_f32 v10, vcc_lo, 1.0, v6, 1.0
	v_mul_f32_e32 v11, v10, v9
	s_delay_alu instid0(VALU_DEP_1) | instskip(NEXT) | instid1(VALU_DEP_1)
	v_fma_f32 v12, -v8, v11, v10
	v_fmac_f32_e32 v11, v12, v9
	s_delay_alu instid0(VALU_DEP_1) | instskip(NEXT) | instid1(VALU_DEP_1)
	v_fma_f32 v8, -v8, v11, v10
	v_div_fmas_f32 v8, v8, v9, v11
	s_delay_alu instid0(VALU_DEP_1)
	v_div_fixup_f32 v8, v8, v6, 1.0
.LBB21_35:
	v_mad_u32 v9, s28, s26, v93
	s_delay_alu instid0(VALU_DEP_1) | instskip(NEXT) | instid1(VALU_DEP_1)
	v_mad_u32 v9, v9, s27, s14
	v_mul_lo_u32 v9, s0, v9
	s_delay_alu instid0(VALU_DEP_1)
	v_add_nc_u32_e32 v10, s31, v9
	s_and_saveexec_b32 s4, s2
	s_cbranch_execz .LBB21_37
; %bb.36:
	s_delay_alu instid0(VALU_DEP_1) | instskip(SKIP_4) | instid1(VALU_DEP_4)
	v_mad_u32 v14, 0x60, v10, v81
	v_dual_lshrrev_b32 v11, 16, v111 :: v_dual_lshrrev_b32 v17, 16, v112
	v_mov_b32_e32 v15, 0
	v_cvt_f32_f16_e32 v12, v111
	v_cvt_f32_f16_e32 v16, v112
	;; [unrolled: 1-line block ×4, first 2 shown]
	s_delay_alu instid0(VALU_DEP_2) | instskip(SKIP_1) | instid1(VALU_DEP_3)
	v_pk_mul_f32 v[12:13], v[8:9], v[12:13] op_sel_hi:[0,1]
	v_lshl_add_u64 v[18:19], v[14:15], 2, s[20:21]
	v_pk_mul_f32 v[14:15], v[8:9], v[16:17] op_sel_hi:[0,1]
	global_store_b128 v[18:19], v[12:15], off
.LBB21_37:
	s_wait_xcnt 0x0
	s_or_b32 exec_lo, exec_lo, s4
	v_cmp_eq_u32_e32 vcc_lo, 0, v92
	s_and_b32 s1, vcc_lo, s1
	s_delay_alu instid0(SALU_CYCLE_1)
	s_and_saveexec_b32 s4, s1
	s_cbranch_execz .LBB21_39
; %bb.38:
	v_dual_mov_b32 v12, v0 :: v_dual_mov_b32 v13, v6
	global_store_b64 v10, v[12:13], s[22:23] scale_offset
.LBB21_39:
	s_wait_xcnt 0x0
	s_or_b32 exec_lo, exec_lo, s4
	v_cndmask_b32_e64 v8, 0, 1, s3
	v_mov_b32_e32 v0, 1.0
	s_and_not1_b32 vcc_lo, exec_lo, s3
	s_cbranch_vccz .LBB21_52
; %bb.40:
	v_add_nc_u32_e32 v9, s0, v9
	s_delay_alu instid0(VALU_DEP_1)
	v_add_nc_u32_e32 v10, s31, v9
	s_and_saveexec_b32 s3, s2
	s_cbranch_execnz .LBB21_53
.LBB21_41:
	s_or_b32 exec_lo, exec_lo, s3
	s_and_saveexec_b32 s3, s1
	s_cbranch_execz .LBB21_43
.LBB21_42:
	v_mov_b32_e32 v6, v1
	global_store_b64 v10, v[6:7], s[22:23] scale_offset
.LBB21_43:
	s_wait_xcnt 0x0
	s_or_b32 exec_lo, exec_lo, s3
	v_cmp_ne_u32_e32 vcc_lo, 1, v8
	v_mov_b32_e32 v0, 1.0
	s_cbranch_vccz .LBB21_54
; %bb.44:
	v_add_nc_u32_e32 v1, s0, v9
	s_delay_alu instid0(VALU_DEP_1)
	v_add_nc_u32_e32 v6, s31, v1
	s_and_saveexec_b32 s3, s2
	s_cbranch_execnz .LBB21_55
.LBB21_45:
	s_or_b32 exec_lo, exec_lo, s3
	s_and_saveexec_b32 s3, s1
	s_cbranch_execz .LBB21_47
.LBB21_46:
	v_dual_mov_b32 v10, v2 :: v_dual_mov_b32 v11, v4
	global_store_b64 v6, v[10:11], s[22:23] scale_offset
.LBB21_47:
	s_wait_xcnt 0x0
	s_or_b32 exec_lo, exec_lo, s3
	v_cmp_ne_u32_e32 vcc_lo, 1, v8
	v_mov_b32_e32 v0, 1.0
	s_cbranch_vccz .LBB21_56
; %bb.48:
	v_add3_u32 v1, s31, s0, v1
	s_and_saveexec_b32 s0, s2
	s_cbranch_execnz .LBB21_57
.LBB21_49:
	s_or_b32 exec_lo, exec_lo, s0
	s_delay_alu instid0(SALU_CYCLE_1)
	s_and_b32 exec_lo, exec_lo, s1
	s_cbranch_execz .LBB21_51
.LBB21_50:
	v_mov_b32_e32 v4, v3
	global_store_b64 v1, v[4:5], s[22:23] scale_offset
.LBB21_51:
	s_sendmsg sendmsg(MSG_DEALLOC_VGPRS)
	s_endpgm
.LBB21_52:
	v_div_scale_f32 v0, null, v7, v7, 1.0
	s_delay_alu instid0(VALU_DEP_1) | instskip(SKIP_1) | instid1(TRANS32_DEP_1)
	v_rcp_f32_e32 v6, v0
	v_nop
	v_fma_f32 v10, -v0, v6, 1.0
	s_delay_alu instid0(VALU_DEP_1) | instskip(SKIP_1) | instid1(VALU_DEP_1)
	v_fmac_f32_e32 v6, v10, v6
	v_div_scale_f32 v10, vcc_lo, 1.0, v7, 1.0
	v_mul_f32_e32 v11, v10, v6
	s_delay_alu instid0(VALU_DEP_1) | instskip(NEXT) | instid1(VALU_DEP_1)
	v_fma_f32 v12, -v0, v11, v10
	v_fmac_f32_e32 v11, v12, v6
	s_delay_alu instid0(VALU_DEP_1) | instskip(NEXT) | instid1(VALU_DEP_1)
	v_fma_f32 v0, -v0, v11, v10
	v_div_fmas_f32 v0, v0, v6, v11
	s_delay_alu instid0(VALU_DEP_1) | instskip(SKIP_1) | instid1(VALU_DEP_1)
	v_div_fixup_f32 v0, v0, v7, 1.0
	v_add_nc_u32_e32 v9, s0, v9
	v_add_nc_u32_e32 v10, s31, v9
	s_and_saveexec_b32 s3, s2
	s_cbranch_execz .LBB21_41
.LBB21_53:
	s_delay_alu instid0(VALU_DEP_1) | instskip(SKIP_4) | instid1(VALU_DEP_4)
	v_mad_u32 v14, 0x60, v10, v81
	v_dual_lshrrev_b32 v6, 16, v107 :: v_dual_lshrrev_b32 v11, 16, v110
	v_mov_b32_e32 v15, 0
	v_cvt_f32_f16_e32 v12, v107
	v_cvt_f32_f16_e32 v16, v110
	v_cvt_f32_f16_e32 v13, v6
	v_cvt_f32_f16_e32 v17, v11
	s_delay_alu instid0(VALU_DEP_2) | instskip(SKIP_1) | instid1(VALU_DEP_3)
	v_pk_mul_f32 v[12:13], v[0:1], v[12:13] op_sel_hi:[0,1]
	v_lshl_add_u64 v[18:19], v[14:15], 2, s[20:21]
	v_pk_mul_f32 v[14:15], v[0:1], v[16:17] op_sel_hi:[0,1]
	global_store_b128 v[18:19], v[12:15], off
	s_wait_xcnt 0x0
	s_or_b32 exec_lo, exec_lo, s3
	s_and_saveexec_b32 s3, s1
	s_cbranch_execnz .LBB21_42
	s_branch .LBB21_43
.LBB21_54:
	v_div_scale_f32 v0, null, v4, v4, 1.0
	s_delay_alu instid0(VALU_DEP_1) | instskip(SKIP_1) | instid1(TRANS32_DEP_1)
	v_rcp_f32_e32 v1, v0
	v_nop
	v_fma_f32 v6, -v0, v1, 1.0
	s_delay_alu instid0(VALU_DEP_1) | instskip(SKIP_1) | instid1(VALU_DEP_1)
	v_fmac_f32_e32 v1, v6, v1
	v_div_scale_f32 v6, vcc_lo, 1.0, v4, 1.0
	v_mul_f32_e32 v7, v6, v1
	s_delay_alu instid0(VALU_DEP_1) | instskip(NEXT) | instid1(VALU_DEP_1)
	v_fma_f32 v10, -v0, v7, v6
	v_fmac_f32_e32 v7, v10, v1
	s_delay_alu instid0(VALU_DEP_1) | instskip(NEXT) | instid1(VALU_DEP_1)
	v_fma_f32 v0, -v0, v7, v6
	v_div_fmas_f32 v0, v0, v1, v7
	s_delay_alu instid0(VALU_DEP_1) | instskip(SKIP_1) | instid1(VALU_DEP_1)
	v_div_fixup_f32 v0, v0, v4, 1.0
	v_add_nc_u32_e32 v1, s0, v9
	v_add_nc_u32_e32 v6, s31, v1
	s_and_saveexec_b32 s3, s2
	s_cbranch_execz .LBB21_45
.LBB21_55:
	s_delay_alu instid0(VALU_DEP_1) | instskip(SKIP_4) | instid1(VALU_DEP_4)
	v_mad_u32 v12, 0x60, v6, v81
	v_dual_lshrrev_b32 v7, 16, v99 :: v_dual_lshrrev_b32 v9, 16, v100
	v_mov_b32_e32 v13, 0
	v_cvt_f32_f16_e32 v10, v99
	v_cvt_f32_f16_e32 v14, v100
	;; [unrolled: 1-line block ×4, first 2 shown]
	s_delay_alu instid0(VALU_DEP_2) | instskip(SKIP_1) | instid1(VALU_DEP_3)
	v_pk_mul_f32 v[10:11], v[0:1], v[10:11] op_sel_hi:[0,1]
	v_lshl_add_u64 v[16:17], v[12:13], 2, s[20:21]
	v_pk_mul_f32 v[12:13], v[0:1], v[14:15] op_sel_hi:[0,1]
	global_store_b128 v[16:17], v[10:13], off
	s_wait_xcnt 0x0
	s_or_b32 exec_lo, exec_lo, s3
	s_and_saveexec_b32 s3, s1
	s_cbranch_execnz .LBB21_46
	s_branch .LBB21_47
.LBB21_56:
	v_div_scale_f32 v0, null, v5, v5, 1.0
	s_delay_alu instid0(VALU_DEP_1) | instskip(SKIP_1) | instid1(TRANS32_DEP_1)
	v_rcp_f32_e32 v2, v0
	v_nop
	v_fma_f32 v4, -v0, v2, 1.0
	s_delay_alu instid0(VALU_DEP_1) | instskip(SKIP_1) | instid1(VALU_DEP_1)
	v_fmac_f32_e32 v2, v4, v2
	v_div_scale_f32 v4, vcc_lo, 1.0, v5, 1.0
	v_mul_f32_e32 v6, v4, v2
	s_delay_alu instid0(VALU_DEP_1) | instskip(NEXT) | instid1(VALU_DEP_1)
	v_fma_f32 v7, -v0, v6, v4
	v_fmac_f32_e32 v6, v7, v2
	s_delay_alu instid0(VALU_DEP_1) | instskip(NEXT) | instid1(VALU_DEP_1)
	v_fma_f32 v0, -v0, v6, v4
	v_div_fmas_f32 v0, v0, v2, v6
	s_delay_alu instid0(VALU_DEP_1)
	v_div_fixup_f32 v0, v0, v5, 1.0
	v_add3_u32 v1, s31, s0, v1
	s_and_saveexec_b32 s0, s2
	s_cbranch_execz .LBB21_49
.LBB21_57:
	s_delay_alu instid0(VALU_DEP_1) | instskip(SKIP_4) | instid1(VALU_DEP_4)
	v_mad_u32 v8, 0x60, v1, v81
	v_dual_lshrrev_b32 v2, 16, v97 :: v_dual_lshrrev_b32 v4, 16, v98
	v_mov_b32_e32 v9, 0
	v_cvt_f32_f16_e32 v6, v97
	v_cvt_f32_f16_e32 v10, v98
	;; [unrolled: 1-line block ×4, first 2 shown]
	s_delay_alu instid0(VALU_DEP_2) | instskip(SKIP_1) | instid1(VALU_DEP_3)
	v_pk_mul_f32 v[6:7], v[0:1], v[6:7] op_sel_hi:[0,1]
	v_lshl_add_u64 v[12:13], v[8:9], 2, s[20:21]
	v_pk_mul_f32 v[8:9], v[0:1], v[10:11] op_sel_hi:[0,1]
	global_store_b128 v[12:13], v[6:9], off
	s_wait_xcnt 0x0
	s_or_b32 exec_lo, exec_lo, s0
	s_delay_alu instid0(SALU_CYCLE_1)
	s_and_b32 exec_lo, exec_lo, s1
	s_cbranch_execnz .LBB21_50
	s_branch .LBB21_51
	.section	.rodata,"a",@progbits
	.p2align	6, 0x0
	.amdhsa_kernel _ZL15flash_attn_tileILi96ELi96ELi8ELi4ELb0EEvPKcS1_S1_S1_S1_PKiPfP15HIP_vector_typeIfLj2EEffffjfiS5_IjLj3EEiiiiiiiiiiiliiliiiiil
		.amdhsa_group_segment_fixed_size 11904
		.amdhsa_private_segment_fixed_size 0
		.amdhsa_kernarg_size 464
		.amdhsa_user_sgpr_count 2
		.amdhsa_user_sgpr_dispatch_ptr 0
		.amdhsa_user_sgpr_queue_ptr 0
		.amdhsa_user_sgpr_kernarg_segment_ptr 1
		.amdhsa_user_sgpr_dispatch_id 0
		.amdhsa_user_sgpr_kernarg_preload_length 0
		.amdhsa_user_sgpr_kernarg_preload_offset 0
		.amdhsa_user_sgpr_private_segment_size 0
		.amdhsa_wavefront_size32 1
		.amdhsa_uses_dynamic_stack 0
		.amdhsa_enable_private_segment 0
		.amdhsa_system_sgpr_workgroup_id_x 1
		.amdhsa_system_sgpr_workgroup_id_y 1
		.amdhsa_system_sgpr_workgroup_id_z 1
		.amdhsa_system_sgpr_workgroup_info 0
		.amdhsa_system_vgpr_workitem_id 1
		.amdhsa_next_free_vgpr 161
		.amdhsa_next_free_sgpr 46
		.amdhsa_named_barrier_count 0
		.amdhsa_reserve_vcc 1
		.amdhsa_float_round_mode_32 0
		.amdhsa_float_round_mode_16_64 0
		.amdhsa_float_denorm_mode_32 3
		.amdhsa_float_denorm_mode_16_64 3
		.amdhsa_fp16_overflow 0
		.amdhsa_memory_ordered 1
		.amdhsa_forward_progress 1
		.amdhsa_inst_pref_size 94
		.amdhsa_round_robin_scheduling 0
		.amdhsa_exception_fp_ieee_invalid_op 0
		.amdhsa_exception_fp_denorm_src 0
		.amdhsa_exception_fp_ieee_div_zero 0
		.amdhsa_exception_fp_ieee_overflow 0
		.amdhsa_exception_fp_ieee_underflow 0
		.amdhsa_exception_fp_ieee_inexact 0
		.amdhsa_exception_int_div_zero 0
	.end_amdhsa_kernel
	.section	.text._ZL15flash_attn_tileILi96ELi96ELi8ELi4ELb0EEvPKcS1_S1_S1_S1_PKiPfP15HIP_vector_typeIfLj2EEffffjfiS5_IjLj3EEiiiiiiiiiiiliiliiiiil,"axG",@progbits,_ZL15flash_attn_tileILi96ELi96ELi8ELi4ELb0EEvPKcS1_S1_S1_S1_PKiPfP15HIP_vector_typeIfLj2EEffffjfiS5_IjLj3EEiiiiiiiiiiiliiliiiiil,comdat
.Lfunc_end21:
	.size	_ZL15flash_attn_tileILi96ELi96ELi8ELi4ELb0EEvPKcS1_S1_S1_S1_PKiPfP15HIP_vector_typeIfLj2EEffffjfiS5_IjLj3EEiiiiiiiiiiiliiliiiiil, .Lfunc_end21-_ZL15flash_attn_tileILi96ELi96ELi8ELi4ELb0EEvPKcS1_S1_S1_S1_PKiPfP15HIP_vector_typeIfLj2EEffffjfiS5_IjLj3EEiiiiiiiiiiiliiliiiiil
                                        ; -- End function
	.set _ZL15flash_attn_tileILi96ELi96ELi8ELi4ELb0EEvPKcS1_S1_S1_S1_PKiPfP15HIP_vector_typeIfLj2EEffffjfiS5_IjLj3EEiiiiiiiiiiiliiliiiiil.num_vgpr, 161
	.set _ZL15flash_attn_tileILi96ELi96ELi8ELi4ELb0EEvPKcS1_S1_S1_S1_PKiPfP15HIP_vector_typeIfLj2EEffffjfiS5_IjLj3EEiiiiiiiiiiiliiliiiiil.num_agpr, 0
	.set _ZL15flash_attn_tileILi96ELi96ELi8ELi4ELb0EEvPKcS1_S1_S1_S1_PKiPfP15HIP_vector_typeIfLj2EEffffjfiS5_IjLj3EEiiiiiiiiiiiliiliiiiil.numbered_sgpr, 46
	.set _ZL15flash_attn_tileILi96ELi96ELi8ELi4ELb0EEvPKcS1_S1_S1_S1_PKiPfP15HIP_vector_typeIfLj2EEffffjfiS5_IjLj3EEiiiiiiiiiiiliiliiiiil.num_named_barrier, 0
	.set _ZL15flash_attn_tileILi96ELi96ELi8ELi4ELb0EEvPKcS1_S1_S1_S1_PKiPfP15HIP_vector_typeIfLj2EEffffjfiS5_IjLj3EEiiiiiiiiiiiliiliiiiil.private_seg_size, 0
	.set _ZL15flash_attn_tileILi96ELi96ELi8ELi4ELb0EEvPKcS1_S1_S1_S1_PKiPfP15HIP_vector_typeIfLj2EEffffjfiS5_IjLj3EEiiiiiiiiiiiliiliiiiil.uses_vcc, 1
	.set _ZL15flash_attn_tileILi96ELi96ELi8ELi4ELb0EEvPKcS1_S1_S1_S1_PKiPfP15HIP_vector_typeIfLj2EEffffjfiS5_IjLj3EEiiiiiiiiiiiliiliiiiil.uses_flat_scratch, 0
	.set _ZL15flash_attn_tileILi96ELi96ELi8ELi4ELb0EEvPKcS1_S1_S1_S1_PKiPfP15HIP_vector_typeIfLj2EEffffjfiS5_IjLj3EEiiiiiiiiiiiliiliiiiil.has_dyn_sized_stack, 0
	.set _ZL15flash_attn_tileILi96ELi96ELi8ELi4ELb0EEvPKcS1_S1_S1_S1_PKiPfP15HIP_vector_typeIfLj2EEffffjfiS5_IjLj3EEiiiiiiiiiiiliiliiiiil.has_recursion, 0
	.set _ZL15flash_attn_tileILi96ELi96ELi8ELi4ELb0EEvPKcS1_S1_S1_S1_PKiPfP15HIP_vector_typeIfLj2EEffffjfiS5_IjLj3EEiiiiiiiiiiiliiliiiiil.has_indirect_call, 0
	.section	.AMDGPU.csdata,"",@progbits
; Kernel info:
; codeLenInByte = 11988
; TotalNumSgprs: 48
; NumVgprs: 161
; ScratchSize: 0
; MemoryBound: 0
; FloatMode: 240
; IeeeMode: 1
; LDSByteSize: 11904 bytes/workgroup (compile time only)
; SGPRBlocks: 0
; VGPRBlocks: 10
; NumSGPRsForWavesPerEU: 48
; NumVGPRsForWavesPerEU: 161
; NamedBarCnt: 0
; Occupancy: 5
; WaveLimiterHint : 1
; COMPUTE_PGM_RSRC2:SCRATCH_EN: 0
; COMPUTE_PGM_RSRC2:USER_SGPR: 2
; COMPUTE_PGM_RSRC2:TRAP_HANDLER: 0
; COMPUTE_PGM_RSRC2:TGID_X_EN: 1
; COMPUTE_PGM_RSRC2:TGID_Y_EN: 1
; COMPUTE_PGM_RSRC2:TGID_Z_EN: 1
; COMPUTE_PGM_RSRC2:TIDIG_COMP_CNT: 1
	.section	.text._ZL33flash_attn_stream_k_fixup_uniformILi96ELi8ELi4EEvPfPK15HIP_vector_typeIfLj2EEiiiiiiS1_IjLj3EES5_S5_,"axG",@progbits,_ZL33flash_attn_stream_k_fixup_uniformILi96ELi8ELi4EEvPfPK15HIP_vector_typeIfLj2EEiiiiiiS1_IjLj3EES5_S5_,comdat
	.globl	_ZL33flash_attn_stream_k_fixup_uniformILi96ELi8ELi4EEvPfPK15HIP_vector_typeIfLj2EEiiiiiiS1_IjLj3EES5_S5_ ; -- Begin function _ZL33flash_attn_stream_k_fixup_uniformILi96ELi8ELi4EEvPfPK15HIP_vector_typeIfLj2EEiiiiiiS1_IjLj3EES5_S5_
	.p2align	8
	.type	_ZL33flash_attn_stream_k_fixup_uniformILi96ELi8ELi4EEvPfPK15HIP_vector_typeIfLj2EEiiiiiiS1_IjLj3EES5_S5_,@function
_ZL33flash_attn_stream_k_fixup_uniformILi96ELi8ELi4EEvPfPK15HIP_vector_typeIfLj2EEiiiiiiS1_IjLj3EES5_S5_: ; @_ZL33flash_attn_stream_k_fixup_uniformILi96ELi8ELi4EEvPfPK15HIP_vector_typeIfLj2EEiiiiiiS1_IjLj3EES5_S5_
; %bb.0:
	s_load_b256 s[4:11], s[0:1], 0x1c
	s_bfe_u32 s2, ttmp6, 0x40014
	s_lshr_b32 s3, ttmp7, 16
	s_add_co_i32 s2, s2, 1
	s_bfe_u32 s13, ttmp6, 0x40010
	s_mul_i32 s2, s3, s2
	s_bfe_u32 s12, ttmp6, 0x40008
	s_and_b32 s15, ttmp7, 0xffff
	s_add_co_i32 s13, s13, 1
	s_bfe_u32 s14, ttmp6, 0x4000c
	s_add_co_i32 s2, s12, s2
	s_mul_i32 s12, s15, s13
	s_bfe_u32 s13, ttmp6, 0x40004
	s_add_co_i32 s14, s14, 1
	s_add_co_i32 s13, s13, s12
	s_and_b32 s12, ttmp6, 15
	s_mul_i32 s14, ttmp9, s14
	s_getreg_b32 s20, hwreg(HW_REG_IB_STS2, 6, 4)
	s_add_co_i32 s12, s12, s14
	s_load_b128 s[16:19], s[0:1], 0x3c
	s_cmp_eq_u32 s20, 0
	s_cselect_b32 s14, ttmp9, s12
	s_cselect_b32 s12, s15, s13
	s_wait_kmcnt 0x0
	s_mul_hi_u32 s7, s7, s14
	s_cselect_b32 s13, s3, s2
	s_add_co_i32 s2, s14, s7
	s_delay_alu instid0(SALU_CYCLE_1) | instskip(NEXT) | instid1(SALU_CYCLE_1)
	s_lshr_b32 s7, s2, s8
	s_mul_i32 s2, s7, s9
	s_delay_alu instid0(SALU_CYCLE_1) | instskip(NEXT) | instid1(SALU_CYCLE_1)
	s_sub_co_i32 s8, s14, s2
	s_mul_hi_u32 s2, s8, s10
	s_delay_alu instid0(SALU_CYCLE_1) | instskip(SKIP_2) | instid1(SALU_CYCLE_1)
	s_add_co_i32 s9, s8, s2
	s_load_b64 s[2:3], s[0:1], 0x10
	s_lshr_b32 s15, s9, s11
	s_mul_i32 s9, s15, s16
	s_delay_alu instid0(SALU_CYCLE_1) | instskip(NEXT) | instid1(SALU_CYCLE_1)
	s_sub_co_i32 s8, s8, s9
	s_mul_hi_u32 s9, s8, s17
	s_delay_alu instid0(SALU_CYCLE_1) | instskip(NEXT) | instid1(SALU_CYCLE_1)
	s_add_co_i32 s9, s8, s9
	s_lshr_b32 s9, s9, s18
	s_delay_alu instid0(SALU_CYCLE_1) | instskip(SKIP_2) | instid1(SALU_CYCLE_1)
	s_mul_i32 s10, s9, s19
	s_lshl_b32 s17, s9, 2
	s_sub_co_i32 s16, s8, s10
	s_lshl_b32 s8, s16, 3
	s_delay_alu instid0(SALU_CYCLE_1) | instskip(SKIP_4) | instid1(SALU_CYCLE_1)
	s_add_co_i32 s8, s8, s12
	s_wait_kmcnt 0x0
	s_cmp_lt_i32 s8, s2
	s_cselect_b32 s8, -1, 0
	s_add_co_i32 s17, s17, s13
	s_cmp_lt_i32 s17, s5
	s_cselect_b32 s9, -1, 0
	s_delay_alu instid0(SALU_CYCLE_1) | instskip(NEXT) | instid1(SALU_CYCLE_1)
	s_and_b32 s8, s8, s9
	s_and_not1_b32 vcc_lo, exec_lo, s8
	s_cbranch_vccnz .LBB22_6
; %bb.1:
	s_load_b128 s[8:11], s[0:1], 0x0
	s_wait_xcnt 0x0
	s_mul_i32 s0, s7, s2
	s_mul_i32 s15, s15, s5
	s_add_co_i32 s0, s0, s12
	s_add_co_i32 s1, s17, s15
	s_mul_i32 s0, s0, s3
	s_mul_i32 s2, s3, s16
	s_add_co_i32 s0, s1, s0
	s_mulk_i32 s2, 0x300
	s_mulk_i32 s0, 0x60
	s_mul_i32 s7, s6, s14
	v_add3_u32 v4, s0, s2, v0
	s_lshl_b32 s5, s12, 2
	s_add_co_i32 s15, s7, s6
	s_add_co_i32 s0, s5, s13
	s_lshl_b32 s1, s15, 5
	v_ashrrev_i32_e32 v5, 31, v4
	s_add_co_i32 s0, s0, s1
	s_add_co_i32 s2, s15, -2
	s_sub_co_i32 s0, s0, 32
	s_wait_kmcnt 0x0
	global_load_b32 v3, v4, s[8:9] scale_offset
	s_ashr_i32 s1, s0, 31
	s_delay_alu instid0(SALU_CYCLE_1)
	s_lshl_b64 s[0:1], s[0:1], 3
	s_cmp_lt_i32 s2, s7
	s_add_nc_u64 s[0:1], s[10:11], s[0:1]
	s_load_b32 s16, s[0:1], 0x4
	s_cbranch_scc1 .LBB22_4
; %bb.2:
	s_wait_xcnt 0x0
	s_load_b32 s0, s[0:1], 0x0
	s_add_co_i32 s14, s14, 1
	s_mulk_i32 s12, 0x180
	s_wait_xcnt 0x0
	s_mul_i32 s1, s6, s14
	s_lshl_b32 s2, s4, 7
	s_lshl_b32 s6, s1, 5
	s_mulk_i32 s1, 0xc00
	s_add_co_i32 s6, s13, s6
	s_mulk_i32 s13, 0x60
	s_lshl_b32 s4, s4, 5
	s_add_co_i32 s12, s13, s12
	s_ashr_i32 s3, s2, 31
	s_add_co_i32 s12, s12, s1
	s_add_co_i32 s1, s6, s4
	v_add3_u32 v0, s12, v0, 0xffffe800
	s_wait_kmcnt 0x0
	v_mov_b32_e32 v2, s16
	s_lshl_b64 s[2:3], s[2:3], 2
	s_add_co_i32 s4, s1, s5
	s_add_nc_u64 s[2:3], s[10:11], s[2:3]
	s_add_co_i32 s1, s15, -1
	s_sub_co_i32 s4, s4, 64
.LBB22_3:                               ; =>This Inner Loop Header: Depth=1
	global_load_b32 v7, v0, s[2:3] scale_offset
	s_ashr_i32 s5, s4, 31
	v_max_num_f32_e64 v1, s0, s0
	s_lshl_b64 s[12:13], s[4:5], 3
	s_delay_alu instid0(SALU_CYCLE_1) | instskip(SKIP_1) | instid1(VALU_DEP_1)
	s_add_nc_u64 s[12:13], s[10:11], s[12:13]
	s_load_b64 s[12:13], s[12:13], 0x0
	v_readfirstlane_b32 s5, v1
	v_add_nc_u32_e32 v0, 0xfffff400, v0
	s_wait_kmcnt 0x0
	v_max_num_f32_e64 v1, s12, s12
	s_delay_alu instid0(VALU_DEP_1) | instskip(SKIP_1) | instid1(SALU_CYCLE_3)
	v_readfirstlane_b32 s6, v1
	s_max_num_f32 s5, s5, s6
	s_sub_f32 s0, s0, s5
	s_sub_f32 s6, s12, s5
	s_delay_alu instid0(SALU_CYCLE_2) | instskip(NEXT) | instid1(SALU_CYCLE_2)
	s_mul_f32 s12, s0, 0x3fb8aa3b
	s_mul_f32 s14, s6, 0x3fb8aa3b
	s_delay_alu instid0(SALU_CYCLE_2)
	s_xor_b32 s15, s12, 0x80000000
	s_rndne_f32 s16, s12
	s_fmamk_f32 s15, s0, 0x3fb8aa3b, s15
	s_cmp_nlt_f32 s0, 0xc2ce8ed0
	s_rndne_f32 s17, s14
	s_sub_f32 s12, s12, s16
	s_fmamk_f32 s15, s0, 0x32a5705f, s15
	s_cselect_b32 vcc_lo, -1, 0
	s_cmp_ngt_f32 s0, 0x42b17218
	s_delay_alu instid0(SALU_CYCLE_1) | instskip(SKIP_2) | instid1(SALU_CYCLE_1)
	s_add_f32 s12, s12, s15
	s_cvt_i32_f32 s15, s16
	s_sub_f32 s16, s14, s17
	v_s_exp_f32 s12, s12
	v_nop
	s_delay_alu instid0(TRANS32_DEP_1) | instskip(SKIP_1) | instid1(VALU_DEP_1)
	v_ldexp_f32 v1, s12, s15
	s_cvt_i32_f32 s12, s17
	v_cndmask_b32_e32 v1, 0, v1, vcc_lo
	s_cselect_b32 vcc_lo, -1, 0
	s_cmp_ge_f32 s0, 0xc1a00000
	s_delay_alu instid0(VALU_DEP_1)
	v_cndmask_b32_e32 v1, 0x7f800000, v1, vcc_lo
	s_cselect_b32 vcc_lo, -1, 0
	s_xor_b32 s0, s14, 0x80000000
	s_cmp_nlt_f32 s6, 0xc2ce8ed0
	s_fmamk_f32 s0, s6, 0x3fb8aa3b, s0
	v_cndmask_b32_e32 v10, 0, v1, vcc_lo
	s_delay_alu instid0(SALU_CYCLE_2) | instskip(NEXT) | instid1(SALU_CYCLE_3)
	s_fmamk_f32 s0, s6, 0x32a5705f, s0
	s_add_f32 s0, s16, s0
	s_delay_alu instid0(SALU_CYCLE_3) | instskip(SKIP_1) | instid1(TRANS32_DEP_1)
	v_s_exp_f32 s0, s0
	v_nop
	v_ldexp_f32 v6, s0, s12
	s_cselect_b32 s0, -1, 0
	s_cmp_ngt_f32 s6, 0x42b17218
	s_delay_alu instid0(VALU_DEP_1) | instskip(SKIP_2) | instid1(VALU_DEP_1)
	v_cndmask_b32_e64 v6, 0, v6, s0
	s_cselect_b32 s0, -1, 0
	s_cmp_ge_f32 s6, 0xc1a00000
	v_cndmask_b32_e64 v8, 0x7f800000, v6, s0
	s_cselect_b32 s0, -1, 0
	v_mov_b32_e32 v6, s13
	s_add_co_i32 s1, s1, -1
	s_sub_co_i32 s4, s4, 32
	v_cndmask_b32_e64 v8, 0, v8, s0
	s_cmp_le_i32 s1, s7
	s_mov_b32 s0, s5
	s_wait_loadcnt 0x0
	s_delay_alu instid0(VALU_DEP_1) | instskip(NEXT) | instid1(VALU_DEP_1)
	v_pk_mul_f32 v[6:7], v[6:7], v[8:9] op_sel_hi:[1,0]
	v_pk_fma_f32 v[2:3], v[2:3], v[10:11], v[6:7] op_sel_hi:[1,0,1]
	s_cbranch_scc0 .LBB22_3
	s_branch .LBB22_5
.LBB22_4:
	s_wait_kmcnt 0x0
	v_mov_b32_e32 v2, s16
.LBB22_5:
	v_lshl_add_u64 v[0:1], v[4:5], 2, s[8:9]
	s_wait_loadcnt 0x0
	s_delay_alu instid0(VALU_DEP_2) | instskip(NEXT) | instid1(VALU_DEP_1)
	v_div_scale_f32 v4, null, v2, v2, v3
	v_rcp_f32_e32 v5, v4
	v_nop
	s_delay_alu instid0(TRANS32_DEP_1) | instskip(NEXT) | instid1(VALU_DEP_1)
	v_fma_f32 v6, -v4, v5, 1.0
	v_fmac_f32_e32 v5, v6, v5
	v_div_scale_f32 v6, vcc_lo, v3, v2, v3
	s_delay_alu instid0(VALU_DEP_1) | instskip(NEXT) | instid1(VALU_DEP_1)
	v_mul_f32_e32 v7, v6, v5
	v_fma_f32 v8, -v4, v7, v6
	s_delay_alu instid0(VALU_DEP_1) | instskip(NEXT) | instid1(VALU_DEP_1)
	v_fmac_f32_e32 v7, v8, v5
	v_fma_f32 v4, -v4, v7, v6
	s_delay_alu instid0(VALU_DEP_1) | instskip(NEXT) | instid1(VALU_DEP_1)
	v_div_fmas_f32 v4, v4, v5, v7
	v_div_fixup_f32 v2, v4, v2, v3
	global_store_b32 v[0:1], v2, off
.LBB22_6:
	s_endpgm
	.section	.rodata,"a",@progbits
	.p2align	6, 0x0
	.amdhsa_kernel _ZL33flash_attn_stream_k_fixup_uniformILi96ELi8ELi4EEvPfPK15HIP_vector_typeIfLj2EEiiiiiiS1_IjLj3EES5_S5_
		.amdhsa_group_segment_fixed_size 0
		.amdhsa_private_segment_fixed_size 0
		.amdhsa_kernarg_size 76
		.amdhsa_user_sgpr_count 2
		.amdhsa_user_sgpr_dispatch_ptr 0
		.amdhsa_user_sgpr_queue_ptr 0
		.amdhsa_user_sgpr_kernarg_segment_ptr 1
		.amdhsa_user_sgpr_dispatch_id 0
		.amdhsa_user_sgpr_kernarg_preload_length 0
		.amdhsa_user_sgpr_kernarg_preload_offset 0
		.amdhsa_user_sgpr_private_segment_size 0
		.amdhsa_wavefront_size32 1
		.amdhsa_uses_dynamic_stack 0
		.amdhsa_enable_private_segment 0
		.amdhsa_system_sgpr_workgroup_id_x 1
		.amdhsa_system_sgpr_workgroup_id_y 1
		.amdhsa_system_sgpr_workgroup_id_z 1
		.amdhsa_system_sgpr_workgroup_info 0
		.amdhsa_system_vgpr_workitem_id 0
		.amdhsa_next_free_vgpr 12
		.amdhsa_next_free_sgpr 21
		.amdhsa_named_barrier_count 0
		.amdhsa_reserve_vcc 1
		.amdhsa_float_round_mode_32 0
		.amdhsa_float_round_mode_16_64 0
		.amdhsa_float_denorm_mode_32 3
		.amdhsa_float_denorm_mode_16_64 3
		.amdhsa_fp16_overflow 0
		.amdhsa_memory_ordered 1
		.amdhsa_forward_progress 1
		.amdhsa_inst_pref_size 9
		.amdhsa_round_robin_scheduling 0
		.amdhsa_exception_fp_ieee_invalid_op 0
		.amdhsa_exception_fp_denorm_src 0
		.amdhsa_exception_fp_ieee_div_zero 0
		.amdhsa_exception_fp_ieee_overflow 0
		.amdhsa_exception_fp_ieee_underflow 0
		.amdhsa_exception_fp_ieee_inexact 0
		.amdhsa_exception_int_div_zero 0
	.end_amdhsa_kernel
	.section	.text._ZL33flash_attn_stream_k_fixup_uniformILi96ELi8ELi4EEvPfPK15HIP_vector_typeIfLj2EEiiiiiiS1_IjLj3EES5_S5_,"axG",@progbits,_ZL33flash_attn_stream_k_fixup_uniformILi96ELi8ELi4EEvPfPK15HIP_vector_typeIfLj2EEiiiiiiS1_IjLj3EES5_S5_,comdat
.Lfunc_end22:
	.size	_ZL33flash_attn_stream_k_fixup_uniformILi96ELi8ELi4EEvPfPK15HIP_vector_typeIfLj2EEiiiiiiS1_IjLj3EES5_S5_, .Lfunc_end22-_ZL33flash_attn_stream_k_fixup_uniformILi96ELi8ELi4EEvPfPK15HIP_vector_typeIfLj2EEiiiiiiS1_IjLj3EES5_S5_
                                        ; -- End function
	.set _ZL33flash_attn_stream_k_fixup_uniformILi96ELi8ELi4EEvPfPK15HIP_vector_typeIfLj2EEiiiiiiS1_IjLj3EES5_S5_.num_vgpr, 12
	.set _ZL33flash_attn_stream_k_fixup_uniformILi96ELi8ELi4EEvPfPK15HIP_vector_typeIfLj2EEiiiiiiS1_IjLj3EES5_S5_.num_agpr, 0
	.set _ZL33flash_attn_stream_k_fixup_uniformILi96ELi8ELi4EEvPfPK15HIP_vector_typeIfLj2EEiiiiiiS1_IjLj3EES5_S5_.numbered_sgpr, 21
	.set _ZL33flash_attn_stream_k_fixup_uniformILi96ELi8ELi4EEvPfPK15HIP_vector_typeIfLj2EEiiiiiiS1_IjLj3EES5_S5_.num_named_barrier, 0
	.set _ZL33flash_attn_stream_k_fixup_uniformILi96ELi8ELi4EEvPfPK15HIP_vector_typeIfLj2EEiiiiiiS1_IjLj3EES5_S5_.private_seg_size, 0
	.set _ZL33flash_attn_stream_k_fixup_uniformILi96ELi8ELi4EEvPfPK15HIP_vector_typeIfLj2EEiiiiiiS1_IjLj3EES5_S5_.uses_vcc, 1
	.set _ZL33flash_attn_stream_k_fixup_uniformILi96ELi8ELi4EEvPfPK15HIP_vector_typeIfLj2EEiiiiiiS1_IjLj3EES5_S5_.uses_flat_scratch, 0
	.set _ZL33flash_attn_stream_k_fixup_uniformILi96ELi8ELi4EEvPfPK15HIP_vector_typeIfLj2EEiiiiiiS1_IjLj3EES5_S5_.has_dyn_sized_stack, 0
	.set _ZL33flash_attn_stream_k_fixup_uniformILi96ELi8ELi4EEvPfPK15HIP_vector_typeIfLj2EEiiiiiiS1_IjLj3EES5_S5_.has_recursion, 0
	.set _ZL33flash_attn_stream_k_fixup_uniformILi96ELi8ELi4EEvPfPK15HIP_vector_typeIfLj2EEiiiiiiS1_IjLj3EES5_S5_.has_indirect_call, 0
	.section	.AMDGPU.csdata,"",@progbits
; Kernel info:
; codeLenInByte = 1084
; TotalNumSgprs: 23
; NumVgprs: 12
; ScratchSize: 0
; MemoryBound: 0
; FloatMode: 240
; IeeeMode: 1
; LDSByteSize: 0 bytes/workgroup (compile time only)
; SGPRBlocks: 0
; VGPRBlocks: 0
; NumSGPRsForWavesPerEU: 23
; NumVGPRsForWavesPerEU: 12
; NamedBarCnt: 0
; Occupancy: 16
; WaveLimiterHint : 0
; COMPUTE_PGM_RSRC2:SCRATCH_EN: 0
; COMPUTE_PGM_RSRC2:USER_SGPR: 2
; COMPUTE_PGM_RSRC2:TRAP_HANDLER: 0
; COMPUTE_PGM_RSRC2:TGID_X_EN: 1
; COMPUTE_PGM_RSRC2:TGID_Y_EN: 1
; COMPUTE_PGM_RSRC2:TGID_Z_EN: 1
; COMPUTE_PGM_RSRC2:TIDIG_COMP_CNT: 0
	.section	.text._ZL33flash_attn_stream_k_fixup_generalILi96ELi8ELi4EEvPfPK15HIP_vector_typeIfLj2EEiiiiS1_IjLj3EES5_S5_S5_,"axG",@progbits,_ZL33flash_attn_stream_k_fixup_generalILi96ELi8ELi4EEvPfPK15HIP_vector_typeIfLj2EEiiiiS1_IjLj3EES5_S5_S5_,comdat
	.globl	_ZL33flash_attn_stream_k_fixup_generalILi96ELi8ELi4EEvPfPK15HIP_vector_typeIfLj2EEiiiiS1_IjLj3EES5_S5_S5_ ; -- Begin function _ZL33flash_attn_stream_k_fixup_generalILi96ELi8ELi4EEvPfPK15HIP_vector_typeIfLj2EEiiiiS1_IjLj3EES5_S5_S5_
	.p2align	8
	.type	_ZL33flash_attn_stream_k_fixup_generalILi96ELi8ELi4EEvPfPK15HIP_vector_typeIfLj2EEiiiiS1_IjLj3EES5_S5_S5_,@function
_ZL33flash_attn_stream_k_fixup_generalILi96ELi8ELi4EEvPfPK15HIP_vector_typeIfLj2EEiiiiS1_IjLj3EES5_S5_S5_: ; @_ZL33flash_attn_stream_k_fixup_generalILi96ELi8ELi4EEvPfPK15HIP_vector_typeIfLj2EEiiiiS1_IjLj3EES5_S5_S5_
; %bb.0:
	s_clause 0x1
	s_load_b128 s[4:7], s[0:1], 0x10
	s_load_b32 s16, s[0:1], 0x50
	s_bfe_u32 s2, ttmp6, 0x4000c
	s_and_b32 s3, ttmp6, 15
	s_add_co_i32 s2, s2, 1
	s_getreg_b32 s15, hwreg(HW_REG_IB_STS2, 6, 4)
	s_mul_i32 s2, ttmp9, s2
	s_mov_b32 s17, 0
	s_add_co_i32 s3, s3, s2
	s_cmp_eq_u32 s15, 0
	s_cselect_b32 s2, ttmp9, s3
	s_delay_alu instid0(SALU_CYCLE_1) | instskip(SKIP_3) | instid1(SALU_CYCLE_1)
	s_ashr_i32 s3, s2, 31
	s_wait_kmcnt 0x0
	s_ashr_i32 s19, s7, 31
	s_mov_b32 s18, s7
	s_mul_u64 s[8:9], s[18:19], s[2:3]
	s_delay_alu instid0(SALU_CYCLE_1) | instskip(NEXT) | instid1(SALU_CYCLE_1)
	s_and_b64 s[10:11], s[8:9], 0xffffffff00000000
	s_cmp_lg_u64 s[10:11], 0
	s_cbranch_scc0 .LBB23_21
; %bb.1:
	s_add_nc_u64 s[10:11], s[16:17], 0
	s_mov_b32 s23, s17
	s_xor_b64 s[10:11], s[10:11], 0
	s_mov_b32 s27, s17
	s_cvt_f32_u32 s3, s10
	s_cvt_f32_u32 s7, s11
	s_sub_nc_u64 s[20:21], 0, s[10:11]
	s_delay_alu instid0(SALU_CYCLE_2) | instskip(NEXT) | instid1(SALU_CYCLE_3)
	s_fmamk_f32 s3, s7, 0x4f800000, s3
	v_s_rcp_f32 s3, s3
	s_delay_alu instid0(TRANS32_DEP_1) | instskip(NEXT) | instid1(SALU_CYCLE_3)
	s_mul_f32 s3, s3, 0x5f7ffffc
	s_mul_f32 s7, s3, 0x2f800000
	s_delay_alu instid0(SALU_CYCLE_3) | instskip(NEXT) | instid1(SALU_CYCLE_3)
	s_trunc_f32 s7, s7
	s_fmamk_f32 s3, s7, 0xcf800000, s3
	s_cvt_u32_f32 s13, s7
	s_delay_alu instid0(SALU_CYCLE_2) | instskip(NEXT) | instid1(SALU_CYCLE_3)
	s_cvt_u32_f32 s12, s3
	s_mul_u64 s[24:25], s[20:21], s[12:13]
	s_delay_alu instid0(SALU_CYCLE_1)
	s_mul_hi_u32 s29, s12, s25
	s_mul_i32 s28, s12, s25
	s_mul_hi_u32 s22, s12, s24
	s_mul_i32 s7, s13, s24
	s_add_nc_u64 s[22:23], s[22:23], s[28:29]
	s_mul_hi_u32 s3, s13, s24
	s_mul_hi_u32 s14, s13, s25
	s_add_co_u32 s7, s22, s7
	s_add_co_ci_u32 s26, s23, s3
	s_mul_i32 s24, s13, s25
	s_add_co_ci_u32 s25, s14, 0
	s_delay_alu instid0(SALU_CYCLE_1) | instskip(SKIP_3) | instid1(SALU_CYCLE_1)
	s_add_nc_u64 s[22:23], s[26:27], s[24:25]
	s_mov_b32 s25, s17
	s_add_co_u32 s12, s12, s22
	s_cselect_b32 s3, -1, 0
	s_cmp_lg_u32 s3, 0
	s_add_co_ci_u32 s13, s13, s23
	s_mov_b32 s23, s17
	s_mul_u64 s[20:21], s[20:21], s[12:13]
	s_delay_alu instid0(SALU_CYCLE_1)
	s_mul_hi_u32 s27, s12, s21
	s_mul_i32 s26, s12, s21
	s_mul_hi_u32 s22, s12, s20
	s_mul_i32 s7, s13, s20
	s_add_nc_u64 s[22:23], s[22:23], s[26:27]
	s_mul_hi_u32 s3, s13, s20
	s_mul_hi_u32 s14, s13, s21
	s_add_co_u32 s7, s22, s7
	s_add_co_ci_u32 s24, s23, s3
	s_mul_i32 s20, s13, s21
	s_add_co_ci_u32 s21, s14, 0
	s_mov_b32 s23, s17
	s_add_nc_u64 s[20:21], s[24:25], s[20:21]
	s_delay_alu instid0(SALU_CYCLE_1) | instskip(SKIP_1) | instid1(SALU_CYCLE_1)
	s_add_co_u32 s3, s12, s20
	s_cselect_b32 s7, -1, 0
	s_cmp_lg_u32 s7, 0
	s_add_co_ci_u32 s7, s13, s21
	s_ashr_i32 s12, s9, 31
	s_delay_alu instid0(SALU_CYCLE_1) | instskip(NEXT) | instid1(SALU_CYCLE_1)
	s_mov_b32 s13, s12
	s_add_nc_u64 s[20:21], s[8:9], s[12:13]
	s_delay_alu instid0(SALU_CYCLE_1) | instskip(NEXT) | instid1(SALU_CYCLE_1)
	s_xor_b64 s[20:21], s[20:21], s[12:13]
	s_mul_hi_u32 s27, s20, s7
	s_mul_i32 s26, s20, s7
	s_mul_hi_u32 s22, s20, s3
	s_mul_hi_u32 s14, s21, s3
	s_mul_i32 s3, s21, s3
	s_add_nc_u64 s[22:23], s[22:23], s[26:27]
	s_mul_hi_u32 s9, s21, s7
	s_add_co_u32 s3, s22, s3
	s_add_co_ci_u32 s24, s23, s14
	s_mul_i32 s26, s21, s7
	s_add_co_ci_u32 s27, s9, 0
	s_delay_alu instid0(SALU_CYCLE_1) | instskip(NEXT) | instid1(SALU_CYCLE_1)
	s_add_nc_u64 s[22:23], s[24:25], s[26:27]
	s_and_b64 s[24:25], s[22:23], 0xffffffff00000000
	s_delay_alu instid0(SALU_CYCLE_1) | instskip(NEXT) | instid1(SALU_CYCLE_1)
	s_or_b32 s24, s24, s22
	s_mul_u64 s[22:23], s[10:11], s[24:25]
	s_add_nc_u64 s[26:27], s[24:25], 1
	s_sub_co_u32 s3, s20, s22
	s_cselect_b32 s7, -1, 0
	s_sub_co_i32 s9, s21, s23
	s_cmp_lg_u32 s7, 0
	s_add_nc_u64 s[28:29], s[24:25], 2
	s_sub_co_ci_u32 s9, s9, s11
	s_sub_co_u32 s14, s3, s10
	s_cselect_b32 s20, -1, 0
	s_delay_alu instid0(SALU_CYCLE_1) | instskip(SKIP_1) | instid1(SALU_CYCLE_1)
	s_cmp_lg_u32 s20, 0
	s_sub_co_ci_u32 s9, s9, 0
	s_cmp_ge_u32 s9, s11
	s_cselect_b32 s20, -1, 0
	s_cmp_ge_u32 s14, s10
	s_cselect_b32 s14, -1, 0
	s_cmp_eq_u32 s9, s11
	s_cselect_b32 s9, s14, s20
	s_delay_alu instid0(SALU_CYCLE_1) | instskip(SKIP_4) | instid1(SALU_CYCLE_1)
	s_cmp_lg_u32 s9, 0
	s_cselect_b32 s9, s28, s26
	s_cselect_b32 s14, s29, s27
	s_cmp_lg_u32 s7, 0
	s_sub_co_ci_u32 s7, s21, s23
	s_cmp_ge_u32 s7, s11
	s_cselect_b32 s20, -1, 0
	s_cmp_ge_u32 s3, s10
	s_cselect_b32 s3, -1, 0
	s_cmp_eq_u32 s7, s11
	s_cselect_b32 s3, s3, s20
	s_delay_alu instid0(SALU_CYCLE_1) | instskip(SKIP_4) | instid1(SALU_CYCLE_1)
	s_cmp_lg_u32 s3, 0
	s_mov_b32 s3, s17
	s_cselect_b32 s11, s14, s25
	s_cselect_b32 s10, s9, s24
	s_xor_b64 s[12:13], s[12:13], 0
	s_xor_b64 s[10:11], s[10:11], s[12:13]
	s_delay_alu instid0(SALU_CYCLE_1)
	s_sub_nc_u64 s[20:21], s[10:11], s[12:13]
	s_and_not1_b32 vcc_lo, exec_lo, s3
	s_cbranch_vccnz .LBB23_3
.LBB23_2:
	v_cvt_f32_u32_e32 v1, s16
	s_sub_co_i32 s7, 0, s16
	s_mov_b32 s21, 0
	s_delay_alu instid0(VALU_DEP_1) | instskip(SKIP_1) | instid1(TRANS32_DEP_1)
	v_rcp_iflag_f32_e32 v1, v1
	v_nop
	v_mul_f32_e32 v1, 0x4f7ffffe, v1
	s_delay_alu instid0(VALU_DEP_1) | instskip(NEXT) | instid1(VALU_DEP_1)
	v_cvt_u32_f32_e32 v1, v1
	v_readfirstlane_b32 s3, v1
	s_mul_i32 s7, s7, s3
	s_delay_alu instid0(SALU_CYCLE_1) | instskip(NEXT) | instid1(SALU_CYCLE_1)
	s_mul_hi_u32 s7, s3, s7
	s_add_co_i32 s3, s3, s7
	s_delay_alu instid0(SALU_CYCLE_1) | instskip(NEXT) | instid1(SALU_CYCLE_1)
	s_mul_hi_u32 s3, s8, s3
	s_mul_i32 s7, s3, s16
	s_delay_alu instid0(SALU_CYCLE_1)
	s_sub_co_i32 s7, s8, s7
	s_add_co_i32 s8, s3, 1
	s_sub_co_i32 s9, s7, s16
	s_cmp_ge_u32 s7, s16
	s_cselect_b32 s3, s8, s3
	s_cselect_b32 s7, s9, s7
	s_add_co_i32 s8, s3, 1
	s_cmp_ge_u32 s7, s16
	s_cselect_b32 s20, s8, s3
.LBB23_3:
	s_add_co_i32 s8, s2, 1
	s_delay_alu instid0(SALU_CYCLE_1) | instskip(NEXT) | instid1(SALU_CYCLE_1)
	s_ashr_i32 s9, s8, 31
	s_mul_u64 s[8:9], s[18:19], s[8:9]
	s_delay_alu instid0(SALU_CYCLE_1) | instskip(NEXT) | instid1(SALU_CYCLE_1)
	s_and_b64 s[10:11], s[8:9], 0xffffffff00000000
	s_cmp_lg_u64 s[10:11], 0
	s_cbranch_scc0 .LBB23_22
; %bb.4:
	s_add_nc_u64 s[10:11], s[16:17], 0
	s_delay_alu instid0(SALU_CYCLE_1) | instskip(SKIP_4) | instid1(SALU_CYCLE_2)
	s_xor_b64 s[12:13], s[10:11], 0
	s_mov_b32 s11, 0
	s_cvt_f32_u32 s3, s12
	s_cvt_f32_u32 s7, s13
	s_sub_nc_u64 s[24:25], 0, s[12:13]
	s_fmamk_f32 s3, s7, 0x4f800000, s3
	s_delay_alu instid0(SALU_CYCLE_3) | instskip(NEXT) | instid1(TRANS32_DEP_1)
	v_s_rcp_f32 s3, s3
	s_mul_f32 s3, s3, 0x5f7ffffc
	s_delay_alu instid0(SALU_CYCLE_3) | instskip(NEXT) | instid1(SALU_CYCLE_3)
	s_mul_f32 s7, s3, 0x2f800000
	s_trunc_f32 s7, s7
	s_delay_alu instid0(SALU_CYCLE_3) | instskip(SKIP_1) | instid1(SALU_CYCLE_2)
	s_fmamk_f32 s3, s7, 0xcf800000, s3
	s_cvt_u32_f32 s23, s7
	s_cvt_u32_f32 s22, s3
	s_delay_alu instid0(SALU_CYCLE_3) | instskip(NEXT) | instid1(SALU_CYCLE_1)
	s_mul_u64 s[26:27], s[24:25], s[22:23]
	s_mul_hi_u32 s29, s22, s27
	s_mul_i32 s28, s22, s27
	s_mul_hi_u32 s10, s22, s26
	s_mul_i32 s7, s23, s26
	s_add_nc_u64 s[28:29], s[10:11], s[28:29]
	s_mul_hi_u32 s3, s23, s26
	s_mul_hi_u32 s14, s23, s27
	s_add_co_u32 s7, s28, s7
	s_add_co_ci_u32 s10, s29, s3
	s_mul_i32 s26, s23, s27
	s_add_co_ci_u32 s27, s14, 0
	s_delay_alu instid0(SALU_CYCLE_1) | instskip(NEXT) | instid1(SALU_CYCLE_1)
	s_add_nc_u64 s[26:27], s[10:11], s[26:27]
	s_add_co_u32 s22, s22, s26
	s_cselect_b32 s3, -1, 0
	s_delay_alu instid0(SALU_CYCLE_1) | instskip(SKIP_1) | instid1(SALU_CYCLE_1)
	s_cmp_lg_u32 s3, 0
	s_add_co_ci_u32 s23, s23, s27
	s_mul_u64 s[24:25], s[24:25], s[22:23]
	s_delay_alu instid0(SALU_CYCLE_1)
	s_mul_hi_u32 s27, s22, s25
	s_mul_i32 s26, s22, s25
	s_mul_hi_u32 s10, s22, s24
	s_mul_i32 s7, s23, s24
	s_add_nc_u64 s[26:27], s[10:11], s[26:27]
	s_mul_hi_u32 s3, s23, s24
	s_mul_hi_u32 s14, s23, s25
	s_add_co_u32 s7, s26, s7
	s_add_co_ci_u32 s10, s27, s3
	s_mul_i32 s24, s23, s25
	s_add_co_ci_u32 s25, s14, 0
	s_delay_alu instid0(SALU_CYCLE_1) | instskip(NEXT) | instid1(SALU_CYCLE_1)
	s_add_nc_u64 s[24:25], s[10:11], s[24:25]
	s_add_co_u32 s3, s22, s24
	s_cselect_b32 s7, -1, 0
	s_delay_alu instid0(SALU_CYCLE_1) | instskip(SKIP_2) | instid1(SALU_CYCLE_1)
	s_cmp_lg_u32 s7, 0
	s_add_co_ci_u32 s7, s23, s25
	s_ashr_i32 s22, s9, 31
	s_mov_b32 s23, s22
	s_delay_alu instid0(SALU_CYCLE_1) | instskip(NEXT) | instid1(SALU_CYCLE_1)
	s_add_nc_u64 s[24:25], s[8:9], s[22:23]
	s_xor_b64 s[24:25], s[24:25], s[22:23]
	s_delay_alu instid0(SALU_CYCLE_1)
	s_mul_hi_u32 s27, s24, s7
	s_mul_i32 s26, s24, s7
	s_mul_hi_u32 s10, s24, s3
	s_mul_hi_u32 s14, s25, s3
	s_mul_i32 s3, s25, s3
	s_add_nc_u64 s[26:27], s[10:11], s[26:27]
	s_mul_hi_u32 s9, s25, s7
	s_add_co_u32 s3, s26, s3
	s_add_co_ci_u32 s10, s27, s14
	s_mul_i32 s28, s25, s7
	s_add_co_ci_u32 s29, s9, 0
	s_delay_alu instid0(SALU_CYCLE_1) | instskip(NEXT) | instid1(SALU_CYCLE_1)
	s_add_nc_u64 s[26:27], s[10:11], s[28:29]
	s_and_b64 s[28:29], s[26:27], 0xffffffff00000000
	s_delay_alu instid0(SALU_CYCLE_1) | instskip(NEXT) | instid1(SALU_CYCLE_1)
	s_or_b32 s28, s28, s26
	s_mul_u64 s[26:27], s[12:13], s[28:29]
	s_add_nc_u64 s[30:31], s[28:29], 1
	s_sub_co_u32 s3, s24, s26
	s_cselect_b32 s7, -1, 0
	s_sub_co_i32 s9, s25, s27
	s_cmp_lg_u32 s7, 0
	s_add_nc_u64 s[34:35], s[28:29], 2
	s_sub_co_ci_u32 s9, s9, s13
	s_sub_co_u32 s10, s3, s12
	s_cselect_b32 s14, -1, 0
	s_delay_alu instid0(SALU_CYCLE_1) | instskip(SKIP_1) | instid1(SALU_CYCLE_1)
	s_cmp_lg_u32 s14, 0
	s_sub_co_ci_u32 s9, s9, 0
	s_cmp_ge_u32 s9, s13
	s_cselect_b32 s14, -1, 0
	s_cmp_ge_u32 s10, s12
	s_cselect_b32 s10, -1, 0
	s_cmp_eq_u32 s9, s13
	s_cselect_b32 s9, s10, s14
	s_delay_alu instid0(SALU_CYCLE_1) | instskip(SKIP_4) | instid1(SALU_CYCLE_1)
	s_cmp_lg_u32 s9, 0
	s_cselect_b32 s9, s34, s30
	s_cselect_b32 s10, s35, s31
	s_cmp_lg_u32 s7, 0
	s_sub_co_ci_u32 s7, s25, s27
	s_cmp_ge_u32 s7, s13
	s_cselect_b32 s14, -1, 0
	s_cmp_ge_u32 s3, s12
	s_cselect_b32 s3, -1, 0
	s_cmp_eq_u32 s7, s13
	s_cselect_b32 s3, s3, s14
	s_delay_alu instid0(SALU_CYCLE_1) | instskip(SKIP_3) | instid1(SALU_CYCLE_1)
	s_cmp_lg_u32 s3, 0
	s_cselect_b32 s13, s10, s29
	s_cselect_b32 s12, s9, s28
	s_xor_b64 s[22:23], s[22:23], 0
	s_xor_b64 s[12:13], s[12:13], s[22:23]
	s_delay_alu instid0(SALU_CYCLE_1)
	s_sub_nc_u64 s[24:25], s[12:13], s[22:23]
	s_load_b96 s[12:14], s[0:1], 0x44
	s_cbranch_execnz .LBB23_6
.LBB23_5:
	v_cvt_f32_u32_e32 v1, s16
	s_sub_co_i32 s7, 0, s16
	s_delay_alu instid0(VALU_DEP_1) | instskip(SKIP_1) | instid1(TRANS32_DEP_1)
	v_rcp_iflag_f32_e32 v1, v1
	v_nop
	v_mul_f32_e32 v1, 0x4f7ffffe, v1
	s_delay_alu instid0(VALU_DEP_1) | instskip(NEXT) | instid1(VALU_DEP_1)
	v_cvt_u32_f32_e32 v1, v1
	v_readfirstlane_b32 s3, v1
	s_mul_i32 s7, s7, s3
	s_delay_alu instid0(SALU_CYCLE_1) | instskip(NEXT) | instid1(SALU_CYCLE_1)
	s_mul_hi_u32 s7, s3, s7
	s_add_co_i32 s3, s3, s7
	s_delay_alu instid0(SALU_CYCLE_1) | instskip(NEXT) | instid1(SALU_CYCLE_1)
	s_mul_hi_u32 s3, s8, s3
	s_mul_i32 s7, s3, s16
	s_delay_alu instid0(SALU_CYCLE_1)
	s_sub_co_i32 s7, s8, s7
	s_add_co_i32 s8, s3, 1
	s_sub_co_i32 s9, s7, s16
	s_cmp_ge_u32 s7, s16
	s_cselect_b32 s3, s8, s3
	s_cselect_b32 s7, s9, s7
	s_add_co_i32 s8, s3, 1
	s_cmp_ge_u32 s7, s16
	s_cselect_b32 s24, s8, s3
.LBB23_6:
	s_delay_alu instid0(SALU_CYCLE_1)
	s_cmp_eq_u32 s20, s24
	s_mov_b64 s[8:9], 0xffffffff
	s_cselect_b32 s3, -1, 0
	s_and_b64 s[8:9], s[20:21], s[8:9]
	s_mov_b32 s23, 0
	s_wait_kmcnt 0x0
	s_mov_b32 s22, s12
	s_mov_b32 s25, s23
	s_mul_u64 s[10:11], s[8:9], s[22:23]
	s_delay_alu instid0(SALU_CYCLE_1) | instskip(SKIP_2) | instid1(SALU_CYCLE_1)
	s_add_co_i32 s7, s11, s20
	s_mul_u64 s[10:11], s[24:25], s[22:23]
	s_lshr_b32 s12, s7, s13
	s_mul_i32 s7, s12, s14
	s_delay_alu instid0(SALU_CYCLE_1) | instskip(SKIP_2) | instid1(SALU_CYCLE_1)
	s_cmp_eq_u32 s7, s20
	s_cselect_b32 s7, -1, 0
	s_add_co_i32 s10, s11, s24
	s_lshr_b32 s10, s10, s13
	s_delay_alu instid0(SALU_CYCLE_1)
	s_cmp_eq_u32 s12, s10
	s_mul_i32 s10, s10, s14
	s_cselect_b32 s11, -1, 0
	s_cmp_lg_u32 s10, s24
	s_cselect_b32 s10, -1, 0
	s_or_b32 s3, s3, s7
	s_and_b32 s10, s11, s10
	s_delay_alu instid0(SALU_CYCLE_1) | instskip(NEXT) | instid1(SALU_CYCLE_1)
	s_or_b32 s3, s3, s10
	s_and_b32 vcc_lo, exec_lo, s3
	s_cbranch_vccnz .LBB23_24
; %bb.7:
	s_load_b256 s[24:31], s[0:1], 0x20
	s_bfe_u32 s7, ttmp6, 0x40014
	s_bfe_u32 s33, ttmp6, 0x40010
	s_lshr_b32 s3, ttmp7, 16
	s_add_co_i32 s7, s7, 1
	s_and_b32 s21, ttmp7, 0xffff
	s_add_co_i32 s33, s33, 1
	s_bfe_u32 s10, ttmp6, 0x40008
	s_mul_i32 s7, s3, s7
	s_bfe_u32 s34, ttmp6, 0x40004
	s_mul_i32 s33, s21, s33
	s_mov_b32 s11, s23
	s_add_co_i32 s35, s10, s7
	s_add_co_i32 s34, s34, s33
	s_cmp_eq_u32 s15, 0
	s_cselect_b32 s7, s21, s34
	s_cselect_b32 s3, s3, s35
	s_wait_kmcnt 0x0
	s_mov_b32 s10, s24
	s_delay_alu instid0(SALU_CYCLE_1) | instskip(NEXT) | instid1(SALU_CYCLE_1)
	s_mul_u64 s[8:9], s[8:9], s[10:11]
	s_add_co_i32 s8, s9, s20
	s_delay_alu instid0(SALU_CYCLE_1) | instskip(SKIP_2) | instid1(SALU_CYCLE_1)
	s_lshr_b32 s15, s8, s25
	s_load_b32 s8, s[0:1], 0x40
	s_mul_i32 s9, s15, s26
	s_sub_co_i32 s9, s20, s9
	s_delay_alu instid0(SALU_CYCLE_1) | instskip(NEXT) | instid1(SALU_CYCLE_1)
	s_mul_hi_u32 s10, s9, s27
	s_add_co_i32 s10, s9, s10
	s_delay_alu instid0(SALU_CYCLE_1) | instskip(NEXT) | instid1(SALU_CYCLE_1)
	s_lshr_b32 s21, s10, s28
	s_mul_i32 s10, s21, s29
	s_delay_alu instid0(SALU_CYCLE_1) | instskip(NEXT) | instid1(SALU_CYCLE_1)
	s_sub_co_i32 s10, s9, s10
	s_mul_hi_u32 s9, s10, s30
	s_delay_alu instid0(SALU_CYCLE_1) | instskip(NEXT) | instid1(SALU_CYCLE_1)
	s_add_co_i32 s9, s10, s9
	s_lshr_b32 s25, s9, s31
	s_mov_b32 s9, s23
	s_wait_kmcnt 0x0
	s_mul_i32 s8, s25, s8
	s_lshl_b32 s25, s25, 2
	s_sub_co_i32 s8, s10, s8
	s_delay_alu instid0(SALU_CYCLE_1) | instskip(NEXT) | instid1(SALU_CYCLE_1)
	s_mul_u64 s[10:11], s[8:9], s[22:23]
	s_add_co_i32 s8, s8, s11
	s_delay_alu instid0(SALU_CYCLE_1) | instskip(NEXT) | instid1(SALU_CYCLE_1)
	s_lshr_b32 s24, s8, s13
	s_lshl_b32 s8, s24, 3
	s_delay_alu instid0(SALU_CYCLE_1) | instskip(NEXT) | instid1(SALU_CYCLE_1)
	s_add_co_i32 s8, s8, s7
	s_cmp_lt_i32 s8, s4
	s_cselect_b32 s8, -1, 0
	s_add_co_i32 s25, s25, s3
	s_delay_alu instid0(SALU_CYCLE_1) | instskip(SKIP_1) | instid1(SALU_CYCLE_1)
	s_cmp_lt_i32 s25, s6
	s_cselect_b32 s9, -1, 0
	s_and_b32 s8, s8, s9
	s_delay_alu instid0(SALU_CYCLE_1)
	s_and_not1_b32 vcc_lo, exec_lo, s8
	s_cbranch_vccnz .LBB23_24
; %bb.8:
	s_load_b128 s[8:11], s[0:1], 0x0
	s_wait_xcnt 0x0
	s_mul_i32 s0, s15, s4
	s_mul_i32 s21, s21, s6
	s_add_co_i32 s0, s0, s7
	s_add_co_i32 s1, s25, s21
	s_mul_i32 s0, s0, s5
	s_mul_i32 s4, s5, s24
	s_add_co_i32 s0, s1, s0
	s_mulk_i32 s4, 0x300
	s_mulk_i32 s0, 0x60
	s_lshl_b32 s15, s7, 2
	v_add3_u32 v2, s4, s0, v0
	s_add_nc_u64 s[0:1], s[16:17], 0
	s_add_co_i32 s15, s15, s3
	s_xor_b64 s[6:7], s[0:1], 0
	s_lshl_b32 s0, s2, 5
	s_cvt_f32_u32 s3, s6
	s_cvt_f32_u32 s4, s7
	s_add_co_i32 s0, s15, s0
	v_cvt_f32_u32_e32 v4, s16
	s_wait_kmcnt 0x0
	global_load_b32 v1, v2, s[8:9] scale_offset
	s_fmamk_f32 s3, s4, 0x4f800000, s3
	s_ashr_i32 s1, s0, 31
	s_lshl_b32 s24, s16, 7
	s_lshl_b64 s[0:1], s[0:1], 3
	v_s_rcp_f32 s3, s3
	s_add_nc_u64 s[0:1], s[10:11], s[0:1]
	v_rcp_iflag_f32_e32 v4, v4
	s_load_b64 s[28:29], s[0:1], 0x0
	s_mov_b32 s25, 0
	v_mad_u32 v6, 0x60, s15, v0
	v_ashrrev_i32_e32 v3, 31, v2
	s_wait_xcnt 0x0
	s_lshl_b64 s[0:1], s[24:25], 2
	s_mul_f32 s3, s3, 0x5f7ffffc
	v_mul_f32_e32 v4, 0x4f7ffffe, v4
	s_add_nc_u64 s[26:27], s[10:11], s[0:1]
	v_lshl_add_u64 v[2:3], v[2:3], 2, s[8:9]
	s_mul_f32 s4, s3, 0x2f800000
	s_mov_b64 s[8:9], 0xffffffff
	v_cvt_u32_f32_e32 v7, v4
	s_add_co_i32 s36, s2, -1
	s_trunc_f32 s4, s4
	s_sub_nc_u64 s[34:35], 0, s[6:7]
	s_delay_alu instid0(SALU_CYCLE_2)
	s_fmamk_f32 s0, s4, 0xcf800000, s3
	s_cvt_u32_f32 s31, s4
	s_wait_kmcnt 0x0
	v_mov_b32_e32 v0, s29
	s_cvt_u32_f32 s30, s0
.LBB23_9:                               ; =>This Inner Loop Header: Depth=1
	s_ashr_i32 s37, s36, 31
                                        ; implicit-def: $sgpr40_sgpr41
	s_delay_alu instid0(SALU_CYCLE_1) | instskip(NEXT) | instid1(SALU_CYCLE_1)
	s_mul_u64 s[0:1], s[36:37], s[18:19]
	s_and_b64 s[2:3], s[0:1], 0xffffffff00000000
	s_delay_alu instid0(SALU_CYCLE_1)
	s_cmp_lg_u64 s[2:3], 0
	s_mov_b32 s2, -1
	s_cbranch_scc0 .LBB23_11
; %bb.10:                               ;   in Loop: Header=BB23_9 Depth=1
	s_mul_u64 s[2:3], s[34:35], s[30:31]
	s_delay_alu instid0(SALU_CYCLE_1)
	s_mul_hi_u32 s5, s30, s3
	s_mul_i32 s4, s30, s3
	s_mul_hi_u32 s24, s30, s2
	s_mul_hi_u32 s17, s31, s2
	s_add_nc_u64 s[4:5], s[24:25], s[4:5]
	s_mul_i32 s2, s31, s2
	s_mul_hi_u32 s21, s31, s3
	s_add_co_u32 s2, s4, s2
	s_add_co_ci_u32 s24, s5, s17
	s_add_co_ci_u32 s5, s21, 0
	s_mul_i32 s4, s31, s3
	s_delay_alu instid0(SALU_CYCLE_1) | instskip(NEXT) | instid1(SALU_CYCLE_1)
	s_add_nc_u64 s[2:3], s[24:25], s[4:5]
	s_add_co_u32 s2, s30, s2
	s_cselect_b32 s4, -1, 0
	s_delay_alu instid0(SALU_CYCLE_1) | instskip(SKIP_1) | instid1(SALU_CYCLE_1)
	s_cmp_lg_u32 s4, 0
	s_add_co_ci_u32 s3, s31, s3
	s_mul_u64 s[4:5], s[34:35], s[2:3]
	s_delay_alu instid0(SALU_CYCLE_1)
	s_mul_hi_u32 s39, s2, s5
	s_mul_i32 s38, s2, s5
	s_mul_hi_u32 s24, s2, s4
	s_mul_hi_u32 s17, s3, s4
	s_mul_i32 s4, s3, s4
	s_add_nc_u64 s[38:39], s[24:25], s[38:39]
	s_mul_hi_u32 s21, s3, s5
	s_add_co_u32 s4, s38, s4
	s_add_co_ci_u32 s24, s39, s17
	s_mul_i32 s4, s3, s5
	s_add_co_ci_u32 s5, s21, 0
	s_delay_alu instid0(SALU_CYCLE_1) | instskip(NEXT) | instid1(SALU_CYCLE_1)
	s_add_nc_u64 s[4:5], s[24:25], s[4:5]
	s_add_co_u32 s17, s2, s4
	s_cselect_b32 s2, -1, 0
	s_delay_alu instid0(SALU_CYCLE_1) | instskip(SKIP_2) | instid1(SALU_CYCLE_1)
	s_cmp_lg_u32 s2, 0
	s_add_co_ci_u32 s21, s3, s5
	s_ashr_i32 s2, s1, 31
	s_mov_b32 s3, s2
	s_delay_alu instid0(SALU_CYCLE_1) | instskip(NEXT) | instid1(SALU_CYCLE_1)
	s_add_nc_u64 s[4:5], s[0:1], s[2:3]
	s_xor_b64 s[4:5], s[4:5], s[2:3]
	s_delay_alu instid0(SALU_CYCLE_1)
	s_mul_hi_u32 s39, s4, s21
	s_mul_i32 s38, s4, s21
	s_mul_hi_u32 s24, s4, s17
	s_mul_hi_u32 s29, s5, s17
	s_mul_i32 s17, s5, s17
	s_add_nc_u64 s[38:39], s[24:25], s[38:39]
	s_mul_hi_u32 s1, s5, s21
	s_add_co_u32 s17, s38, s17
	s_add_co_ci_u32 s24, s39, s29
	s_mul_i32 s40, s5, s21
	s_add_co_ci_u32 s41, s1, 0
	s_delay_alu instid0(SALU_CYCLE_1) | instskip(NEXT) | instid1(SALU_CYCLE_1)
	s_add_nc_u64 s[38:39], s[24:25], s[40:41]
	s_and_b64 s[40:41], s[38:39], 0xffffffff00000000
	s_delay_alu instid0(SALU_CYCLE_1) | instskip(NEXT) | instid1(SALU_CYCLE_1)
	s_or_b32 s40, s40, s38
	s_mul_u64 s[38:39], s[6:7], s[40:41]
	s_add_nc_u64 s[42:43], s[40:41], 1
	s_sub_co_u32 s1, s4, s38
	s_cselect_b32 s4, -1, 0
	s_sub_co_i32 s17, s5, s39
	s_cmp_lg_u32 s4, 0
	s_add_nc_u64 s[44:45], s[40:41], 2
	s_sub_co_ci_u32 s17, s17, s7
	s_sub_co_u32 s21, s1, s6
	s_cselect_b32 s24, -1, 0
	s_delay_alu instid0(SALU_CYCLE_1) | instskip(SKIP_1) | instid1(SALU_CYCLE_1)
	s_cmp_lg_u32 s24, 0
	s_sub_co_ci_u32 s17, s17, 0
	s_cmp_ge_u32 s17, s7
	s_cselect_b32 s24, -1, 0
	s_cmp_ge_u32 s21, s6
	s_cselect_b32 s21, -1, 0
	s_cmp_eq_u32 s17, s7
	s_cselect_b32 s17, s21, s24
	s_delay_alu instid0(SALU_CYCLE_1) | instskip(SKIP_4) | instid1(SALU_CYCLE_1)
	s_cmp_lg_u32 s17, 0
	s_cselect_b32 s17, s44, s42
	s_cselect_b32 s21, s45, s43
	s_cmp_lg_u32 s4, 0
	s_sub_co_ci_u32 s4, s5, s39
	s_cmp_ge_u32 s4, s7
	s_cselect_b32 s5, -1, 0
	s_cmp_ge_u32 s1, s6
	s_cselect_b32 s1, -1, 0
	s_cmp_eq_u32 s4, s7
	s_cselect_b32 s1, s1, s5
	s_delay_alu instid0(SALU_CYCLE_1) | instskip(SKIP_3) | instid1(SALU_CYCLE_1)
	s_cmp_lg_u32 s1, 0
	s_cselect_b32 s5, s21, s41
	s_cselect_b32 s4, s17, s40
	s_xor_b64 s[2:3], s[2:3], 0
	s_xor_b64 s[4:5], s[4:5], s[2:3]
	s_delay_alu instid0(SALU_CYCLE_1)
	s_sub_nc_u64 s[40:41], s[4:5], s[2:3]
	s_mov_b32 s2, 0
.LBB23_11:                              ;   in Loop: Header=BB23_9 Depth=1
	s_delay_alu instid0(SALU_CYCLE_1)
	s_and_not1_b32 vcc_lo, exec_lo, s2
	s_cbranch_vccnz .LBB23_13
; %bb.12:                               ;   in Loop: Header=BB23_9 Depth=1
	v_readfirstlane_b32 s1, v7
	s_sub_co_i32 s2, 0, s16
	s_delay_alu instid0(SALU_CYCLE_1) | instskip(NEXT) | instid1(SALU_CYCLE_1)
	s_mul_i32 s2, s2, s1
	s_mul_hi_u32 s2, s1, s2
	s_delay_alu instid0(SALU_CYCLE_1) | instskip(NEXT) | instid1(SALU_CYCLE_1)
	s_add_co_i32 s1, s1, s2
	s_mul_hi_u32 s1, s0, s1
	s_delay_alu instid0(SALU_CYCLE_1) | instskip(NEXT) | instid1(SALU_CYCLE_1)
	s_mul_i32 s2, s1, s16
	s_sub_co_i32 s0, s0, s2
	s_add_co_i32 s2, s1, 1
	s_sub_co_i32 s3, s0, s16
	s_cmp_ge_u32 s0, s16
	s_cselect_b32 s1, s2, s1
	s_cselect_b32 s0, s3, s0
	s_add_co_i32 s2, s1, 1
	s_cmp_ge_u32 s0, s16
	s_cselect_b32 s24, s2, s1
	s_delay_alu instid0(SALU_CYCLE_1)
	s_mov_b64 s[40:41], s[24:25]
.LBB23_13:                              ;   in Loop: Header=BB23_9 Depth=1
	s_delay_alu instid0(SALU_CYCLE_1)
	s_cmp_lg_u32 s20, s40
	s_mov_b32 s0, -1
                                        ; implicit-def: $vgpr4_vgpr5
                                        ; implicit-def: $sgpr24
                                        ; implicit-def: $sgpr17
                                        ; implicit-def: $sgpr21
                                        ; implicit-def: $sgpr29
	s_cbranch_scc0 .LBB23_18
; %bb.14:                               ;   in Loop: Header=BB23_9 Depth=1
	s_add_co_i32 s0, s36, s16
	v_max_num_f32_e64 v4, s28, s28
	s_lshl_b32 s0, s0, 5
	s_mov_b32 s29, s20
	s_add_co_i32 s0, s0, s15
	s_load_b64 s[38:39], s[10:11], s0 offset:0x0 scale_offset
	s_wait_xcnt 0x0
	v_readfirstlane_b32 s0, v4
	s_wait_kmcnt 0x0
	v_max_num_f32_e64 v5, s38, s38
	s_delay_alu instid0(VALU_DEP_1) | instskip(SKIP_1) | instid1(SALU_CYCLE_3)
	v_readfirstlane_b32 s1, v5
	s_max_num_f32 s17, s0, s1
	s_sub_f32 s33, s28, s17
	s_sub_f32 s37, s38, s17
	s_delay_alu instid0(SALU_CYCLE_2)
	s_cmp_nlt_f32 s33, 0xc2ce8ed0
	s_cselect_b32 s1, -1, 0
	s_cmp_ngt_f32 s33, 0x42b17218
	s_cselect_b32 s2, -1, 0
	s_cmp_ge_f32 s33, 0xc1a00000
	s_cselect_b32 s0, -1, 0
	s_cmp_nlt_f32 s37, 0xc2ce8ed0
	s_cselect_b32 s3, -1, 0
	s_cmp_ngt_f32 s37, 0x42b17218
	s_cselect_b32 s4, -1, 0
	s_cmp_ge_f32 s37, 0xc1a00000
	s_cselect_b32 s5, -1, 0
	s_and_b64 s[42:43], s[40:41], s[8:9]
	s_delay_alu instid0(SALU_CYCLE_1) | instskip(NEXT) | instid1(SALU_CYCLE_1)
	s_mul_u64 s[42:43], s[42:43], s[22:23]
	s_add_co_i32 s21, s43, s40
	s_delay_alu instid0(SALU_CYCLE_1) | instskip(NEXT) | instid1(SALU_CYCLE_1)
	s_lshr_b32 s21, s21, s13
	s_mul_i32 s24, s21, s14
	s_delay_alu instid0(SALU_CYCLE_1) | instskip(SKIP_3) | instid1(SALU_CYCLE_1)
	s_cmp_eq_u32 s24, s40
	s_cselect_b32 s24, -1, 0
	s_cmp_lt_u32 s21, s12
	s_cselect_b32 s21, -1, 0
	s_or_b32 s21, s21, s24
	s_mov_b32 s24, -1
	s_and_b32 vcc_lo, exec_lo, s21
	s_mov_b32 s21, s36
	s_cbranch_vccnz .LBB23_16
; %bb.15:                               ;   in Loop: Header=BB23_9 Depth=1
	s_add_co_i32 s21, s36, -1
	s_mov_b32 s24, 0
	s_mov_b32 s29, s40
.LBB23_16:                              ;   in Loop: Header=BB23_9 Depth=1
	v_mad_u32 v4, 0xc00, s36, v6
	s_mul_f32 s40, s33, 0x3fb8aa3b
	s_mul_f32 s38, s37, 0x3fb8aa3b
	s_delay_alu instid0(SALU_CYCLE_2)
	s_xor_b32 s42, s40, 0x80000000
	s_rndne_f32 s44, s40
	s_fmamk_f32 s42, s33, 0x3fb8aa3b, s42
	s_xor_b32 s41, s38, 0x80000000
	s_rndne_f32 s43, s38
	s_sub_f32 s40, s40, s44
	global_load_b32 v5, v4, s[26:27] scale_offset
	s_fmamk_f32 s33, s33, 0x32a5705f, s42
	s_fmamk_f32 s41, s37, 0x3fb8aa3b, s41
	s_sub_f32 s38, s38, s43
	s_delay_alu instid0(SALU_CYCLE_1) | instskip(NEXT) | instid1(SALU_CYCLE_1)
	s_add_f32 s33, s40, s33
	s_fmamk_f32 s37, s37, 0x32a5705f, s41
	s_cvt_i32_f32 s40, s44
	s_delay_alu instid0(SALU_CYCLE_1) | instskip(NEXT) | instid1(SALU_CYCLE_1)
	v_s_exp_f32 s33, s33
	s_add_f32 s37, s38, s37
	s_cvt_i32_f32 s38, s43
	s_delay_alu instid0(SALU_CYCLE_2) | instskip(NEXT) | instid1(TRANS32_DEP_2)
	v_s_exp_f32 s37, s37
	v_ldexp_f32 v8, s33, s40
	s_wait_xcnt 0x0
	s_delay_alu instid0(TRANS32_DEP_1) | instskip(NEXT) | instid1(VALU_DEP_2)
	v_ldexp_f32 v4, s37, s38
	v_cndmask_b32_e64 v8, 0, v8, s1
	s_delay_alu instid0(VALU_DEP_1) | instskip(NEXT) | instid1(VALU_DEP_1)
	v_cndmask_b32_e64 v9, 0x7f800000, v8, s2
	v_dual_cndmask_b32 v4, 0, v4, s3 :: v_dual_cndmask_b32 v10, 0, v9, s0
	s_delay_alu instid0(VALU_DEP_1) | instskip(NEXT) | instid1(VALU_DEP_1)
	v_cndmask_b32_e64 v4, 0x7f800000, v4, s4
	v_dual_cndmask_b32 v8, 0, v4, s5 :: v_dual_mov_b32 v4, s39
	s_wait_loadcnt 0x0
	s_delay_alu instid0(VALU_DEP_1) | instskip(NEXT) | instid1(VALU_DEP_1)
	v_pk_mul_f32 v[4:5], v[4:5], v[8:9] op_sel_hi:[1,0]
	v_pk_fma_f32 v[4:5], v[0:1], v[10:11], v[4:5] op_sel_hi:[1,0,1]
	s_cbranch_execz .LBB23_19
.LBB23_17:                              ;   in Loop: Header=BB23_9 Depth=1
	s_and_not1_b32 vcc_lo, exec_lo, s24
	s_cbranch_vccnz .LBB23_20
	s_branch .LBB23_23
.LBB23_18:                              ;   in Loop: Header=BB23_9 Depth=1
	s_and_not1_b32 vcc_lo, exec_lo, s0
	s_cbranch_vccnz .LBB23_17
.LBB23_19:                              ;   in Loop: Header=BB23_9 Depth=1
	s_wait_loadcnt 0x0
	v_mov_b64_e32 v[4:5], v[0:1]
	s_add_co_i32 s21, s36, -1
	s_mov_b32 s29, s20
	s_mov_b32 s17, s28
	s_cbranch_execz .LBB23_23
.LBB23_20:                              ;   in Loop: Header=BB23_9 Depth=1
	s_wait_loadcnt 0x0
	s_delay_alu instid0(VALU_DEP_1)
	v_mov_b64_e32 v[0:1], v[4:5]
	s_mov_b32 s20, s29
	s_mov_b32 s36, s21
	;; [unrolled: 1-line block ×3, first 2 shown]
	s_branch .LBB23_9
.LBB23_21:
                                        ; implicit-def: $sgpr20_sgpr21
	s_branch .LBB23_2
.LBB23_22:
                                        ; implicit-def: $sgpr24_sgpr25
	s_load_b96 s[12:14], s[0:1], 0x44
	s_branch .LBB23_5
.LBB23_23:
	s_delay_alu instid0(VALU_DEP_1) | instskip(SKIP_1) | instid1(VALU_DEP_1)
	v_div_scale_f32 v0, null, v4, v4, v5
	s_wait_loadcnt 0x0
	v_rcp_f32_e32 v1, v0
	v_nop
	s_delay_alu instid0(TRANS32_DEP_1) | instskip(NEXT) | instid1(VALU_DEP_1)
	v_fma_f32 v6, -v0, v1, 1.0
	v_fmac_f32_e32 v1, v6, v1
	v_div_scale_f32 v6, vcc_lo, v5, v4, v5
	s_delay_alu instid0(VALU_DEP_1) | instskip(NEXT) | instid1(VALU_DEP_1)
	v_mul_f32_e32 v7, v6, v1
	v_fma_f32 v8, -v0, v7, v6
	s_delay_alu instid0(VALU_DEP_1) | instskip(NEXT) | instid1(VALU_DEP_1)
	v_fmac_f32_e32 v7, v8, v1
	v_fma_f32 v0, -v0, v7, v6
	s_delay_alu instid0(VALU_DEP_1) | instskip(NEXT) | instid1(VALU_DEP_1)
	v_div_fmas_f32 v0, v0, v1, v7
	v_div_fixup_f32 v0, v0, v4, v5
	global_store_b32 v[2:3], v0, off
.LBB23_24:
	s_endpgm
	.section	.rodata,"a",@progbits
	.p2align	6, 0x0
	.amdhsa_kernel _ZL33flash_attn_stream_k_fixup_generalILi96ELi8ELi4EEvPfPK15HIP_vector_typeIfLj2EEiiiiS1_IjLj3EES5_S5_S5_
		.amdhsa_group_segment_fixed_size 0
		.amdhsa_private_segment_fixed_size 0
		.amdhsa_kernarg_size 336
		.amdhsa_user_sgpr_count 2
		.amdhsa_user_sgpr_dispatch_ptr 0
		.amdhsa_user_sgpr_queue_ptr 0
		.amdhsa_user_sgpr_kernarg_segment_ptr 1
		.amdhsa_user_sgpr_dispatch_id 0
		.amdhsa_user_sgpr_kernarg_preload_length 0
		.amdhsa_user_sgpr_kernarg_preload_offset 0
		.amdhsa_user_sgpr_private_segment_size 0
		.amdhsa_wavefront_size32 1
		.amdhsa_uses_dynamic_stack 0
		.amdhsa_enable_private_segment 0
		.amdhsa_system_sgpr_workgroup_id_x 1
		.amdhsa_system_sgpr_workgroup_id_y 1
		.amdhsa_system_sgpr_workgroup_id_z 1
		.amdhsa_system_sgpr_workgroup_info 0
		.amdhsa_system_vgpr_workitem_id 0
		.amdhsa_next_free_vgpr 12
		.amdhsa_next_free_sgpr 46
		.amdhsa_named_barrier_count 0
		.amdhsa_reserve_vcc 1
		.amdhsa_float_round_mode_32 0
		.amdhsa_float_round_mode_16_64 0
		.amdhsa_float_denorm_mode_32 3
		.amdhsa_float_denorm_mode_16_64 3
		.amdhsa_fp16_overflow 0
		.amdhsa_memory_ordered 1
		.amdhsa_forward_progress 1
		.amdhsa_inst_pref_size 27
		.amdhsa_round_robin_scheduling 0
		.amdhsa_exception_fp_ieee_invalid_op 0
		.amdhsa_exception_fp_denorm_src 0
		.amdhsa_exception_fp_ieee_div_zero 0
		.amdhsa_exception_fp_ieee_overflow 0
		.amdhsa_exception_fp_ieee_underflow 0
		.amdhsa_exception_fp_ieee_inexact 0
		.amdhsa_exception_int_div_zero 0
	.end_amdhsa_kernel
	.section	.text._ZL33flash_attn_stream_k_fixup_generalILi96ELi8ELi4EEvPfPK15HIP_vector_typeIfLj2EEiiiiS1_IjLj3EES5_S5_S5_,"axG",@progbits,_ZL33flash_attn_stream_k_fixup_generalILi96ELi8ELi4EEvPfPK15HIP_vector_typeIfLj2EEiiiiS1_IjLj3EES5_S5_S5_,comdat
.Lfunc_end23:
	.size	_ZL33flash_attn_stream_k_fixup_generalILi96ELi8ELi4EEvPfPK15HIP_vector_typeIfLj2EEiiiiS1_IjLj3EES5_S5_S5_, .Lfunc_end23-_ZL33flash_attn_stream_k_fixup_generalILi96ELi8ELi4EEvPfPK15HIP_vector_typeIfLj2EEiiiiS1_IjLj3EES5_S5_S5_
                                        ; -- End function
	.set _ZL33flash_attn_stream_k_fixup_generalILi96ELi8ELi4EEvPfPK15HIP_vector_typeIfLj2EEiiiiS1_IjLj3EES5_S5_S5_.num_vgpr, 12
	.set _ZL33flash_attn_stream_k_fixup_generalILi96ELi8ELi4EEvPfPK15HIP_vector_typeIfLj2EEiiiiS1_IjLj3EES5_S5_S5_.num_agpr, 0
	.set _ZL33flash_attn_stream_k_fixup_generalILi96ELi8ELi4EEvPfPK15HIP_vector_typeIfLj2EEiiiiS1_IjLj3EES5_S5_S5_.numbered_sgpr, 46
	.set _ZL33flash_attn_stream_k_fixup_generalILi96ELi8ELi4EEvPfPK15HIP_vector_typeIfLj2EEiiiiS1_IjLj3EES5_S5_S5_.num_named_barrier, 0
	.set _ZL33flash_attn_stream_k_fixup_generalILi96ELi8ELi4EEvPfPK15HIP_vector_typeIfLj2EEiiiiS1_IjLj3EES5_S5_S5_.private_seg_size, 0
	.set _ZL33flash_attn_stream_k_fixup_generalILi96ELi8ELi4EEvPfPK15HIP_vector_typeIfLj2EEiiiiS1_IjLj3EES5_S5_S5_.uses_vcc, 1
	.set _ZL33flash_attn_stream_k_fixup_generalILi96ELi8ELi4EEvPfPK15HIP_vector_typeIfLj2EEiiiiS1_IjLj3EES5_S5_S5_.uses_flat_scratch, 0
	.set _ZL33flash_attn_stream_k_fixup_generalILi96ELi8ELi4EEvPfPK15HIP_vector_typeIfLj2EEiiiiS1_IjLj3EES5_S5_S5_.has_dyn_sized_stack, 0
	.set _ZL33flash_attn_stream_k_fixup_generalILi96ELi8ELi4EEvPfPK15HIP_vector_typeIfLj2EEiiiiS1_IjLj3EES5_S5_S5_.has_recursion, 0
	.set _ZL33flash_attn_stream_k_fixup_generalILi96ELi8ELi4EEvPfPK15HIP_vector_typeIfLj2EEiiiiS1_IjLj3EES5_S5_S5_.has_indirect_call, 0
	.section	.AMDGPU.csdata,"",@progbits
; Kernel info:
; codeLenInByte = 3352
; TotalNumSgprs: 48
; NumVgprs: 12
; ScratchSize: 0
; MemoryBound: 0
; FloatMode: 240
; IeeeMode: 1
; LDSByteSize: 0 bytes/workgroup (compile time only)
; SGPRBlocks: 0
; VGPRBlocks: 0
; NumSGPRsForWavesPerEU: 48
; NumVGPRsForWavesPerEU: 12
; NamedBarCnt: 0
; Occupancy: 16
; WaveLimiterHint : 0
; COMPUTE_PGM_RSRC2:SCRATCH_EN: 0
; COMPUTE_PGM_RSRC2:USER_SGPR: 2
; COMPUTE_PGM_RSRC2:TRAP_HANDLER: 0
; COMPUTE_PGM_RSRC2:TGID_X_EN: 1
; COMPUTE_PGM_RSRC2:TGID_Y_EN: 1
; COMPUTE_PGM_RSRC2:TGID_Z_EN: 1
; COMPUTE_PGM_RSRC2:TIDIG_COMP_CNT: 0
	.section	.text._ZL15flash_attn_tileILi96ELi96ELi4ELi4ELb0EEvPKcS1_S1_S1_S1_PKiPfP15HIP_vector_typeIfLj2EEffffjfiS5_IjLj3EEiiiiiiiiiiiliiliiiiil,"axG",@progbits,_ZL15flash_attn_tileILi96ELi96ELi4ELi4ELb0EEvPKcS1_S1_S1_S1_PKiPfP15HIP_vector_typeIfLj2EEffffjfiS5_IjLj3EEiiiiiiiiiiiliiliiiiil,comdat
	.globl	_ZL15flash_attn_tileILi96ELi96ELi4ELi4ELb0EEvPKcS1_S1_S1_S1_PKiPfP15HIP_vector_typeIfLj2EEffffjfiS5_IjLj3EEiiiiiiiiiiiliiliiiiil ; -- Begin function _ZL15flash_attn_tileILi96ELi96ELi4ELi4ELb0EEvPKcS1_S1_S1_S1_PKiPfP15HIP_vector_typeIfLj2EEffffjfiS5_IjLj3EEiiiiiiiiiiiliiliiiiil
	.p2align	8
	.type	_ZL15flash_attn_tileILi96ELi96ELi4ELi4ELb0EEvPKcS1_S1_S1_S1_PKiPfP15HIP_vector_typeIfLj2EEffffjfiS5_IjLj3EEiiiiiiiiiiiliiliiiiil,@function
_ZL15flash_attn_tileILi96ELi96ELi4ELi4ELb0EEvPKcS1_S1_S1_S1_PKiPfP15HIP_vector_typeIfLj2EEffffjfiS5_IjLj3EEiiiiiiiiiiiliiliiiiil: ; @_ZL15flash_attn_tileILi96ELi96ELi4ELi4ELb0EEvPKcS1_S1_S1_S1_PKiPfP15HIP_vector_typeIfLj2EEffffjfiS5_IjLj3EEiiiiiiiiiiiliiliiiiil
; %bb.0:
	s_clause 0x1
	s_load_b128 s[20:23], s[0:1], 0x5c
	s_load_b64 s[30:31], s[0:1], 0x80
	s_bfe_u32 s5, ttmp6, 0x40014
	s_lshr_b32 s4, ttmp7, 16
	s_add_co_i32 s5, s5, 1
	s_bfe_u32 s6, ttmp6, 0x40008
	s_mul_i32 s5, s4, s5
	s_getreg_b32 s27, hwreg(HW_REG_IB_STS2, 6, 4)
	s_add_co_i32 s6, s6, s5
	s_mov_b32 s37, 0
	s_mov_b64 s[34:35], 0
	s_wait_kmcnt 0x0
	s_ashr_i32 s2, s23, 31
	s_delay_alu instid0(SALU_CYCLE_1) | instskip(NEXT) | instid1(SALU_CYCLE_1)
	s_lshr_b32 s2, s2, 30
	s_add_co_i32 s2, s23, s2
	s_delay_alu instid0(SALU_CYCLE_1) | instskip(NEXT) | instid1(SALU_CYCLE_1)
	s_ashr_i32 s2, s2, 2
	s_cvt_f32_u32 s3, s2
	s_sub_co_i32 s7, 0, s2
	s_delay_alu instid0(SALU_CYCLE_2) | instskip(SKIP_1) | instid1(TRANS32_DEP_1)
	v_rcp_iflag_f32_e32 v1, s3
	v_nop
	v_readfirstlane_b32 s3, v1
	s_mul_f32 s3, s3, 0x4f7ffffe
	s_delay_alu instid0(SALU_CYCLE_3) | instskip(NEXT) | instid1(SALU_CYCLE_3)
	s_cvt_u32_f32 s3, s3
	s_mul_i32 s7, s7, s3
	s_delay_alu instid0(SALU_CYCLE_1) | instskip(NEXT) | instid1(SALU_CYCLE_1)
	s_mul_hi_u32 s7, s3, s7
	s_add_co_i32 s3, s3, s7
	s_cmp_eq_u32 s27, 0
	s_cselect_b32 s4, s4, s6
	s_delay_alu instid0(SALU_CYCLE_1) | instskip(NEXT) | instid1(SALU_CYCLE_1)
	s_mul_hi_u32 s3, s4, s3
	s_mul_i32 s5, s3, s2
	s_add_co_i32 s6, s3, 1
	s_sub_co_i32 s5, s4, s5
	s_delay_alu instid0(SALU_CYCLE_1)
	s_sub_co_i32 s7, s5, s2
	s_cmp_ge_u32 s5, s2
	s_cselect_b32 s3, s6, s3
	s_cselect_b32 s5, s7, s5
	s_add_co_i32 s6, s3, 1
	s_cmp_ge_u32 s5, s2
	s_cselect_b32 s28, s6, s3
	s_abs_i32 s2, s31
	s_abs_i32 s6, s23
	s_cvt_f32_u32 s3, s2
	s_sub_co_i32 s5, 0, s2
	s_lshl_b32 s24, s4, 2
	s_xor_b32 s4, s23, s31
	v_rcp_iflag_f32_e32 v1, s3
	s_ashr_i32 s25, s4, 31
	v_nop
	s_delay_alu instid0(TRANS32_DEP_1) | instskip(SKIP_1) | instid1(SALU_CYCLE_3)
	v_readfirstlane_b32 s3, v1
	s_mul_f32 s3, s3, 0x4f7ffffe
	s_cvt_u32_f32 s3, s3
	s_delay_alu instid0(SALU_CYCLE_3) | instskip(NEXT) | instid1(SALU_CYCLE_1)
	s_mul_i32 s5, s5, s3
	s_mul_hi_u32 s5, s3, s5
	s_delay_alu instid0(SALU_CYCLE_1) | instskip(NEXT) | instid1(SALU_CYCLE_1)
	s_add_co_i32 s3, s3, s5
	s_mul_hi_u32 s3, s6, s3
	s_delay_alu instid0(SALU_CYCLE_1) | instskip(NEXT) | instid1(SALU_CYCLE_1)
	s_mul_i32 s5, s3, s2
	s_sub_co_i32 s4, s6, s5
	s_add_co_i32 s5, s3, 1
	s_sub_co_i32 s6, s4, s2
	s_cmp_ge_u32 s4, s2
	s_cselect_b32 s3, s5, s3
	s_cselect_b32 s4, s6, s4
	s_add_co_i32 s5, s3, 1
	s_cmp_ge_u32 s4, s2
	s_cselect_b32 s2, s5, s3
	s_load_b512 s[4:19], s[0:1], 0x0
	s_xor_b32 s26, s2, s25
	s_load_b64 s[2:3], s[0:1], 0xb8
	s_sub_co_i32 s29, s26, s25
	s_delay_alu instid0(SALU_CYCLE_1) | instskip(NEXT) | instid1(SALU_CYCLE_1)
	s_abs_i32 s38, s29
	s_cvt_f32_u32 s25, s38
	s_delay_alu instid0(SALU_CYCLE_3) | instskip(SKIP_2) | instid1(TRANS32_DEP_1)
	v_rcp_iflag_f32_e32 v1, s25
	s_mul_i32 s25, s28, s23
	v_nop
	v_readfirstlane_b32 s36, v1
	s_wait_kmcnt 0x0
	s_cmp_eq_u64 s[10:11], 0
	s_cbranch_scc1 .LBB24_2
; %bb.1:
	s_abs_i32 s2, s2
	s_abs_i32 s33, s28
	s_cvt_f32_u32 s26, s2
	s_sub_co_i32 s31, 0, s2
	s_load_b64 s[34:35], s[0:1], 0xc8
	s_delay_alu instid0(SALU_CYCLE_1) | instskip(SKIP_1) | instid1(TRANS32_DEP_1)
	v_rcp_iflag_f32_e32 v1, s26
	v_nop
	v_readfirstlane_b32 s26, v1
	s_mul_f32 s26, s26, 0x4f7ffffe
	s_delay_alu instid0(SALU_CYCLE_3) | instskip(NEXT) | instid1(SALU_CYCLE_3)
	s_cvt_u32_f32 s26, s26
	s_mul_i32 s31, s31, s26
	s_delay_alu instid0(SALU_CYCLE_1) | instskip(NEXT) | instid1(SALU_CYCLE_1)
	s_mul_hi_u32 s31, s26, s31
	s_add_co_i32 s26, s26, s31
	s_ashr_i32 s31, s28, 31
	s_mul_hi_u32 s26, s33, s26
	s_delay_alu instid0(SALU_CYCLE_1) | instskip(NEXT) | instid1(SALU_CYCLE_1)
	s_mul_i32 s26, s26, s2
	s_sub_co_i32 s26, s33, s26
	s_delay_alu instid0(SALU_CYCLE_1) | instskip(SKIP_2) | instid1(SALU_CYCLE_1)
	s_sub_co_i32 s33, s26, s2
	s_cmp_ge_u32 s26, s2
	s_cselect_b32 s26, s33, s26
	s_sub_co_i32 s33, s26, s2
	s_cmp_ge_u32 s26, s2
	s_cselect_b32 s2, s33, s26
	s_delay_alu instid0(SALU_CYCLE_1) | instskip(NEXT) | instid1(SALU_CYCLE_1)
	s_xor_b32 s2, s2, s31
	s_sub_co_i32 s40, s2, s31
	s_delay_alu instid0(SALU_CYCLE_1) | instskip(SKIP_2) | instid1(SALU_CYCLE_1)
	s_ashr_i32 s41, s40, 31
	s_wait_kmcnt 0x0
	s_mul_u64 s[34:35], s[34:35], s[40:41]
	s_add_nc_u64 s[34:35], s[10:11], s[34:35]
.LBB24_2:
	s_bfe_u32 s2, ttmp6, 0x4000c
	v_bfe_u32 v2, v0, 10, 10
	v_lshrrev_b32_e32 v1, 10, v0
	s_add_co_i32 s2, s2, 1
	s_and_b32 s10, ttmp6, 15
	s_mul_i32 s2, ttmp9, s2
	s_sub_co_i32 s31, s24, s25
	s_add_co_i32 s10, s10, s2
	v_lshlrev_b32_e32 v3, 1, v2
	v_bfe_u32 v1, v1, 1, 9
	s_cmp_eq_u32 s27, 0
	v_and_b32_e32 v72, 0x3ff, v0
	s_cselect_b32 s10, ttmp9, s10
	v_and_b32_e32 v48, 2, v3
	v_lshl_add_u32 v73, s10, 2, v1
	s_delay_alu instid0(VALU_DEP_3) | instskip(SKIP_1) | instid1(VALU_DEP_3)
	v_dual_lshlrev_b32 v61, 2, v72 :: v_dual_lshlrev_b32 v74, 3, v72
	v_cmp_gt_u32_e64 s2, 24, v72
	v_mul_hi_u32 v1, s20, v73
	s_delay_alu instid0(VALU_DEP_1) | instskip(NEXT) | instid1(VALU_DEP_1)
	v_add_nc_u32_e32 v1, v73, v1
	v_lshrrev_b32_e32 v1, s21, v1
	s_delay_alu instid0(VALU_DEP_1) | instskip(NEXT) | instid1(VALU_DEP_1)
	v_mul_lo_u32 v1, v1, s22
	v_sub_nc_u32_e32 v0, v73, v1
	s_and_saveexec_b32 s11, s2
	s_cbranch_execz .LBB24_4
; %bb.3:
	s_load_b96 s[24:26], s[0:1], 0x70
	v_dual_mov_b32 v1, 0 :: v_dual_lshlrev_b32 v10, 2, v61
	v_bitop3_b32 v6, v3, 3, 1 bitop3:0xc8
	s_delay_alu instid0(VALU_DEP_2)
	v_dual_mov_b32 v11, v1 :: v_dual_bitop2_b32 v3, 1, v3 bitop3:0x54
	v_dual_mov_b32 v49, v1 :: v_dual_mov_b32 v7, v1
	s_wait_kmcnt 0x0
	s_ashr_i32 s21, s24, 31
	s_mov_b32 s20, s24
	s_mul_i32 s24, s31, s25
	s_lshr_b64 s[20:21], s[20:21], 2
	s_delay_alu instid0(SALU_CYCLE_1)
	v_mul_u64_e32 v[4:5], s[20:21], v[0:1]
	s_ashr_i32 s21, s25, 31
	s_mov_b32 s20, s25
	s_ashr_i32 s25, s24, 31
	s_lshr_b64 s[20:21], s[20:21], 2
	v_add_nc_u32_e32 v1, 0xe80, v74
	v_mul_u64_e32 v[8:9], s[20:21], v[48:49]
	v_mul_u64_e32 v[6:7], s[20:21], v[6:7]
	s_mul_i32 s20, s28, s26
	s_delay_alu instid0(SALU_CYCLE_1) | instskip(NEXT) | instid1(SALU_CYCLE_1)
	s_ashr_i32 s21, s20, 31
	s_add_nc_u64 s[4:5], s[4:5], s[20:21]
	s_delay_alu instid0(SALU_CYCLE_1)
	s_add_nc_u64 s[4:5], s[4:5], s[24:25]
	s_delay_alu instid0(VALU_DEP_4) | instid1(SALU_CYCLE_1)
	v_lshl_add_u64 v[4:5], v[4:5], 2, s[4:5]
	s_load_b32 s4, s[0:1], 0x40
	s_delay_alu instid0(VALU_DEP_1) | instskip(NEXT) | instid1(VALU_DEP_1)
	v_add_nc_u64_e32 v[4:5], v[4:5], v[10:11]
	v_lshl_add_u64 v[12:13], v[8:9], 2, v[4:5]
	s_delay_alu instid0(VALU_DEP_4)
	v_lshl_add_u64 v[14:15], v[6:7], 2, v[4:5]
	s_clause 0x1
	global_load_b128 v[4:7], v[12:13], off
	global_load_b128 v[8:11], v[14:15], off
	s_wait_xcnt 0x1
	v_mad_u32_u24 v12, 0x180, v2, v1
	v_mad_u32_u24 v1, 0xc0, v3, v1
	s_wait_loadcnt 0x1
	s_wait_kmcnt 0x0
	v_fma_mixlo_f16 v4, s4, v4, 0
	v_fma_mixlo_f16 v5, s4, v5, 0
	s_wait_loadcnt 0x0
	v_fma_mixlo_f16 v8, s4, v8, 0
	v_fma_mixlo_f16 v9, s4, v9, 0
	;; [unrolled: 1-line block ×4, first 2 shown]
	v_lshlrev_b32_e32 v5, 16, v5
	v_and_b32_e32 v4, 0xffff, v4
	v_fma_mixlo_f16 v10, s4, v10, 0
	v_fma_mixlo_f16 v11, s4, v11, 0
	v_lshlrev_b32_e32 v9, 16, v9
	v_and_b32_e32 v8, 0xffff, v8
	v_lshlrev_b32_e32 v7, 16, v7
	v_and_b32_e32 v6, 0xffff, v6
	v_dual_lshlrev_b32 v11, 16, v11 :: v_dual_bitop2_b32 v4, v5, v4 bitop3:0x54
	v_and_b32_e32 v10, 0xffff, v10
	v_or_b32_e32 v8, v9, v8
	s_delay_alu instid0(VALU_DEP_4) | instskip(NEXT) | instid1(VALU_DEP_4)
	v_or3_b32 v5, v7, v6, 0
	v_or3_b32 v4, 0, 0, v4
	s_delay_alu instid0(VALU_DEP_4) | instskip(NEXT) | instid1(VALU_DEP_4)
	v_or3_b32 v7, v11, v10, 0
	v_or3_b32 v6, 0, 0, v8
	ds_store_b64 v12, v[4:5]
	ds_store_b64 v1, v[6:7]
.LBB24_4:
	s_or_b32 exec_lo, exec_lo, s11
	s_cmp_eq_u64 s[14:15], 0
	s_wait_dscnt 0x0
	s_barrier_signal -1
	s_barrier_wait -1
	s_cbranch_scc1 .LBB24_6
; %bb.5:
	s_load_b32 s4, s[0:1], 0xd0
	s_wait_kmcnt 0x0
	s_mul_i32 s4, s4, s28
	s_delay_alu instid0(SALU_CYCLE_1)
	s_add_co_i32 s4, s4, s10
	s_load_b32 s30, s[14:15], s4 offset:0x0 scale_offset
.LBB24_6:
	s_wait_xcnt 0x0
	s_bfe_u32 s4, ttmp6, 0x40010
	s_and_b32 s5, ttmp7, 0xffff
	s_add_co_i32 s4, s4, 1
	s_bfe_u32 s10, ttmp6, 0x40004
	s_mul_i32 s4, s5, s4
	v_mbcnt_lo_u32_b32 v49, -1, 0
	s_add_co_i32 s10, s10, s4
	s_cmp_eq_u32 s27, 0
	s_mov_b32 s4, 0
	s_cselect_b32 s33, s5, s10
	s_delay_alu instid0(SALU_CYCLE_1)
	s_lshl_b32 s10, s33, 5
	s_wait_kmcnt 0x0
	s_cmp_lt_i32 s10, s30
	s_cbranch_scc1 .LBB24_9
; %bb.7:
	v_mbcnt_lo_u32_b32 v1, -1, 0
	s_delay_alu instid0(VALU_DEP_1)
	v_dual_mov_b32 v75, 32 :: v_dual_bitop2_b32 v88, 16, v1 bitop3:0x14
	v_xor_b32_e32 v89, 8, v1
	v_xor_b32_e32 v90, 4, v1
	;; [unrolled: 1-line block ×4, first 2 shown]
	s_and_not1_b32 vcc_lo, exec_lo, s4
	s_cbranch_vccz .LBB24_10
; %bb.8:
	v_dual_mov_b32 v67, 0xfeffffff :: v_dual_mov_b32 v86, 0
	v_dual_mov_b32 v51, 0 :: v_dual_mov_b32 v87, 0
	v_dual_mov_b32 v76, 0 :: v_dual_mov_b32 v77, 0
	s_delay_alu instid0(VALU_DEP_2)
	v_dual_mov_b32 v66, v67 :: v_dual_mov_b32 v50, v51
	s_branch .LBB24_30
.LBB24_9:
                                        ; implicit-def: $vgpr1
                                        ; implicit-def: $vgpr75
                                        ; implicit-def: $vgpr88
                                        ; implicit-def: $vgpr89
                                        ; implicit-def: $vgpr90
                                        ; implicit-def: $vgpr91
                                        ; implicit-def: $vgpr92
.LBB24_10:
	s_clause 0x1
	s_load_b64 s[4:5], s[0:1], 0x8c
	s_load_b128 s[24:27], s[0:1], 0x98
	s_mul_f32 s11, s36, 0x4f7ffffe
	v_dual_lshrrev_b32 v1, 1, v72 :: v_dual_lshrrev_b32 v3, 2, v72
	s_sub_co_i32 s14, 0, s38
	s_delay_alu instid0(SALU_CYCLE_1) | instskip(SKIP_1) | instid1(VALU_DEP_2)
	s_cvt_u32_f32 s11, s11
	v_and_b32_e32 v6, 12, v61
	v_lshl_add_u32 v1, v2, 4, v1
	v_and_b32_e32 v4, 4, v61
	s_mul_i32 s14, s14, s11
	s_ashr_i32 s20, s31, 31
	s_ashr_i32 s21, s29, 31
	s_mul_hi_u32 s14, s11, s14
	s_abs_i32 s36, s31
	s_mov_b32 s15, s37
	s_add_co_i32 s14, s11, s14
	s_xor_b32 s21, s20, s21
	s_mul_u64 s[14:15], s[36:37], s[14:15]
	v_mul_u32_u24_e32 v5, 0x70, v1
	s_wait_kmcnt 0x0
	s_ashr_i32 s20, s4, 2
	v_cmp_gt_u32_e32 vcc_lo, 32, v1
	v_mul_lo_u32 v52, s20, v1
	v_dual_lshlrev_b32 v1, 2, v6 :: v_dual_lshlrev_b32 v7, 2, v4
	s_ashr_i32 s11, s3, 1
	s_mul_i32 s3, s15, s38
	s_load_b64 s[40:41], s[0:1], 0xa8
	s_sub_co_i32 s3, s36, s3
	v_lshl_add_u32 v3, v2, 3, v3
	v_add3_u32 v79, v5, v7, 64
	v_dual_lshrrev_b32 v5, 3, v72 :: v_dual_mov_b32 v57, 0
	s_ashr_i32 s29, s28, 31
	s_ashr_i32 s14, s26, 2
	s_add_co_i32 s4, s15, 1
	s_sub_co_i32 s26, s3, s38
	s_cmp_ge_u32 s3, s38
	v_lshl_add_u32 v5, v2, 2, v5
	s_cselect_b32 s4, s4, s15
	s_cselect_b32 s3, s26, s3
	v_mul_lo_u32 v58, s14, v3
	s_add_co_i32 s15, s4, 1
	s_cmp_ge_u32 s3, s38
	v_mul_lo_u32 v54, s20, v3
	s_cselect_b32 s3, s15, s4
	v_mul_lo_u32 v62, s14, v5
	s_xor_b32 s3, s3, s21
	v_mul_u32_u24_e32 v7, 0xc0, v3
	v_and_b32_e32 v60, 28, v61
	s_sub_co_i32 s3, s3, s21
	s_mul_u64 s[24:25], s[24:25], s[28:29]
	s_mul_i32 s4, s3, s5
	v_mad_u32 v82, v0, s11, v72
	v_mad_u32_u24 v80, 0x70, v3, v1
	v_dual_ashrrev_i32 v59, 31, v58 :: v_dual_bitop2_b32 v0, v7, v1 bitop3:0x54
	v_lshlrev_b32_e32 v1, 2, v60
	s_add_nc_u64 s[6:7], s[6:7], s[24:25]
	s_ashr_i32 s5, s4, 31
	s_wait_kmcnt 0x0
	s_mul_u64 s[36:37], s[40:41], s[28:29]
	s_add_nc_u64 s[24:25], s[6:7], s[4:5]
	s_movk_i32 s4, 0x180
	s_mul_i32 s26, s3, s27
	v_cmp_gt_u32_e64 s3, 32, v3
	v_mul_u32_u24_e32 v78, 0x70, v72
	v_dual_ashrrev_i32 v53, 31, v52 :: v_dual_ashrrev_i32 v55, 31, v54
	v_mad_u32_u24 v81, v2, s4, 0xe80
	v_lshl_add_u32 v83, v2, 7, 0x1a80
	v_cmp_gt_u32_e64 s4, 16, v3
	v_cmp_gt_u32_e64 s5, 16, v5
	v_dual_mov_b32 v75, 32 :: v_dual_add_nc_u32 v84, 0x80, v0
	v_mad_u32_u24 v85, 0xc0, v5, v1
	v_dual_ashrrev_i32 v63, 31, v62 :: v_dual_lshlrev_b32 v56, 2, v4
	v_dual_mov_b32 v93, 0xfeffffff :: v_dual_lshlrev_b32 v64, 2, v6
	v_dual_mov_b32 v77, v57 :: v_dual_mov_b32 v76, v57
	v_dual_mov_b32 v87, v57 :: v_dual_mov_b32 v86, v57
	;; [unrolled: 1-line block ×3, first 2 shown]
	v_mov_b32_e32 v50, v57
	s_add_nc_u64 s[8:9], s[8:9], s[36:37]
	s_ashr_i32 s27, s26, 31
	s_ashr_i32 s21, s20, 31
	s_add_nc_u64 s[26:27], s[8:9], s[26:27]
	s_ashr_i32 s15, s14, 31
	s_add_nc_u64 s[36:37], s[0:1], 0xd0
.LBB24_11:                              ; =>This Inner Loop Header: Depth=1
	s_ashr_i32 s11, s10, 31
	s_delay_alu instid0(SALU_CYCLE_1) | instskip(NEXT) | instid1(SALU_CYCLE_1)
	s_mul_u64 s[6:7], s[10:11], s[20:21]
	s_lshl_b64 s[6:7], s[6:7], 2
	s_delay_alu instid0(SALU_CYCLE_1) | instskip(NEXT) | instid1(SALU_CYCLE_1)
	s_add_nc_u64 s[6:7], s[24:25], s[6:7]
	v_lshl_add_u64 v[0:1], v[52:53], 2, s[6:7]
	s_and_saveexec_b32 s8, vcc_lo
	s_cbranch_execz .LBB24_13
; %bb.12:                               ;   in Loop: Header=BB24_11 Depth=1
	s_delay_alu instid0(VALU_DEP_1)
	v_add_nc_u64_e32 v[2:3], v[0:1], v[56:57]
	global_load_b128 v[2:5], v[2:3], off offset:64
	s_wait_loadcnt 0x0
	ds_store_b128 v79, v[2:5]
.LBB24_13:                              ;   in Loop: Header=BB24_11 Depth=1
	s_or_b32 exec_lo, exec_lo, s8
	v_lshl_add_u64 v[2:3], v[54:55], 2, s[6:7]
	s_and_saveexec_b32 s6, s3
	s_cbranch_execz .LBB24_15
; %bb.14:                               ;   in Loop: Header=BB24_11 Depth=1
	v_mov_b32_e32 v65, v57
	s_delay_alu instid0(VALU_DEP_1)
	v_add_nc_u64_e32 v[4:5], v[2:3], v[64:65]
	global_load_b128 v[4:7], v[4:5], off
	s_wait_loadcnt 0x0
	ds_store_b128 v80, v[4:7]
.LBB24_15:                              ;   in Loop: Header=BB24_11 Depth=1
	s_or_b32 exec_lo, exec_lo, s6
	s_wait_dscnt 0x0
	s_barrier_signal -1
	s_barrier_wait -1
	ds_load_b128 v[6:9], v78
	ds_load_b128 v[10:13], v81
	ds_load_b128 v[14:17], v81 offset:192
	v_dual_mov_b32 v5, 0 :: v_dual_mov_b32 v4, 0
	s_wait_dscnt 0x1
	;;#ASMSTART
	v_dot2_f32_f16 v5, v6, v10, v5
	;;#ASMEND
	;;#ASMSTART
	v_dot2_f32_f16 v5, v7, v11, v5
	;;#ASMEND
	;;#ASMSTART
	v_dot2_f32_f16 v5, v8, v12, v5
	;;#ASMEND
	;;#ASMSTART
	v_dot2_f32_f16 v5, v9, v13, v5
	;;#ASMEND
	s_wait_dscnt 0x0
	;;#ASMSTART
	v_dot2_f32_f16 v4, v6, v14, v4
	;;#ASMEND
	;;#ASMSTART
	v_dot2_f32_f16 v4, v7, v15, v4
	;;#ASMEND
	;;#ASMSTART
	v_dot2_f32_f16 v4, v8, v16, v4
	;;#ASMEND
	;;#ASMSTART
	v_dot2_f32_f16 v4, v9, v17, v4
	;;#ASMEND
	ds_load_b128 v[6:9], v78 offset:16
	ds_load_b128 v[10:13], v81 offset:16
	ds_load_b128 v[14:17], v81 offset:208
	s_wait_dscnt 0x1
	;;#ASMSTART
	v_dot2_f32_f16 v5, v6, v10, v5
	;;#ASMEND
	;;#ASMSTART
	v_dot2_f32_f16 v5, v7, v11, v5
	;;#ASMEND
	;;#ASMSTART
	v_dot2_f32_f16 v5, v8, v12, v5
	;;#ASMEND
	;;#ASMSTART
	v_dot2_f32_f16 v5, v9, v13, v5
	;;#ASMEND
	s_wait_dscnt 0x0
	;;#ASMSTART
	v_dot2_f32_f16 v4, v6, v14, v4
	;;#ASMEND
	;;#ASMSTART
	v_dot2_f32_f16 v4, v7, v15, v4
	;;#ASMEND
	;;#ASMSTART
	v_dot2_f32_f16 v4, v8, v16, v4
	;;#ASMEND
	;;#ASMSTART
	v_dot2_f32_f16 v4, v9, v17, v4
	;;#ASMEND
	ds_load_b128 v[6:9], v78 offset:32
	ds_load_b128 v[10:13], v81 offset:32
	ds_load_b128 v[14:17], v81 offset:224
	;; [unrolled: 29-line block ×5, first 2 shown]
	s_wait_dscnt 0x1
	;;#ASMSTART
	v_dot2_f32_f16 v5, v6, v10, v5
	;;#ASMEND
	;;#ASMSTART
	v_dot2_f32_f16 v5, v7, v11, v5
	;;#ASMEND
	;;#ASMSTART
	v_dot2_f32_f16 v5, v8, v12, v5
	;;#ASMEND
	;;#ASMSTART
	v_dot2_f32_f16 v5, v9, v13, v5
	;;#ASMEND
	s_wait_dscnt 0x0
	;;#ASMSTART
	v_dot2_f32_f16 v4, v6, v14, v4
	;;#ASMEND
	;;#ASMSTART
	v_dot2_f32_f16 v4, v7, v15, v4
	;;#ASMEND
	;; [unrolled: 3-line block ×4, first 2 shown]
	s_barrier_signal -1
	s_barrier_wait -1
	s_and_saveexec_b32 s6, vcc_lo
	s_cbranch_execz .LBB24_17
; %bb.16:                               ;   in Loop: Header=BB24_11 Depth=1
	v_add_nc_u64_e32 v[0:1], v[0:1], v[56:57]
	global_load_b128 v[6:9], v[0:1], off offset:160
	s_wait_loadcnt 0x0
	ds_store_b128 v79, v[6:9]
.LBB24_17:                              ;   in Loop: Header=BB24_11 Depth=1
	s_or_b32 exec_lo, exec_lo, s6
	s_and_saveexec_b32 s6, s3
	s_cbranch_execz .LBB24_19
; %bb.18:                               ;   in Loop: Header=BB24_11 Depth=1
	v_mov_b32_e32 v65, v57
	s_delay_alu instid0(VALU_DEP_1)
	v_add_nc_u64_e32 v[0:1], v[2:3], v[64:65]
	global_load_b128 v[0:3], v[0:1], off offset:96
	s_wait_loadcnt 0x0
	ds_store_b128 v80, v[0:3]
.LBB24_19:                              ;   in Loop: Header=BB24_11 Depth=1
	s_or_b32 exec_lo, exec_lo, s6
	s_wait_dscnt 0x0
	s_barrier_signal -1
	s_barrier_wait -1
	ds_load_b128 v[0:3], v78
	ds_load_b128 v[6:9], v81 offset:96
	ds_load_b128 v[10:13], v81 offset:288
	v_dual_add_nc_u32 v14, s10, v82 :: v_dual_bitop2_b32 v88, 16, v49 bitop3:0x14
	s_wait_dscnt 0x1
	;;#ASMSTART
	v_dot2_f32_f16 v5, v0, v6, v5
	;;#ASMEND
	;;#ASMSTART
	v_dot2_f32_f16 v5, v1, v7, v5
	;;#ASMEND
	;; [unrolled: 3-line block ×4, first 2 shown]
	s_wait_dscnt 0x0
	;;#ASMSTART
	v_dot2_f32_f16 v4, v0, v10, v4
	;;#ASMEND
	;;#ASMSTART
	v_dot2_f32_f16 v4, v1, v11, v4
	;;#ASMEND
	;; [unrolled: 3-line block ×4, first 2 shown]
	ds_load_b128 v[0:3], v78 offset:16
	ds_load_b128 v[6:9], v81 offset:112
	;; [unrolled: 1-line block ×3, first 2 shown]
	v_cmp_gt_i32_e64 s6, 32, v88
	s_wait_dscnt 0x1
	;;#ASMSTART
	v_dot2_f32_f16 v5, v0, v6, v5
	;;#ASMEND
	;;#ASMSTART
	v_dot2_f32_f16 v5, v1, v7, v5
	;;#ASMEND
	;;#ASMSTART
	v_dot2_f32_f16 v5, v2, v8, v5
	;;#ASMEND
	;;#ASMSTART
	v_dot2_f32_f16 v5, v3, v9, v5
	;;#ASMEND
	s_wait_dscnt 0x0
	;;#ASMSTART
	v_dot2_f32_f16 v4, v0, v10, v4
	;;#ASMEND
	;;#ASMSTART
	v_dot2_f32_f16 v4, v1, v11, v4
	;;#ASMEND
	;;#ASMSTART
	v_dot2_f32_f16 v4, v2, v12, v4
	;;#ASMEND
	;;#ASMSTART
	v_dot2_f32_f16 v4, v3, v13, v4
	;;#ASMEND
	ds_load_b128 v[0:3], v78 offset:32
	ds_load_b128 v[6:9], v81 offset:128
	ds_load_b128 v[10:13], v81 offset:320
	s_wait_dscnt 0x1
	;;#ASMSTART
	v_dot2_f32_f16 v5, v0, v6, v5
	;;#ASMEND
	;;#ASMSTART
	v_dot2_f32_f16 v5, v1, v7, v5
	;;#ASMEND
	;;#ASMSTART
	v_dot2_f32_f16 v5, v2, v8, v5
	;;#ASMEND
	;;#ASMSTART
	v_dot2_f32_f16 v5, v3, v9, v5
	;;#ASMEND
	s_wait_dscnt 0x0
	;;#ASMSTART
	v_dot2_f32_f16 v4, v0, v10, v4
	;;#ASMEND
	;;#ASMSTART
	v_dot2_f32_f16 v4, v1, v11, v4
	;;#ASMEND
	;;#ASMSTART
	v_dot2_f32_f16 v4, v2, v12, v4
	;;#ASMEND
	;;#ASMSTART
	v_dot2_f32_f16 v4, v3, v13, v4
	;;#ASMEND
	ds_load_b128 v[0:3], v78 offset:48
	ds_load_b128 v[6:9], v81 offset:144
	ds_load_b128 v[10:13], v81 offset:336
	;; [unrolled: 29-line block ×4, first 2 shown]
	s_wait_dscnt 0x1
	;;#ASMSTART
	v_dot2_f32_f16 v5, v0, v6, v5
	;;#ASMEND
	;;#ASMSTART
	v_dot2_f32_f16 v5, v1, v7, v5
	;;#ASMEND
	;;#ASMSTART
	v_dot2_f32_f16 v5, v2, v8, v5
	;;#ASMEND
	;;#ASMSTART
	v_dot2_f32_f16 v5, v3, v9, v5
	;;#ASMEND
	s_wait_dscnt 0x0
	;;#ASMSTART
	v_dot2_f32_f16 v4, v0, v10, v4
	;;#ASMEND
	;;#ASMSTART
	v_dot2_f32_f16 v4, v1, v11, v4
	;;#ASMEND
	;; [unrolled: 3-line block ×4, first 2 shown]
	global_load_u16 v0, v14, s[34:35] scale_offset
	v_max_num_f32_e32 v2, v93, v93
	v_dual_cndmask_b32 v3, v49, v88, s6 :: v_dual_bitop2_b32 v89, 8, v49 bitop3:0x14
	s_wait_loadcnt 0x0
	s_barrier_signal -1
	s_barrier_wait -1
	s_delay_alu instid0(VALU_DEP_1) | instskip(SKIP_2) | instid1(VALU_DEP_1)
	v_cmp_gt_i32_e64 s6, 32, v89
	v_dual_lshlrev_b32 v3, 2, v3 :: v_dual_bitop2_b32 v90, 4, v49 bitop3:0x14
	v_cvt_f32_f16_e32 v0, v0
	v_dual_add_f32 v1, v5, v0 :: v_dual_add_f32 v0, v4, v0
	s_delay_alu instid0(VALU_DEP_1) | instskip(NEXT) | instid1(VALU_DEP_2)
	v_dual_max_num_f32 v5, v94, v94 :: v_dual_add_f32 v4, 0x40051340, v1
	v_add_f32_e32 v6, 0x40051340, v0
	s_delay_alu instid0(VALU_DEP_1)
	v_dual_max_num_f32 v2, v2, v4 :: v_dual_max_num_f32 v4, v5, v6
	ds_bpermute_b32 v5, v3, v2
	ds_bpermute_b32 v3, v3, v4
	v_cndmask_b32_e64 v6, v49, v89, s6
	v_cmp_gt_i32_e64 s6, 32, v90
	s_wait_dscnt 0x0
	v_dual_max_num_f32 v5, v5, v5 :: v_dual_max_num_f32 v3, v3, v3
	s_delay_alu instid0(VALU_DEP_1) | instskip(NEXT) | instid1(VALU_DEP_2)
	v_dual_lshlrev_b32 v6, 2, v6 :: v_dual_max_num_f32 v2, v2, v5
	v_max_num_f32_e32 v3, v4, v3
	ds_bpermute_b32 v4, v6, v2
	ds_bpermute_b32 v5, v6, v3
	s_wait_dscnt 0x1
	v_dual_cndmask_b32 v6, v49, v90, s6 :: v_dual_max_num_f32 v4, v4, v4
	s_wait_dscnt 0x0
	s_delay_alu instid0(VALU_DEP_1) | instskip(NEXT) | instid1(VALU_DEP_1)
	v_dual_max_num_f32 v5, v5, v5 :: v_dual_lshlrev_b32 v6, 2, v6
	v_dual_max_num_f32 v2, v2, v4 :: v_dual_max_num_f32 v3, v3, v5
	ds_bpermute_b32 v4, v6, v2
	ds_bpermute_b32 v5, v6, v3
	s_wait_dscnt 0x1
	v_dual_max_num_f32 v4, v4, v4 :: v_dual_bitop2_b32 v91, 2, v49 bitop3:0x14
	s_delay_alu instid0(VALU_DEP_1) | instskip(NEXT) | instid1(VALU_DEP_1)
	v_cmp_gt_i32_e64 s6, 32, v91
	v_dual_max_num_f32 v2, v2, v4 :: v_dual_cndmask_b32 v6, v49, v91, s6
	s_wait_dscnt 0x0
	s_delay_alu instid0(VALU_DEP_1) | instskip(SKIP_3) | instid1(VALU_DEP_1)
	v_dual_max_num_f32 v5, v5, v5 :: v_dual_lshlrev_b32 v6, 2, v6
	ds_bpermute_b32 v4, v6, v2
	s_wait_dscnt 0x0
	v_dual_max_num_f32 v4, v4, v4 :: v_dual_bitop2_b32 v92, 1, v49 bitop3:0x14
	v_cmp_gt_i32_e64 s6, 32, v92
	v_max_num_f32_e32 v3, v3, v5
	ds_bpermute_b32 v5, v6, v3
	v_cndmask_b32_e64 v6, v49, v92, s6
	s_wait_dscnt 0x0
	s_delay_alu instid0(VALU_DEP_1) | instskip(NEXT) | instid1(VALU_DEP_1)
	v_dual_max_num_f32 v5, v5, v5 :: v_dual_lshlrev_b32 v6, 2, v6
	v_dual_max_num_f32 v2, v2, v4 :: v_dual_max_num_f32 v3, v3, v5
	ds_bpermute_b32 v4, v6, v2
	ds_bpermute_b32 v5, v6, v3
	s_wait_dscnt 0x0
	v_dual_max_num_f32 v4, v4, v4 :: v_dual_max_num_f32 v5, v5, v5
	s_delay_alu instid0(VALU_DEP_1) | instskip(NEXT) | instid1(VALU_DEP_1)
	v_dual_max_num_f32 v66, v2, v4 :: v_dual_max_num_f32 v67, v3, v5
	v_dual_sub_f32 v1, v1, v66 :: v_dual_sub_f32 v0, v0, v67
	s_delay_alu instid0(VALU_DEP_1) | instskip(SKIP_1) | instid1(VALU_DEP_3)
	v_mul_f32_e32 v2, 0x3fb8aa3b, v1
	v_cmp_ngt_f32_e64 s6, 0xc2ce8ed0, v1
	v_mul_f32_e32 v3, 0x3fb8aa3b, v0
	s_delay_alu instid0(VALU_DEP_3) | instskip(SKIP_1) | instid1(VALU_DEP_3)
	v_fma_f32 v4, 0x3fb8aa3b, v1, -v2
	v_rndne_f32_e32 v5, v2
	v_fma_f32 v6, 0x3fb8aa3b, v0, -v3
	v_rndne_f32_e32 v7, v3
	s_delay_alu instid0(VALU_DEP_4) | instskip(NEXT) | instid1(VALU_DEP_2)
	v_fmac_f32_e32 v4, 0x32a5705f, v1
	v_dual_fmac_f32 v6, 0x32a5705f, v0 :: v_dual_sub_f32 v3, v3, v7
	s_delay_alu instid0(VALU_DEP_1) | instskip(NEXT) | instid1(VALU_DEP_1)
	v_dual_sub_f32 v2, v2, v5 :: v_dual_add_f32 v3, v3, v6
	v_add_f32_e32 v2, v2, v4
	v_cvt_i32_f32_e32 v4, v5
	v_cvt_i32_f32_e32 v5, v7
	s_delay_alu instid0(VALU_DEP_4) | instskip(NEXT) | instid1(VALU_DEP_3)
	v_exp_f32_e32 v3, v3
	v_exp_f32_e32 v2, v2
	s_delay_alu instid0(TRANS32_DEP_2) | instskip(NEXT) | instid1(TRANS32_DEP_1)
	v_ldexp_f32 v3, v3, v5
	v_ldexp_f32 v2, v2, v4
	s_delay_alu instid0(VALU_DEP_1) | instskip(SKIP_1) | instid1(VALU_DEP_1)
	v_cndmask_b32_e64 v2, 0, v2, s6
	v_cmp_ngt_f32_e64 s6, 0xc2ce8ed0, v0
	v_cndmask_b32_e64 v3, 0, v3, s6
	v_cmp_nlt_f32_e64 s6, 0x42b17218, v1
	s_delay_alu instid0(VALU_DEP_1) | instskip(SKIP_2) | instid1(VALU_DEP_2)
	v_cndmask_b32_e64 v68, 0x7f800000, v2, s6
	v_cmp_nlt_f32_e64 s6, 0x42b17218, v0
	v_add_nc_u32_e32 v0, v83, v61
	v_cndmask_b32_e64 v69, 0x7f800000, v3, s6
	s_mul_u64 s[6:7], s[10:11], s[14:15]
	s_delay_alu instid0(SALU_CYCLE_1) | instskip(NEXT) | instid1(VALU_DEP_1)
	s_lshl_b64 s[6:7], s[6:7], 2
	v_cvt_pk_f16_f32 v1, v68, v69
	s_add_nc_u64 s[6:7], s[26:27], s[6:7]
	ds_store_b32 v0, v1
	s_wait_xcnt 0x0
	s_and_saveexec_b32 s8, s4
	s_cbranch_execz .LBB24_21
; %bb.20:                               ;   in Loop: Header=BB24_11 Depth=1
	v_lshl_add_u64 v[0:1], v[58:59], 2, s[6:7]
	v_mov_b32_e32 v65, v57
	s_delay_alu instid0(VALU_DEP_1)
	v_add_nc_u64_e32 v[0:1], v[0:1], v[64:65]
	global_load_b128 v[0:3], v[0:1], off offset:128
	s_wait_loadcnt 0x0
	ds_store_b128 v84, v[0:3]
.LBB24_21:                              ;   in Loop: Header=BB24_11 Depth=1
	s_or_b32 exec_lo, exec_lo, s8
	v_lshlrev_b32_e32 v70, 2, v60
	s_and_saveexec_b32 s8, s5
	s_cbranch_execz .LBB24_23
; %bb.22:                               ;   in Loop: Header=BB24_11 Depth=1
	v_lshl_add_u64 v[0:1], v[62:63], 2, s[6:7]
	v_mov_b32_e32 v71, v57
	s_delay_alu instid0(VALU_DEP_1)
	v_add_nc_u64_e32 v[0:1], v[0:1], v[70:71]
	global_load_b128 v[0:3], v[0:1], off
	s_wait_loadcnt 0x0
	ds_store_b128 v85, v[0:3]
.LBB24_23:                              ;   in Loop: Header=BB24_11 Depth=1
	s_or_b32 exec_lo, exec_lo, s8
	v_add_nc_u32_e32 v96, 0x400, v74
	v_add_nc_u32_e32 v95, 0x800, v74
	s_wait_dscnt 0x0
	s_barrier_signal -1
	s_barrier_wait -1
	ds_load_2addr_b64 v[28:31], v74 offset1:24
	ds_load_b128 v[44:47], v83
	ds_load_b128 v[40:43], v83 offset:16
	ds_load_b128 v[36:39], v83 offset:32
	ds_load_b128 v[0:3], v83 offset:48
	ds_load_2addr_b64 v[24:27], v74 offset0:48 offset1:72
	v_dual_sub_f32 v97, v93, v66 :: v_dual_sub_f32 v93, v94, v67
	ds_load_2addr_b64 v[32:35], v74 offset0:96 offset1:120
	ds_load_2addr_b64 v[20:23], v74 offset0:144 offset1:168
	;; [unrolled: 1-line block ×6, first 2 shown]
	s_or_b32 s38, s10, 16
	s_wait_dscnt 0x0
	s_ashr_i32 s39, s38, 31
	v_cmp_ngt_f32_e64 s7, 0xc2ce8ed0, v97
	s_mul_u64 s[38:39], s[38:39], s[14:15]
	v_cmp_nlt_f32_e64 s6, 0x42b17218, v97
	v_cmp_ngt_f32_e64 s8, 0xc2ce8ed0, v93
	v_cmp_nlt_f32_e64 s9, 0x42b17218, v93
	s_lshl_b64 s[38:39], s[38:39], 2
	s_barrier_signal -1
	s_add_nc_u64 s[38:39], s[26:27], s[38:39]
	s_barrier_wait -1
	s_and_saveexec_b32 s11, s4
	s_cbranch_execz .LBB24_25
; %bb.24:                               ;   in Loop: Header=BB24_11 Depth=1
	v_lshl_add_u64 v[98:99], v[58:59], 2, s[38:39]
	v_mov_b32_e32 v65, v57
	s_delay_alu instid0(VALU_DEP_1)
	v_add_nc_u64_e32 v[98:99], v[98:99], v[64:65]
	global_load_b128 v[98:101], v[98:99], off offset:128
	s_wait_loadcnt 0x0
	ds_store_b128 v84, v[98:101]
.LBB24_25:                              ;   in Loop: Header=BB24_11 Depth=1
	s_or_b32 exec_lo, exec_lo, s11
	s_and_saveexec_b32 s11, s5
	s_cbranch_execz .LBB24_27
; %bb.26:                               ;   in Loop: Header=BB24_11 Depth=1
	v_lshl_add_u64 v[98:99], v[62:63], 2, s[38:39]
	v_mov_b32_e32 v71, v57
	s_delay_alu instid0(VALU_DEP_1)
	v_add_nc_u64_e32 v[70:71], v[98:99], v[70:71]
	global_load_b128 v[98:101], v[70:71], off
	s_wait_loadcnt 0x0
	ds_store_b128 v85, v[98:101]
.LBB24_27:                              ;   in Loop: Header=BB24_11 Depth=1
	s_or_b32 exec_lo, exec_lo, s11
	v_dual_mul_f32 v65, 0x3fb8aa3b, v97 :: v_dual_lshrrev_b32 v100, 16, v44
	v_and_b32_e32 v101, 0xffff, v40
	v_and_b32_e32 v103, 0xffff, v43
	;; [unrolled: 1-line block ×3, first 2 shown]
	s_delay_alu instid0(VALU_DEP_4)
	v_rndne_f32_e32 v94, v65
	v_mul_f32_e32 v70, 0x3fb8aa3b, v93
	v_fma_f32 v71, 0x3fb8aa3b, v97, -v65
	v_mul_u32_u24_e32 v101, 0x10001, v101
	v_mul_u32_u24_e32 v44, 0x10001, v44
	v_sub_f32_e32 v65, v65, v94
	v_fma_f32 v98, 0x3fb8aa3b, v93, -v70
	v_rndne_f32_e32 v99, v70
	v_fmac_f32_e32 v71, 0x32a5705f, v97
	v_cvt_i32_f32_e32 v94, v94
	v_pk_mul_f16 v109, v28, v44
	v_lshrrev_b32_e32 v97, 16, v47
	v_sub_f32_e32 v70, v70, v99
	v_dual_fmac_f32 v98, 0x32a5705f, v93 :: v_dual_add_f32 v65, v65, v71
	v_lshrrev_b32_e32 v93, 16, v45
	v_and_b32_e32 v45, 0xffff, v45
	v_lshrrev_b32_e32 v71, 16, v46
	s_delay_alu instid0(VALU_DEP_4)
	v_add_f32_e32 v70, v70, v98
	v_exp_f32_e32 v65, v65
	v_cvt_i32_f32_e32 v98, v99
	v_lshrrev_b32_e32 v99, 16, v40
	v_and_b32_e32 v46, 0xffff, v46
	v_exp_f32_e32 v70, v70
	v_mul_u32_u24_e32 v45, 0x10001, v45
	v_mul_u32_u24_e32 v93, 0x10001, v93
	v_ldexp_f32 v40, v65, v94
	v_and_b32_e32 v94, 0xffff, v41
	v_and_b32_e32 v47, 0xffff, v47
	v_mul_u32_u24_e32 v46, 0x10001, v46
	v_ldexp_f32 v65, v70, v98
	v_dual_lshrrev_b32 v70, 16, v41 :: v_dual_lshrrev_b32 v98, 16, v42
	v_dual_cndmask_b32 v40, 0, v40, s7 :: v_dual_lshrrev_b32 v43, 16, v43
	s_delay_alu instid0(VALU_DEP_3) | instskip(SKIP_2) | instid1(VALU_DEP_4)
	v_cndmask_b32_e64 v41, 0, v65, s8
	v_mul_u32_u24_e32 v65, 0x10001, v100
	v_mul_u32_u24_e32 v71, 0x10001, v71
	v_cndmask_b32_e64 v40, 0x7f800000, v40, s6
	v_mul_u32_u24_e32 v47, 0x10001, v47
	v_cndmask_b32_e64 v41, 0x7f800000, v41, s9
	v_pk_mul_f16 v28, v28, v65
	v_mul_u32_u24_e32 v97, 0x10001, v97
	v_cvt_f16_f32_e32 v100, v40
	v_mul_u32_u24_e32 v99, 0x10001, v99
	v_cvt_f16_f32_e32 v102, v41
	v_and_b32_e32 v42, 0xffff, v42
	v_mul_u32_u24_e32 v94, 0x10001, v94
	v_and_b32_e32 v100, 0xffff, v100
	v_mul_u32_u24_e32 v70, 0x10001, v70
	;; [unrolled: 2-line block ×3, first 2 shown]
	v_mul_u32_u24_e32 v98, 0x10001, v98
	v_mul_u32_u24_e32 v100, 0x10001, v100
	v_and_b32_e32 v104, 0xffff, v36
	v_mul_u32_u24_e32 v102, 0x10001, v102
	v_lshrrev_b32_e32 v36, 16, v36
	v_mul_u32_u24_e32 v103, 0x10001, v103
	v_pk_mul_f16 v87, v87, v100
	v_pk_fma_f16 v86, v86, v100, v109
	v_pk_mul_f16 v77, v77, v102
	v_pk_fma_f16 v28, v76, v102, v28
	v_mul_u32_u24_e32 v43, 0x10001, v43
	v_pk_fma_f16 v44, v29, v44, v87
	v_and_b32_e32 v105, 0xffff, v37
	v_pk_fma_f16 v29, v29, v65, v77
	v_pk_fma_f16 v65, v30, v45, v86
	;; [unrolled: 1-line block ×4, first 2 shown]
	v_mul_u32_u24_e32 v104, 0x10001, v104
	v_pk_fma_f16 v29, v31, v93, v29
	v_pk_fma_f16 v31, v24, v46, v65
	v_pk_fma_f16 v24, v24, v71, v28
	v_pk_fma_f16 v28, v25, v46, v30
	v_lshrrev_b32_e32 v37, 16, v37
	v_pk_fma_f16 v25, v25, v71, v29
	v_pk_fma_f16 v29, v26, v47, v31
	;; [unrolled: 1-line block ×4, first 2 shown]
	v_mul_u32_u24_e32 v36, 0x10001, v36
	v_pk_fma_f16 v25, v27, v97, v25
	v_pk_fma_f16 v27, v32, v101, v29
	;; [unrolled: 1-line block ×4, first 2 shown]
	v_mul_u32_u24_e32 v105, 0x10001, v105
	v_pk_fma_f16 v25, v33, v99, v25
	v_pk_fma_f16 v27, v34, v94, v27
	;; [unrolled: 1-line block ×4, first 2 shown]
	v_and_b32_e32 v106, 0xffff, v38
	v_pk_fma_f16 v25, v35, v70, v25
	v_pk_fma_f16 v27, v20, v42, v27
	;; [unrolled: 1-line block ×4, first 2 shown]
	v_lshrrev_b32_e32 v26, 16, v2
	v_pk_fma_f16 v21, v21, v98, v25
	v_pk_fma_f16 v25, v22, v103, v27
	;; [unrolled: 1-line block ×4, first 2 shown]
	v_and_b32_e32 v2, 0xffff, v2
	v_pk_fma_f16 v21, v23, v43, v21
	v_lshrrev_b32_e32 v38, 16, v38
	v_mul_u32_u24_e32 v37, 0x10001, v37
	v_pk_fma_f16 v23, v16, v104, v25
	v_pk_fma_f16 v16, v16, v36, v20
	;; [unrolled: 1-line block ×3, first 2 shown]
	v_mul_u32_u24_e32 v22, 0x10001, v2
	v_pk_fma_f16 v2, v17, v36, v21
	v_and_b32_e32 v107, 0xffff, v39
	v_lshrrev_b32_e32 v39, 16, v39
	v_mul_u32_u24_e32 v106, 0x10001, v106
	v_mul_u32_u24_e32 v38, 0x10001, v38
	v_pk_fma_f16 v17, v18, v105, v23
	v_pk_fma_f16 v16, v18, v37, v16
	;; [unrolled: 1-line block ×4, first 2 shown]
	v_mul_u32_u24_e32 v107, 0x10001, v107
	v_mul_u32_u24_e32 v39, 0x10001, v39
	v_dual_lshrrev_b32 v108, 16, v0 :: v_dual_lshrrev_b32 v30, 16, v1
	v_and_b32_e32 v0, 0xffff, v0
	v_pk_fma_f16 v17, v12, v106, v17
	v_pk_fma_f16 v12, v12, v38, v16
	v_pk_fma_f16 v16, v13, v106, v18
	v_pk_fma_f16 v2, v13, v38, v2
	v_mul_u32_u24_e32 v0, 0x10001, v0
	v_mul_u32_u24_e32 v44, 0x10001, v108
	v_and_b32_e32 v1, 0xffff, v1
	v_pk_fma_f16 v13, v14, v107, v17
	v_pk_fma_f16 v12, v14, v39, v12
	;; [unrolled: 1-line block ×3, first 2 shown]
	s_wait_dscnt 0x0
	s_barrier_signal -1
	s_barrier_wait -1
	ds_load_b128 v[16:19], v83 offset:64
	v_pk_fma_f16 v2, v15, v39, v2
	v_mul_u32_u24_e32 v1, 0x10001, v1
	v_mul_u32_u24_e32 v28, 0x10001, v30
	v_lshrrev_b32_e32 v21, 16, v3
	v_and_b32_e32 v3, 0xffff, v3
	v_pk_fma_f16 v13, v8, v0, v13
	v_pk_fma_f16 v8, v8, v44, v12
	;; [unrolled: 1-line block ×4, first 2 shown]
	v_mul_u32_u24_e32 v12, 0x10001, v3
	v_pk_fma_f16 v9, v10, v1, v13
	v_pk_fma_f16 v8, v10, v28, v8
	v_pk_fma_f16 v10, v11, v1, v0
	v_pk_fma_f16 v11, v11, v28, v2
	ds_load_2addr_b64 v[0:3], v74 offset1:24
	v_mul_u32_u24_e32 v20, 0x10001, v26
	v_pk_fma_f16 v9, v4, v22, v9
	v_mul_u32_u24_e32 v13, 0x10001, v21
	v_pk_fma_f16 v14, v5, v22, v10
	v_pk_fma_f32 v[50:51], v[50:51], v[40:41], v[68:69]
	v_pk_fma_f16 v4, v4, v20, v8
	v_pk_fma_f16 v5, v5, v20, v11
	;; [unrolled: 1-line block ×3, first 2 shown]
	ds_load_b128 v[8:11], v83 offset:80
	s_wait_dscnt 0x2
	v_and_b32_e32 v15, 0xffff, v16
	v_lshrrev_b32_e32 v16, 16, v16
	v_pk_fma_f16 v25, v6, v13, v4
	v_pk_fma_f16 v26, v7, v12, v14
	;; [unrolled: 1-line block ×3, first 2 shown]
	v_mul_u32_u24_e32 v28, 0x10001, v15
	v_and_b32_e32 v29, 0xffff, v17
	v_lshrrev_b32_e32 v17, 16, v17
	v_mul_u32_u24_e32 v16, 0x10001, v16
	ds_load_2addr_b64 v[4:7], v74 offset0:48 offset1:72
	ds_load_b128 v[12:15], v83 offset:96
	ds_load_b128 v[20:23], v83 offset:112
	s_wait_dscnt 0x4
	v_pk_fma_f16 v24, v0, v28, v24
	v_mul_u32_u24_e32 v29, 0x10001, v29
	v_mul_u32_u24_e32 v17, 0x10001, v17
	v_pk_fma_f16 v0, v0, v16, v25
	v_pk_fma_f16 v25, v1, v28, v26
	;; [unrolled: 1-line block ×4, first 2 shown]
	v_and_b32_e32 v24, 0xffff, v18
	v_lshrrev_b32_e32 v18, 16, v18
	v_pk_fma_f16 v26, v2, v17, v0
	v_pk_fma_f16 v25, v3, v29, v25
	;; [unrolled: 1-line block ×3, first 2 shown]
	ds_load_2addr_b64 v[0:3], v74 offset0:96 offset1:120
	v_mul_u32_u24_e32 v24, 0x10001, v24
	v_and_b32_e32 v27, 0xffff, v19
	v_lshrrev_b32_e32 v19, 16, v19
	v_mul_u32_u24_e32 v18, 0x10001, v18
	s_wait_dscnt 0x3
	v_pk_fma_f16 v16, v4, v24, v16
	v_pk_fma_f16 v24, v5, v24, v25
	v_mul_u32_u24_e32 v25, 0x10001, v27
	v_pk_fma_f16 v4, v4, v18, v26
	v_mul_u32_u24_e32 v26, 0x10001, v19
	v_pk_fma_f16 v5, v5, v18, v17
	v_and_b32_e32 v17, 0xffff, v8
	v_lshrrev_b32_e32 v8, 16, v8
	v_pk_fma_f16 v27, v6, v25, v16
	v_pk_fma_f16 v4, v6, v26, v4
	;; [unrolled: 1-line block ×3, first 2 shown]
	v_mul_u32_u24_e32 v24, 0x10001, v17
	v_and_b32_e32 v25, 0xffff, v9
	ds_load_2addr_b64 v[16:19], v74 offset0:144 offset1:168
	v_pk_fma_f16 v5, v7, v26, v5
	v_lshrrev_b32_e32 v7, 16, v9
	v_mul_u32_u24_e32 v8, 0x10001, v8
	s_wait_dscnt 0x1
	v_pk_fma_f16 v9, v0, v24, v27
	v_mul_u32_u24_e32 v25, 0x10001, v25
	s_delay_alu instid0(VALU_DEP_3)
	v_pk_fma_f16 v0, v0, v8, v4
	v_pk_fma_f16 v4, v1, v24, v6
	v_mul_u32_u24_e32 v6, 0x10001, v7
	v_pk_fma_f16 v1, v1, v8, v5
	v_pk_fma_f16 v5, v2, v25, v9
	v_and_b32_e32 v7, 0xffff, v10
	v_lshrrev_b32_e32 v8, 16, v10
	v_pk_fma_f16 v9, v2, v6, v0
	v_pk_fma_f16 v4, v3, v25, v4
	;; [unrolled: 1-line block ×3, first 2 shown]
	ds_load_2addr_b64 v[0:3], v74 offset0:192 offset1:216
	v_mul_u32_u24_e32 v7, 0x10001, v7
	v_and_b32_e32 v10, 0xffff, v11
	v_lshrrev_b32_e32 v11, 16, v11
	v_mul_u32_u24_e32 v8, 0x10001, v8
	s_wait_dscnt 0x1
	v_pk_fma_f16 v5, v16, v7, v5
	v_pk_fma_f16 v4, v17, v7, v4
	v_mul_u32_u24_e32 v7, 0x10001, v10
	v_pk_fma_f16 v9, v16, v8, v9
	v_mul_u32_u24_e32 v10, 0x10001, v11
	v_pk_fma_f16 v8, v17, v8, v6
	v_and_b32_e32 v6, 0xffff, v12
	v_lshrrev_b32_e32 v11, 16, v12
	v_pk_fma_f16 v12, v18, v7, v5
	v_pk_fma_f16 v9, v18, v10, v9
	;; [unrolled: 1-line block ×3, first 2 shown]
	v_mul_u32_u24_e32 v17, 0x10001, v6
	v_and_b32_e32 v18, 0xffff, v13
	ds_load_2addr_b64 v[4:7], v96 offset0:112 offset1:136
	v_pk_fma_f16 v8, v19, v10, v8
	v_lshrrev_b32_e32 v10, 16, v13
	v_mul_u32_u24_e32 v11, 0x10001, v11
	s_wait_dscnt 0x1
	v_pk_fma_f16 v12, v0, v17, v12
	v_pk_fma_f16 v13, v1, v17, v16
	v_mul_u32_u24_e32 v16, 0x10001, v10
	v_pk_fma_f16 v0, v0, v11, v9
	v_mul_u32_u24_e32 v9, 0x10001, v18
	v_pk_fma_f16 v1, v1, v11, v8
	v_and_b32_e32 v8, 0xffff, v14
	v_lshrrev_b32_e32 v14, 16, v14
	v_pk_fma_f16 v0, v2, v16, v0
	v_pk_fma_f16 v12, v2, v9, v12
	v_pk_fma_f16 v2, v3, v9, v13
	v_mul_u32_u24_e32 v13, 0x10001, v8
	ds_load_2addr_b64 v[8:11], v95 offset0:32 offset1:56
	v_pk_fma_f16 v1, v3, v16, v1
	v_and_b32_e32 v3, 0xffff, v15
	v_lshrrev_b32_e32 v15, 16, v15
	v_mul_u32_u24_e32 v14, 0x10001, v14
	s_wait_dscnt 0x1
	v_pk_fma_f16 v12, v4, v13, v12
	v_pk_fma_f16 v2, v5, v13, v2
	v_mul_u32_u24_e32 v3, 0x10001, v3
	v_and_b32_e32 v13, 0xffff, v20
	v_pk_fma_f16 v0, v4, v14, v0
	v_mul_u32_u24_e32 v4, 0x10001, v15
	v_lshrrev_b32_e32 v15, 16, v20
	v_pk_fma_f16 v1, v5, v14, v1
	v_pk_fma_f16 v5, v6, v3, v12
	v_lshrrev_b32_e32 v14, 16, v21
	v_pk_fma_f16 v0, v6, v4, v0
	v_mul_u32_u24_e32 v12, 0x10001, v15
	v_mul_u32_u24_e32 v6, 0x10001, v13
	v_pk_fma_f16 v13, v7, v3, v2
	v_pk_fma_f16 v4, v7, v4, v1
	s_wait_dscnt 0x0
	v_pk_fma_f16 v7, v8, v12, v0
	ds_load_2addr_b64 v[0:3], v95 offset0:80 offset1:104
	s_wait_dscnt 0x0
	s_barrier_signal -1
	s_barrier_wait -1
	s_load_b32 s6, s[36:37], 0x4
	v_pk_fma_f16 v5, v8, v6, v5
	v_and_b32_e32 v8, 0xffff, v21
	v_pk_fma_f16 v6, v9, v6, v13
	v_pk_fma_f16 v4, v9, v12, v4
	v_mul_u32_u24_e32 v9, 0x10001, v14
	v_and_b32_e32 v12, 0xffff, v22
	v_mul_u32_u24_e32 v8, 0x10001, v8
	v_lshrrev_b32_e32 v13, 16, v22
	s_delay_alu instid0(VALU_DEP_4) | instskip(SKIP_1) | instid1(VALU_DEP_4)
	v_pk_fma_f16 v7, v10, v9, v7
	v_pk_fma_f16 v4, v11, v9, v4
	;; [unrolled: 1-line block ×4, first 2 shown]
	v_mul_u32_u24_e32 v8, 0x10001, v12
	v_mul_u32_u24_e32 v10, 0x10001, v13
	v_and_b32_e32 v12, 0xffff, v23
	v_lshrrev_b32_e32 v13, 16, v23
	s_delay_alu instid0(VALU_DEP_4) | instskip(NEXT) | instid1(VALU_DEP_4)
	v_pk_fma_f16 v5, v0, v8, v5
	v_pk_fma_f16 v0, v0, v10, v7
	s_delay_alu instid0(VALU_DEP_4) | instskip(NEXT) | instid1(VALU_DEP_4)
	v_mul_u32_u24_e32 v7, 0x10001, v12
	v_mul_u32_u24_e32 v9, 0x10001, v13
	v_pk_fma_f16 v6, v1, v8, v6
	v_pk_fma_f16 v1, v1, v10, v4
	s_wait_kmcnt 0x0
	s_lshl_b32 s6, s6, 5
	v_pk_fma_f16 v86, v2, v7, v5
	v_pk_fma_f16 v76, v2, v9, v0
	;; [unrolled: 1-line block ×4, first 2 shown]
	s_add_co_i32 s10, s6, s10
	s_delay_alu instid0(SALU_CYCLE_1)
	s_cmp_ge_i32 s10, s30
	s_cbranch_scc1 .LBB24_29
; %bb.28:                               ;   in Loop: Header=BB24_11 Depth=1
	v_dual_mov_b32 v93, v66 :: v_dual_mov_b32 v94, v67
	s_branch .LBB24_11
.LBB24_29:
	v_mov_b32_e32 v1, v49
.LBB24_30:
	v_cmp_lt_i32_e32 vcc_lo, v88, v75
	s_cmp_lg_u64 s[12:13], 0
	s_cselect_b32 s3, -1, 0
	s_cmp_eq_u32 s33, 0
	v_cndmask_b32_e32 v0, v1, v88, vcc_lo
	v_cmp_lt_i32_e32 vcc_lo, v89, v75
	s_cselect_b32 s4, -1, 0
	s_delay_alu instid0(SALU_CYCLE_1) | instskip(NEXT) | instid1(VALU_DEP_2)
	s_and_b32 s3, s4, s3
	v_lshlrev_b32_e32 v0, 2, v0
	ds_bpermute_b32 v2, v0, v50
	ds_bpermute_b32 v3, v0, v51
	v_cndmask_b32_e32 v0, v1, v89, vcc_lo
	v_cmp_lt_i32_e32 vcc_lo, v90, v75
	s_delay_alu instid0(VALU_DEP_2)
	v_lshlrev_b32_e32 v0, 2, v0
	s_wait_dscnt 0x0
	v_pk_add_f32 v[2:3], v[50:51], v[2:3]
	ds_bpermute_b32 v4, v0, v2
	ds_bpermute_b32 v5, v0, v3
	v_cndmask_b32_e32 v0, v1, v90, vcc_lo
	v_cmp_lt_i32_e32 vcc_lo, v91, v75
	s_delay_alu instid0(VALU_DEP_2)
	v_lshlrev_b32_e32 v0, 2, v0
	s_wait_dscnt 0x0
	v_pk_add_f32 v[2:3], v[2:3], v[4:5]
	;; [unrolled: 8-line block ×3, first 2 shown]
	ds_bpermute_b32 v4, v0, v2
	ds_bpermute_b32 v5, v0, v3
	v_cndmask_b32_e32 v0, v1, v92, vcc_lo
	s_and_b32 vcc_lo, exec_lo, s3
	s_delay_alu instid0(VALU_DEP_1)
	v_lshlrev_b32_e32 v6, 2, v0
	s_wait_dscnt 0x0
	v_pk_add_f32 v[0:1], v[2:3], v[4:5]
	ds_bpermute_b32 v2, v6, v0
	ds_bpermute_b32 v3, v6, v1
	s_wait_dscnt 0x0
	v_pk_add_f32 v[0:1], v[0:1], v[2:3]
	s_cbranch_vccz .LBB24_32
; %bb.31:
	v_dual_add_nc_u32 v2, s31, v48 :: v_dual_max_num_f32 v4, v66, v66
	s_delay_alu instid0(VALU_DEP_1) | instskip(NEXT) | instid1(VALU_DEP_1)
	v_ashrrev_i32_e32 v3, 31, v2
	v_lshl_add_u64 v[2:3], v[2:3], 2, s[12:13]
	global_load_b64 v[2:3], v[2:3], off
	s_wait_loadcnt 0x0
	v_dual_max_num_f32 v5, v2, v2 :: v_dual_max_num_f32 v6, v67, v67
	s_delay_alu instid0(VALU_DEP_1) | instskip(NEXT) | instid1(VALU_DEP_1)
	v_dual_max_num_f32 v4, v4, v5 :: v_dual_max_num_f32 v7, v3, v3
	v_max_num_f32_e32 v5, v6, v7
	s_delay_alu instid0(VALU_DEP_2) | instskip(NEXT) | instid1(VALU_DEP_1)
	v_sub_f32_e32 v6, v66, v4
	v_dual_sub_f32 v7, v2, v4 :: v_dual_mul_f32 v2, 0x3fb8aa3b, v6
	s_delay_alu instid0(VALU_DEP_3)
	v_sub_f32_e32 v8, v67, v5
	v_sub_f32_e32 v9, v3, v5
	v_cmp_ngt_f32_e32 vcc_lo, 0xc2ce8ed0, v6
	v_mov_b64_e32 v[66:67], v[4:5]
	v_rndne_f32_e32 v13, v2
	v_mul_f32_e32 v3, 0x3fb8aa3b, v7
	v_fma_f32 v12, 0x3fb8aa3b, v6, -v2
	v_mul_f32_e32 v10, 0x3fb8aa3b, v8
	s_delay_alu instid0(VALU_DEP_4) | instskip(NEXT) | instid1(VALU_DEP_4)
	v_sub_f32_e32 v2, v2, v13
	v_rndne_f32_e32 v15, v3
	v_fma_f32 v14, 0x3fb8aa3b, v7, -v3
	v_fmac_f32_e32 v12, 0x32a5705f, v6
	v_fma_f32 v16, 0x3fb8aa3b, v8, -v10
	v_rndne_f32_e32 v17, v10
	v_sub_f32_e32 v3, v3, v15
	s_delay_alu instid0(VALU_DEP_4) | instskip(SKIP_2) | instid1(VALU_DEP_3)
	v_dual_mul_f32 v11, 0x3fb8aa3b, v9 :: v_dual_add_f32 v2, v2, v12
	v_cvt_i32_f32_e32 v13, v13
	v_cvt_i32_f32_e32 v12, v15
	v_fma_f32 v18, 0x3fb8aa3b, v9, -v11
	v_rndne_f32_e32 v19, v11
	v_fmac_f32_e32 v16, 0x32a5705f, v8
	v_exp_f32_e32 v2, v2
	s_delay_alu instid0(VALU_DEP_2) | instskip(SKIP_2) | instid1(TRANS32_DEP_1)
	v_dual_fmac_f32 v18, 0x32a5705f, v9 :: v_dual_sub_f32 v11, v11, v19
	v_fmac_f32_e32 v14, 0x32a5705f, v7
	v_cvt_i32_f32_e32 v15, v19
	v_ldexp_f32 v2, v2, v13
	s_delay_alu instid0(VALU_DEP_4) | instskip(NEXT) | instid1(VALU_DEP_4)
	v_dual_add_f32 v11, v11, v18 :: v_dual_sub_f32 v10, v10, v17
	v_add_f32_e32 v3, v3, v14
	v_cvt_i32_f32_e32 v14, v17
	s_delay_alu instid0(VALU_DEP_4) | instskip(SKIP_4) | instid1(VALU_DEP_1)
	v_cndmask_b32_e32 v2, 0, v2, vcc_lo
	v_cmp_ngt_f32_e32 vcc_lo, 0xc2ce8ed0, v8
	v_add_f32_e32 v10, v10, v16
	v_exp_f32_e32 v3, v3
	v_exp_f32_e32 v11, v11
	;; [unrolled: 1-line block ×3, first 2 shown]
	v_nop
	s_delay_alu instid0(TRANS32_DEP_1) | instskip(NEXT) | instid1(VALU_DEP_1)
	v_ldexp_f32 v10, v10, v14
	v_cndmask_b32_e32 v10, 0, v10, vcc_lo
	v_cmp_nlt_f32_e32 vcc_lo, 0x42b17218, v6
	v_ldexp_f32 v6, v3, v12
	v_cndmask_b32_e32 v2, 0x7f800000, v2, vcc_lo
	v_cmp_nlt_f32_e32 vcc_lo, 0x42b17218, v8
	v_ldexp_f32 v8, v11, v15
	v_cndmask_b32_e32 v3, 0x7f800000, v10, vcc_lo
	v_cmp_ngt_f32_e32 vcc_lo, 0xc2ce8ed0, v7
	v_cvt_f16_f32_e32 v10, v2
	s_delay_alu instid0(VALU_DEP_3) | instskip(SKIP_2) | instid1(VALU_DEP_4)
	v_cvt_f16_f32_e32 v11, v3
	v_cndmask_b32_e32 v6, 0, v6, vcc_lo
	v_cmp_ngt_f32_e32 vcc_lo, 0xc2ce8ed0, v9
	v_and_b32_e32 v10, 0xffff, v10
	s_delay_alu instid0(VALU_DEP_4)
	v_and_b32_e32 v11, 0xffff, v11
	v_cndmask_b32_e32 v8, 0, v8, vcc_lo
	v_cmp_nlt_f32_e32 vcc_lo, 0x42b17218, v7
	v_cndmask_b32_e32 v6, 0x7f800000, v6, vcc_lo
	v_cmp_nlt_f32_e32 vcc_lo, 0x42b17218, v9
	v_mul_u32_u24_e32 v9, 0x10001, v11
	v_cndmask_b32_e32 v7, 0x7f800000, v8, vcc_lo
	v_mul_u32_u24_e32 v8, 0x10001, v10
	s_delay_alu instid0(VALU_DEP_3) | instskip(SKIP_1) | instid1(VALU_DEP_4)
	v_pk_mul_f16 v76, v76, v9
	v_pk_mul_f16 v77, v77, v9
	v_pk_fma_f32 v[0:1], v[0:1], v[2:3], v[6:7]
	s_delay_alu instid0(VALU_DEP_4)
	v_pk_mul_f16 v86, v86, v8
	v_pk_mul_f16 v87, v87, v8
.LBB24_32:
	s_mov_b32 s3, exec_lo
	v_cmpx_gt_i32_e64 s22, v73
	s_cbranch_execz .LBB24_42
; %bb.33:
	s_load_b32 s0, s[0:1], 0xd4
	v_mov_b32_e32 v2, 1.0
	s_wait_kmcnt 0x0
	s_cmp_lg_u32 s0, 1
	s_cselect_b32 s3, -1, 0
	s_cmp_eq_u32 s0, 1
	s_cselect_b32 s1, -1, 0
	s_and_b32 vcc_lo, exec_lo, s3
	s_cbranch_vccnz .LBB24_35
; %bb.34:
	v_div_scale_f32 v2, null, v0, v0, 1.0
	s_delay_alu instid0(VALU_DEP_1) | instskip(SKIP_1) | instid1(TRANS32_DEP_1)
	v_rcp_f32_e32 v3, v2
	v_nop
	v_fma_f32 v4, -v2, v3, 1.0
	s_delay_alu instid0(VALU_DEP_1) | instskip(SKIP_1) | instid1(VALU_DEP_1)
	v_fmac_f32_e32 v3, v4, v3
	v_div_scale_f32 v4, vcc_lo, 1.0, v0, 1.0
	v_mul_f32_e32 v5, v4, v3
	s_delay_alu instid0(VALU_DEP_1) | instskip(NEXT) | instid1(VALU_DEP_1)
	v_fma_f32 v6, -v2, v5, v4
	v_fmac_f32_e32 v5, v6, v3
	s_delay_alu instid0(VALU_DEP_1) | instskip(NEXT) | instid1(VALU_DEP_1)
	v_fma_f32 v2, -v2, v5, v4
	v_div_fmas_f32 v2, v2, v3, v5
	s_delay_alu instid0(VALU_DEP_1)
	v_div_fixup_f32 v2, v2, v0, 1.0
.LBB24_35:
	v_mad_u32 v3, s28, s22, v73
	v_add_nc_u32_e32 v4, s31, v48
	s_delay_alu instid0(VALU_DEP_1) | instskip(NEXT) | instid1(VALU_DEP_1)
	v_mad_u32 v3, v3, s23, v4
	v_mul_lo_u32 v3, s0, v3
	s_delay_alu instid0(VALU_DEP_1)
	v_add_nc_u32_e32 v4, s33, v3
	s_and_saveexec_b32 s4, s2
	s_cbranch_execz .LBB24_37
; %bb.36:
	s_delay_alu instid0(VALU_DEP_1) | instskip(SKIP_4) | instid1(VALU_DEP_4)
	v_mad_u32 v8, 0x60, v4, v61
	v_dual_lshrrev_b32 v5, 16, v86 :: v_dual_lshrrev_b32 v11, 16, v87
	v_mov_b32_e32 v9, 0
	v_cvt_f32_f16_e32 v6, v86
	v_cvt_f32_f16_e32 v10, v87
	;; [unrolled: 1-line block ×4, first 2 shown]
	s_delay_alu instid0(VALU_DEP_2) | instskip(SKIP_1) | instid1(VALU_DEP_3)
	v_pk_mul_f32 v[6:7], v[2:3], v[6:7] op_sel_hi:[0,1]
	v_lshl_add_u64 v[12:13], v[8:9], 2, s[16:17]
	v_pk_mul_f32 v[8:9], v[2:3], v[10:11] op_sel_hi:[0,1]
	global_store_b128 v[12:13], v[6:9], off
.LBB24_37:
	s_wait_xcnt 0x0
	s_or_b32 exec_lo, exec_lo, s4
	v_cmp_eq_u32_e32 vcc_lo, 0, v72
	s_and_b32 s3, vcc_lo, s3
	s_delay_alu instid0(SALU_CYCLE_1)
	s_and_saveexec_b32 s4, s3
	s_cbranch_execnz .LBB24_43
; %bb.38:
	s_or_b32 exec_lo, exec_lo, s4
	v_mov_b32_e32 v0, 1.0
	s_and_not1_b32 vcc_lo, exec_lo, s1
	s_cbranch_vccz .LBB24_44
.LBB24_39:
	v_add3_u32 v2, s33, s0, v3
	s_and_saveexec_b32 s0, s2
	s_cbranch_execnz .LBB24_45
.LBB24_40:
	s_or_b32 exec_lo, exec_lo, s0
	s_delay_alu instid0(SALU_CYCLE_1)
	s_and_b32 exec_lo, exec_lo, s3
	s_cbranch_execz .LBB24_42
.LBB24_41:
	v_mov_b32_e32 v0, v67
	global_store_b64 v2, v[0:1], s[18:19] scale_offset
.LBB24_42:
	s_sendmsg sendmsg(MSG_DEALLOC_VGPRS)
	s_endpgm
.LBB24_43:
	v_dual_mov_b32 v6, v66 :: v_dual_mov_b32 v7, v0
	global_store_b64 v4, v[6:7], s[18:19] scale_offset
	s_wait_xcnt 0x0
	s_or_b32 exec_lo, exec_lo, s4
	v_mov_b32_e32 v0, 1.0
	s_and_not1_b32 vcc_lo, exec_lo, s1
	s_cbranch_vccnz .LBB24_39
.LBB24_44:
	v_div_scale_f32 v0, null, v1, v1, 1.0
	s_delay_alu instid0(VALU_DEP_1) | instskip(SKIP_1) | instid1(TRANS32_DEP_1)
	v_rcp_f32_e32 v2, v0
	v_nop
	v_fma_f32 v4, -v0, v2, 1.0
	s_delay_alu instid0(VALU_DEP_1) | instskip(SKIP_1) | instid1(VALU_DEP_1)
	v_fmac_f32_e32 v2, v4, v2
	v_div_scale_f32 v4, vcc_lo, 1.0, v1, 1.0
	v_mul_f32_e32 v5, v4, v2
	s_delay_alu instid0(VALU_DEP_1) | instskip(NEXT) | instid1(VALU_DEP_1)
	v_fma_f32 v6, -v0, v5, v4
	v_fmac_f32_e32 v5, v6, v2
	s_delay_alu instid0(VALU_DEP_1) | instskip(NEXT) | instid1(VALU_DEP_1)
	v_fma_f32 v0, -v0, v5, v4
	v_div_fmas_f32 v0, v0, v2, v5
	s_delay_alu instid0(VALU_DEP_1)
	v_div_fixup_f32 v0, v0, v1, 1.0
	v_add3_u32 v2, s33, s0, v3
	s_and_saveexec_b32 s0, s2
	s_cbranch_execz .LBB24_40
.LBB24_45:
	s_delay_alu instid0(VALU_DEP_1) | instskip(SKIP_4) | instid1(VALU_DEP_4)
	v_mad_u32 v6, 0x60, v2, v61
	v_dual_lshrrev_b32 v3, 16, v76 :: v_dual_lshrrev_b32 v9, 16, v77
	v_mov_b32_e32 v7, 0
	v_cvt_f32_f16_e32 v4, v76
	v_cvt_f32_f16_e32 v8, v77
	;; [unrolled: 1-line block ×4, first 2 shown]
	s_delay_alu instid0(VALU_DEP_2) | instskip(SKIP_1) | instid1(VALU_DEP_3)
	v_pk_mul_f32 v[4:5], v[0:1], v[4:5] op_sel_hi:[0,1]
	v_lshl_add_u64 v[10:11], v[6:7], 2, s[16:17]
	v_pk_mul_f32 v[6:7], v[0:1], v[8:9] op_sel_hi:[0,1]
	global_store_b128 v[10:11], v[4:7], off
	s_wait_xcnt 0x0
	s_or_b32 exec_lo, exec_lo, s0
	s_delay_alu instid0(SALU_CYCLE_1)
	s_and_b32 exec_lo, exec_lo, s3
	s_cbranch_execnz .LBB24_41
	s_branch .LBB24_42
	.section	.rodata,"a",@progbits
	.p2align	6, 0x0
	.amdhsa_kernel _ZL15flash_attn_tileILi96ELi96ELi4ELi4ELb0EEvPKcS1_S1_S1_S1_PKiPfP15HIP_vector_typeIfLj2EEffffjfiS5_IjLj3EEiiiiiiiiiiiliiliiiiil
		.amdhsa_group_segment_fixed_size 7808
		.amdhsa_private_segment_fixed_size 0
		.amdhsa_kernarg_size 464
		.amdhsa_user_sgpr_count 2
		.amdhsa_user_sgpr_dispatch_ptr 0
		.amdhsa_user_sgpr_queue_ptr 0
		.amdhsa_user_sgpr_kernarg_segment_ptr 1
		.amdhsa_user_sgpr_dispatch_id 0
		.amdhsa_user_sgpr_kernarg_preload_length 0
		.amdhsa_user_sgpr_kernarg_preload_offset 0
		.amdhsa_user_sgpr_private_segment_size 0
		.amdhsa_wavefront_size32 1
		.amdhsa_uses_dynamic_stack 0
		.amdhsa_enable_private_segment 0
		.amdhsa_system_sgpr_workgroup_id_x 1
		.amdhsa_system_sgpr_workgroup_id_y 1
		.amdhsa_system_sgpr_workgroup_id_z 1
		.amdhsa_system_sgpr_workgroup_info 0
		.amdhsa_system_vgpr_workitem_id 1
		.amdhsa_next_free_vgpr 110
		.amdhsa_next_free_sgpr 42
		.amdhsa_named_barrier_count 0
		.amdhsa_reserve_vcc 1
		.amdhsa_float_round_mode_32 0
		.amdhsa_float_round_mode_16_64 0
		.amdhsa_float_denorm_mode_32 3
		.amdhsa_float_denorm_mode_16_64 3
		.amdhsa_fp16_overflow 0
		.amdhsa_memory_ordered 1
		.amdhsa_forward_progress 1
		.amdhsa_inst_pref_size 60
		.amdhsa_round_robin_scheduling 0
		.amdhsa_exception_fp_ieee_invalid_op 0
		.amdhsa_exception_fp_denorm_src 0
		.amdhsa_exception_fp_ieee_div_zero 0
		.amdhsa_exception_fp_ieee_overflow 0
		.amdhsa_exception_fp_ieee_underflow 0
		.amdhsa_exception_fp_ieee_inexact 0
		.amdhsa_exception_int_div_zero 0
	.end_amdhsa_kernel
	.section	.text._ZL15flash_attn_tileILi96ELi96ELi4ELi4ELb0EEvPKcS1_S1_S1_S1_PKiPfP15HIP_vector_typeIfLj2EEffffjfiS5_IjLj3EEiiiiiiiiiiiliiliiiiil,"axG",@progbits,_ZL15flash_attn_tileILi96ELi96ELi4ELi4ELb0EEvPKcS1_S1_S1_S1_PKiPfP15HIP_vector_typeIfLj2EEffffjfiS5_IjLj3EEiiiiiiiiiiiliiliiiiil,comdat
.Lfunc_end24:
	.size	_ZL15flash_attn_tileILi96ELi96ELi4ELi4ELb0EEvPKcS1_S1_S1_S1_PKiPfP15HIP_vector_typeIfLj2EEffffjfiS5_IjLj3EEiiiiiiiiiiiliiliiiiil, .Lfunc_end24-_ZL15flash_attn_tileILi96ELi96ELi4ELi4ELb0EEvPKcS1_S1_S1_S1_PKiPfP15HIP_vector_typeIfLj2EEffffjfiS5_IjLj3EEiiiiiiiiiiiliiliiiiil
                                        ; -- End function
	.set _ZL15flash_attn_tileILi96ELi96ELi4ELi4ELb0EEvPKcS1_S1_S1_S1_PKiPfP15HIP_vector_typeIfLj2EEffffjfiS5_IjLj3EEiiiiiiiiiiiliiliiiiil.num_vgpr, 110
	.set _ZL15flash_attn_tileILi96ELi96ELi4ELi4ELb0EEvPKcS1_S1_S1_S1_PKiPfP15HIP_vector_typeIfLj2EEffffjfiS5_IjLj3EEiiiiiiiiiiiliiliiiiil.num_agpr, 0
	.set _ZL15flash_attn_tileILi96ELi96ELi4ELi4ELb0EEvPKcS1_S1_S1_S1_PKiPfP15HIP_vector_typeIfLj2EEffffjfiS5_IjLj3EEiiiiiiiiiiiliiliiiiil.numbered_sgpr, 42
	.set _ZL15flash_attn_tileILi96ELi96ELi4ELi4ELb0EEvPKcS1_S1_S1_S1_PKiPfP15HIP_vector_typeIfLj2EEffffjfiS5_IjLj3EEiiiiiiiiiiiliiliiiiil.num_named_barrier, 0
	.set _ZL15flash_attn_tileILi96ELi96ELi4ELi4ELb0EEvPKcS1_S1_S1_S1_PKiPfP15HIP_vector_typeIfLj2EEffffjfiS5_IjLj3EEiiiiiiiiiiiliiliiiiil.private_seg_size, 0
	.set _ZL15flash_attn_tileILi96ELi96ELi4ELi4ELb0EEvPKcS1_S1_S1_S1_PKiPfP15HIP_vector_typeIfLj2EEffffjfiS5_IjLj3EEiiiiiiiiiiiliiliiiiil.uses_vcc, 1
	.set _ZL15flash_attn_tileILi96ELi96ELi4ELi4ELb0EEvPKcS1_S1_S1_S1_PKiPfP15HIP_vector_typeIfLj2EEffffjfiS5_IjLj3EEiiiiiiiiiiiliiliiiiil.uses_flat_scratch, 0
	.set _ZL15flash_attn_tileILi96ELi96ELi4ELi4ELb0EEvPKcS1_S1_S1_S1_PKiPfP15HIP_vector_typeIfLj2EEffffjfiS5_IjLj3EEiiiiiiiiiiiliiliiiiil.has_dyn_sized_stack, 0
	.set _ZL15flash_attn_tileILi96ELi96ELi4ELi4ELb0EEvPKcS1_S1_S1_S1_PKiPfP15HIP_vector_typeIfLj2EEffffjfiS5_IjLj3EEiiiiiiiiiiiliiliiiiil.has_recursion, 0
	.set _ZL15flash_attn_tileILi96ELi96ELi4ELi4ELb0EEvPKcS1_S1_S1_S1_PKiPfP15HIP_vector_typeIfLj2EEffffjfiS5_IjLj3EEiiiiiiiiiiiliiliiiiil.has_indirect_call, 0
	.section	.AMDGPU.csdata,"",@progbits
; Kernel info:
; codeLenInByte = 7560
; TotalNumSgprs: 44
; NumVgprs: 110
; ScratchSize: 0
; MemoryBound: 0
; FloatMode: 240
; IeeeMode: 1
; LDSByteSize: 7808 bytes/workgroup (compile time only)
; SGPRBlocks: 0
; VGPRBlocks: 6
; NumSGPRsForWavesPerEU: 44
; NumVGPRsForWavesPerEU: 110
; NamedBarCnt: 0
; Occupancy: 9
; WaveLimiterHint : 1
; COMPUTE_PGM_RSRC2:SCRATCH_EN: 0
; COMPUTE_PGM_RSRC2:USER_SGPR: 2
; COMPUTE_PGM_RSRC2:TRAP_HANDLER: 0
; COMPUTE_PGM_RSRC2:TGID_X_EN: 1
; COMPUTE_PGM_RSRC2:TGID_Y_EN: 1
; COMPUTE_PGM_RSRC2:TGID_Z_EN: 1
; COMPUTE_PGM_RSRC2:TIDIG_COMP_CNT: 1
	.section	.text._ZL33flash_attn_stream_k_fixup_uniformILi96ELi4ELi4EEvPfPK15HIP_vector_typeIfLj2EEiiiiiiS1_IjLj3EES5_S5_,"axG",@progbits,_ZL33flash_attn_stream_k_fixup_uniformILi96ELi4ELi4EEvPfPK15HIP_vector_typeIfLj2EEiiiiiiS1_IjLj3EES5_S5_,comdat
	.globl	_ZL33flash_attn_stream_k_fixup_uniformILi96ELi4ELi4EEvPfPK15HIP_vector_typeIfLj2EEiiiiiiS1_IjLj3EES5_S5_ ; -- Begin function _ZL33flash_attn_stream_k_fixup_uniformILi96ELi4ELi4EEvPfPK15HIP_vector_typeIfLj2EEiiiiiiS1_IjLj3EES5_S5_
	.p2align	8
	.type	_ZL33flash_attn_stream_k_fixup_uniformILi96ELi4ELi4EEvPfPK15HIP_vector_typeIfLj2EEiiiiiiS1_IjLj3EES5_S5_,@function
_ZL33flash_attn_stream_k_fixup_uniformILi96ELi4ELi4EEvPfPK15HIP_vector_typeIfLj2EEiiiiiiS1_IjLj3EES5_S5_: ; @_ZL33flash_attn_stream_k_fixup_uniformILi96ELi4ELi4EEvPfPK15HIP_vector_typeIfLj2EEiiiiiiS1_IjLj3EES5_S5_
; %bb.0:
	s_load_b256 s[4:11], s[0:1], 0x1c
	s_bfe_u32 s2, ttmp6, 0x40014
	s_lshr_b32 s3, ttmp7, 16
	s_add_co_i32 s2, s2, 1
	s_bfe_u32 s13, ttmp6, 0x40010
	s_mul_i32 s2, s3, s2
	s_bfe_u32 s12, ttmp6, 0x40008
	s_and_b32 s15, ttmp7, 0xffff
	s_add_co_i32 s13, s13, 1
	s_bfe_u32 s14, ttmp6, 0x4000c
	s_add_co_i32 s2, s12, s2
	s_mul_i32 s12, s15, s13
	s_bfe_u32 s13, ttmp6, 0x40004
	s_add_co_i32 s14, s14, 1
	s_add_co_i32 s13, s13, s12
	s_and_b32 s12, ttmp6, 15
	s_mul_i32 s14, ttmp9, s14
	s_getreg_b32 s20, hwreg(HW_REG_IB_STS2, 6, 4)
	s_add_co_i32 s12, s12, s14
	s_load_b128 s[16:19], s[0:1], 0x3c
	s_cmp_eq_u32 s20, 0
	s_cselect_b32 s14, ttmp9, s12
	s_cselect_b32 s12, s15, s13
	s_wait_kmcnt 0x0
	s_mul_hi_u32 s7, s7, s14
	s_cselect_b32 s13, s3, s2
	s_add_co_i32 s2, s14, s7
	s_delay_alu instid0(SALU_CYCLE_1) | instskip(NEXT) | instid1(SALU_CYCLE_1)
	s_lshr_b32 s7, s2, s8
	s_mul_i32 s2, s7, s9
	s_delay_alu instid0(SALU_CYCLE_1) | instskip(NEXT) | instid1(SALU_CYCLE_1)
	s_sub_co_i32 s8, s14, s2
	s_mul_hi_u32 s2, s8, s10
	s_delay_alu instid0(SALU_CYCLE_1) | instskip(SKIP_2) | instid1(SALU_CYCLE_1)
	s_add_co_i32 s9, s8, s2
	s_load_b64 s[2:3], s[0:1], 0x10
	s_lshr_b32 s15, s9, s11
	s_mul_i32 s9, s15, s16
	s_delay_alu instid0(SALU_CYCLE_1) | instskip(NEXT) | instid1(SALU_CYCLE_1)
	s_sub_co_i32 s8, s8, s9
	s_mul_hi_u32 s9, s8, s17
	s_delay_alu instid0(SALU_CYCLE_1) | instskip(NEXT) | instid1(SALU_CYCLE_1)
	s_add_co_i32 s9, s8, s9
	s_lshr_b32 s9, s9, s18
	s_delay_alu instid0(SALU_CYCLE_1) | instskip(SKIP_2) | instid1(SALU_CYCLE_1)
	s_mul_i32 s10, s9, s19
	s_lshl_b32 s17, s9, 2
	s_sub_co_i32 s16, s8, s10
	s_lshl_b32 s8, s16, 2
	s_delay_alu instid0(SALU_CYCLE_1) | instskip(SKIP_4) | instid1(SALU_CYCLE_1)
	s_add_co_i32 s8, s8, s12
	s_wait_kmcnt 0x0
	s_cmp_lt_i32 s8, s2
	s_cselect_b32 s8, -1, 0
	s_add_co_i32 s17, s17, s13
	s_cmp_lt_i32 s17, s5
	s_cselect_b32 s9, -1, 0
	s_delay_alu instid0(SALU_CYCLE_1) | instskip(NEXT) | instid1(SALU_CYCLE_1)
	s_and_b32 s8, s8, s9
	s_and_not1_b32 vcc_lo, exec_lo, s8
	s_cbranch_vccnz .LBB25_6
; %bb.1:
	s_load_b128 s[8:11], s[0:1], 0x0
	s_wait_xcnt 0x0
	s_mul_i32 s0, s7, s2
	s_mul_i32 s15, s15, s5
	s_add_co_i32 s0, s0, s12
	s_add_co_i32 s1, s17, s15
	s_mul_i32 s0, s0, s3
	s_mul_i32 s2, s3, s16
	s_add_co_i32 s0, s1, s0
	s_mulk_i32 s2, 0x180
	s_mulk_i32 s0, 0x60
	s_mul_i32 s7, s6, s14
	v_add3_u32 v4, s0, s2, v0
	s_lshl_b32 s5, s12, 2
	s_add_co_i32 s15, s7, s6
	s_add_co_i32 s0, s5, s13
	s_lshl_b32 s1, s15, 4
	v_ashrrev_i32_e32 v5, 31, v4
	s_add_co_i32 s0, s0, s1
	s_add_co_i32 s2, s15, -2
	s_add_co_i32 s0, s0, -16
	s_wait_kmcnt 0x0
	global_load_b32 v3, v4, s[8:9] scale_offset
	s_ashr_i32 s1, s0, 31
	s_delay_alu instid0(SALU_CYCLE_1)
	s_lshl_b64 s[0:1], s[0:1], 3
	s_cmp_lt_i32 s2, s7
	s_add_nc_u64 s[0:1], s[10:11], s[0:1]
	s_load_b32 s16, s[0:1], 0x4
	s_cbranch_scc1 .LBB25_4
; %bb.2:
	s_wait_xcnt 0x0
	s_load_b32 s0, s[0:1], 0x0
	s_add_co_i32 s14, s14, 1
	s_mulk_i32 s12, 0x180
	s_wait_xcnt 0x0
	s_mul_i32 s1, s6, s14
	s_lshl_b32 s2, s4, 6
	s_lshl_b32 s6, s1, 4
	s_mulk_i32 s1, 0x600
	s_add_co_i32 s6, s13, s6
	s_mulk_i32 s13, 0x60
	s_lshl_b32 s4, s4, 4
	s_add_co_i32 s12, s13, s12
	s_ashr_i32 s3, s2, 31
	s_add_co_i32 s12, s12, s1
	s_add_co_i32 s1, s6, s4
	v_add3_u32 v0, s12, v0, 0xfffff400
	s_wait_kmcnt 0x0
	v_mov_b32_e32 v2, s16
	s_lshl_b64 s[2:3], s[2:3], 2
	s_add_co_i32 s4, s1, s5
	s_add_nc_u64 s[2:3], s[10:11], s[2:3]
	s_add_co_i32 s1, s15, -1
	s_sub_co_i32 s4, s4, 32
.LBB25_3:                               ; =>This Inner Loop Header: Depth=1
	global_load_b32 v7, v0, s[2:3] scale_offset
	s_ashr_i32 s5, s4, 31
	v_max_num_f32_e64 v1, s0, s0
	s_lshl_b64 s[12:13], s[4:5], 3
	s_delay_alu instid0(SALU_CYCLE_1) | instskip(SKIP_1) | instid1(VALU_DEP_1)
	s_add_nc_u64 s[12:13], s[10:11], s[12:13]
	s_load_b64 s[12:13], s[12:13], 0x0
	v_readfirstlane_b32 s5, v1
	v_add_nc_u32_e32 v0, 0xfffffa00, v0
	s_wait_kmcnt 0x0
	v_max_num_f32_e64 v1, s12, s12
	s_delay_alu instid0(VALU_DEP_1) | instskip(SKIP_1) | instid1(SALU_CYCLE_3)
	v_readfirstlane_b32 s6, v1
	s_max_num_f32 s5, s5, s6
	s_sub_f32 s0, s0, s5
	s_sub_f32 s6, s12, s5
	s_delay_alu instid0(SALU_CYCLE_2) | instskip(NEXT) | instid1(SALU_CYCLE_2)
	s_mul_f32 s12, s0, 0x3fb8aa3b
	s_mul_f32 s14, s6, 0x3fb8aa3b
	s_delay_alu instid0(SALU_CYCLE_2)
	s_xor_b32 s15, s12, 0x80000000
	s_rndne_f32 s16, s12
	s_fmamk_f32 s15, s0, 0x3fb8aa3b, s15
	s_cmp_nlt_f32 s0, 0xc2ce8ed0
	s_rndne_f32 s17, s14
	s_sub_f32 s12, s12, s16
	s_fmamk_f32 s15, s0, 0x32a5705f, s15
	s_cselect_b32 vcc_lo, -1, 0
	s_cmp_ngt_f32 s0, 0x42b17218
	s_delay_alu instid0(SALU_CYCLE_1) | instskip(SKIP_2) | instid1(SALU_CYCLE_1)
	s_add_f32 s12, s12, s15
	s_cvt_i32_f32 s15, s16
	s_sub_f32 s16, s14, s17
	v_s_exp_f32 s12, s12
	v_nop
	s_delay_alu instid0(TRANS32_DEP_1) | instskip(SKIP_1) | instid1(VALU_DEP_1)
	v_ldexp_f32 v1, s12, s15
	s_cvt_i32_f32 s12, s17
	v_cndmask_b32_e32 v1, 0, v1, vcc_lo
	s_cselect_b32 vcc_lo, -1, 0
	s_cmp_ge_f32 s0, 0xc1a00000
	s_delay_alu instid0(VALU_DEP_1)
	v_cndmask_b32_e32 v1, 0x7f800000, v1, vcc_lo
	s_cselect_b32 vcc_lo, -1, 0
	s_xor_b32 s0, s14, 0x80000000
	s_cmp_nlt_f32 s6, 0xc2ce8ed0
	s_fmamk_f32 s0, s6, 0x3fb8aa3b, s0
	v_cndmask_b32_e32 v10, 0, v1, vcc_lo
	s_delay_alu instid0(SALU_CYCLE_2) | instskip(NEXT) | instid1(SALU_CYCLE_3)
	s_fmamk_f32 s0, s6, 0x32a5705f, s0
	s_add_f32 s0, s16, s0
	s_delay_alu instid0(SALU_CYCLE_3) | instskip(SKIP_1) | instid1(TRANS32_DEP_1)
	v_s_exp_f32 s0, s0
	v_nop
	v_ldexp_f32 v6, s0, s12
	s_cselect_b32 s0, -1, 0
	s_cmp_ngt_f32 s6, 0x42b17218
	s_delay_alu instid0(VALU_DEP_1) | instskip(SKIP_2) | instid1(VALU_DEP_1)
	v_cndmask_b32_e64 v6, 0, v6, s0
	s_cselect_b32 s0, -1, 0
	s_cmp_ge_f32 s6, 0xc1a00000
	v_cndmask_b32_e64 v8, 0x7f800000, v6, s0
	s_cselect_b32 s0, -1, 0
	v_mov_b32_e32 v6, s13
	s_add_co_i32 s1, s1, -1
	s_add_co_i32 s4, s4, -16
	v_cndmask_b32_e64 v8, 0, v8, s0
	s_cmp_le_i32 s1, s7
	s_mov_b32 s0, s5
	s_wait_loadcnt 0x0
	s_delay_alu instid0(VALU_DEP_1) | instskip(NEXT) | instid1(VALU_DEP_1)
	v_pk_mul_f32 v[6:7], v[6:7], v[8:9] op_sel_hi:[1,0]
	v_pk_fma_f32 v[2:3], v[2:3], v[10:11], v[6:7] op_sel_hi:[1,0,1]
	s_cbranch_scc0 .LBB25_3
	s_branch .LBB25_5
.LBB25_4:
	s_wait_kmcnt 0x0
	v_mov_b32_e32 v2, s16
.LBB25_5:
	v_lshl_add_u64 v[0:1], v[4:5], 2, s[8:9]
	s_wait_loadcnt 0x0
	s_delay_alu instid0(VALU_DEP_2) | instskip(NEXT) | instid1(VALU_DEP_1)
	v_div_scale_f32 v4, null, v2, v2, v3
	v_rcp_f32_e32 v5, v4
	v_nop
	s_delay_alu instid0(TRANS32_DEP_1) | instskip(NEXT) | instid1(VALU_DEP_1)
	v_fma_f32 v6, -v4, v5, 1.0
	v_fmac_f32_e32 v5, v6, v5
	v_div_scale_f32 v6, vcc_lo, v3, v2, v3
	s_delay_alu instid0(VALU_DEP_1) | instskip(NEXT) | instid1(VALU_DEP_1)
	v_mul_f32_e32 v7, v6, v5
	v_fma_f32 v8, -v4, v7, v6
	s_delay_alu instid0(VALU_DEP_1) | instskip(NEXT) | instid1(VALU_DEP_1)
	v_fmac_f32_e32 v7, v8, v5
	v_fma_f32 v4, -v4, v7, v6
	s_delay_alu instid0(VALU_DEP_1) | instskip(NEXT) | instid1(VALU_DEP_1)
	v_div_fmas_f32 v4, v4, v5, v7
	v_div_fixup_f32 v2, v4, v2, v3
	global_store_b32 v[0:1], v2, off
.LBB25_6:
	s_endpgm
	.section	.rodata,"a",@progbits
	.p2align	6, 0x0
	.amdhsa_kernel _ZL33flash_attn_stream_k_fixup_uniformILi96ELi4ELi4EEvPfPK15HIP_vector_typeIfLj2EEiiiiiiS1_IjLj3EES5_S5_
		.amdhsa_group_segment_fixed_size 0
		.amdhsa_private_segment_fixed_size 0
		.amdhsa_kernarg_size 76
		.amdhsa_user_sgpr_count 2
		.amdhsa_user_sgpr_dispatch_ptr 0
		.amdhsa_user_sgpr_queue_ptr 0
		.amdhsa_user_sgpr_kernarg_segment_ptr 1
		.amdhsa_user_sgpr_dispatch_id 0
		.amdhsa_user_sgpr_kernarg_preload_length 0
		.amdhsa_user_sgpr_kernarg_preload_offset 0
		.amdhsa_user_sgpr_private_segment_size 0
		.amdhsa_wavefront_size32 1
		.amdhsa_uses_dynamic_stack 0
		.amdhsa_enable_private_segment 0
		.amdhsa_system_sgpr_workgroup_id_x 1
		.amdhsa_system_sgpr_workgroup_id_y 1
		.amdhsa_system_sgpr_workgroup_id_z 1
		.amdhsa_system_sgpr_workgroup_info 0
		.amdhsa_system_vgpr_workitem_id 0
		.amdhsa_next_free_vgpr 12
		.amdhsa_next_free_sgpr 21
		.amdhsa_named_barrier_count 0
		.amdhsa_reserve_vcc 1
		.amdhsa_float_round_mode_32 0
		.amdhsa_float_round_mode_16_64 0
		.amdhsa_float_denorm_mode_32 3
		.amdhsa_float_denorm_mode_16_64 3
		.amdhsa_fp16_overflow 0
		.amdhsa_memory_ordered 1
		.amdhsa_forward_progress 1
		.amdhsa_inst_pref_size 9
		.amdhsa_round_robin_scheduling 0
		.amdhsa_exception_fp_ieee_invalid_op 0
		.amdhsa_exception_fp_denorm_src 0
		.amdhsa_exception_fp_ieee_div_zero 0
		.amdhsa_exception_fp_ieee_overflow 0
		.amdhsa_exception_fp_ieee_underflow 0
		.amdhsa_exception_fp_ieee_inexact 0
		.amdhsa_exception_int_div_zero 0
	.end_amdhsa_kernel
	.section	.text._ZL33flash_attn_stream_k_fixup_uniformILi96ELi4ELi4EEvPfPK15HIP_vector_typeIfLj2EEiiiiiiS1_IjLj3EES5_S5_,"axG",@progbits,_ZL33flash_attn_stream_k_fixup_uniformILi96ELi4ELi4EEvPfPK15HIP_vector_typeIfLj2EEiiiiiiS1_IjLj3EES5_S5_,comdat
.Lfunc_end25:
	.size	_ZL33flash_attn_stream_k_fixup_uniformILi96ELi4ELi4EEvPfPK15HIP_vector_typeIfLj2EEiiiiiiS1_IjLj3EES5_S5_, .Lfunc_end25-_ZL33flash_attn_stream_k_fixup_uniformILi96ELi4ELi4EEvPfPK15HIP_vector_typeIfLj2EEiiiiiiS1_IjLj3EES5_S5_
                                        ; -- End function
	.set _ZL33flash_attn_stream_k_fixup_uniformILi96ELi4ELi4EEvPfPK15HIP_vector_typeIfLj2EEiiiiiiS1_IjLj3EES5_S5_.num_vgpr, 12
	.set _ZL33flash_attn_stream_k_fixup_uniformILi96ELi4ELi4EEvPfPK15HIP_vector_typeIfLj2EEiiiiiiS1_IjLj3EES5_S5_.num_agpr, 0
	.set _ZL33flash_attn_stream_k_fixup_uniformILi96ELi4ELi4EEvPfPK15HIP_vector_typeIfLj2EEiiiiiiS1_IjLj3EES5_S5_.numbered_sgpr, 21
	.set _ZL33flash_attn_stream_k_fixup_uniformILi96ELi4ELi4EEvPfPK15HIP_vector_typeIfLj2EEiiiiiiS1_IjLj3EES5_S5_.num_named_barrier, 0
	.set _ZL33flash_attn_stream_k_fixup_uniformILi96ELi4ELi4EEvPfPK15HIP_vector_typeIfLj2EEiiiiiiS1_IjLj3EES5_S5_.private_seg_size, 0
	.set _ZL33flash_attn_stream_k_fixup_uniformILi96ELi4ELi4EEvPfPK15HIP_vector_typeIfLj2EEiiiiiiS1_IjLj3EES5_S5_.uses_vcc, 1
	.set _ZL33flash_attn_stream_k_fixup_uniformILi96ELi4ELi4EEvPfPK15HIP_vector_typeIfLj2EEiiiiiiS1_IjLj3EES5_S5_.uses_flat_scratch, 0
	.set _ZL33flash_attn_stream_k_fixup_uniformILi96ELi4ELi4EEvPfPK15HIP_vector_typeIfLj2EEiiiiiiS1_IjLj3EES5_S5_.has_dyn_sized_stack, 0
	.set _ZL33flash_attn_stream_k_fixup_uniformILi96ELi4ELi4EEvPfPK15HIP_vector_typeIfLj2EEiiiiiiS1_IjLj3EES5_S5_.has_recursion, 0
	.set _ZL33flash_attn_stream_k_fixup_uniformILi96ELi4ELi4EEvPfPK15HIP_vector_typeIfLj2EEiiiiiiS1_IjLj3EES5_S5_.has_indirect_call, 0
	.section	.AMDGPU.csdata,"",@progbits
; Kernel info:
; codeLenInByte = 1084
; TotalNumSgprs: 23
; NumVgprs: 12
; ScratchSize: 0
; MemoryBound: 0
; FloatMode: 240
; IeeeMode: 1
; LDSByteSize: 0 bytes/workgroup (compile time only)
; SGPRBlocks: 0
; VGPRBlocks: 0
; NumSGPRsForWavesPerEU: 23
; NumVGPRsForWavesPerEU: 12
; NamedBarCnt: 0
; Occupancy: 16
; WaveLimiterHint : 0
; COMPUTE_PGM_RSRC2:SCRATCH_EN: 0
; COMPUTE_PGM_RSRC2:USER_SGPR: 2
; COMPUTE_PGM_RSRC2:TRAP_HANDLER: 0
; COMPUTE_PGM_RSRC2:TGID_X_EN: 1
; COMPUTE_PGM_RSRC2:TGID_Y_EN: 1
; COMPUTE_PGM_RSRC2:TGID_Z_EN: 1
; COMPUTE_PGM_RSRC2:TIDIG_COMP_CNT: 0
	.section	.text._ZL33flash_attn_stream_k_fixup_generalILi96ELi4ELi4EEvPfPK15HIP_vector_typeIfLj2EEiiiiS1_IjLj3EES5_S5_S5_,"axG",@progbits,_ZL33flash_attn_stream_k_fixup_generalILi96ELi4ELi4EEvPfPK15HIP_vector_typeIfLj2EEiiiiS1_IjLj3EES5_S5_S5_,comdat
	.globl	_ZL33flash_attn_stream_k_fixup_generalILi96ELi4ELi4EEvPfPK15HIP_vector_typeIfLj2EEiiiiS1_IjLj3EES5_S5_S5_ ; -- Begin function _ZL33flash_attn_stream_k_fixup_generalILi96ELi4ELi4EEvPfPK15HIP_vector_typeIfLj2EEiiiiS1_IjLj3EES5_S5_S5_
	.p2align	8
	.type	_ZL33flash_attn_stream_k_fixup_generalILi96ELi4ELi4EEvPfPK15HIP_vector_typeIfLj2EEiiiiS1_IjLj3EES5_S5_S5_,@function
_ZL33flash_attn_stream_k_fixup_generalILi96ELi4ELi4EEvPfPK15HIP_vector_typeIfLj2EEiiiiS1_IjLj3EES5_S5_S5_: ; @_ZL33flash_attn_stream_k_fixup_generalILi96ELi4ELi4EEvPfPK15HIP_vector_typeIfLj2EEiiiiS1_IjLj3EES5_S5_S5_
; %bb.0:
	s_clause 0x1
	s_load_b128 s[4:7], s[0:1], 0x10
	s_load_b32 s16, s[0:1], 0x50
	s_bfe_u32 s2, ttmp6, 0x4000c
	s_and_b32 s3, ttmp6, 15
	s_add_co_i32 s2, s2, 1
	s_getreg_b32 s15, hwreg(HW_REG_IB_STS2, 6, 4)
	s_mul_i32 s2, ttmp9, s2
	s_mov_b32 s17, 0
	s_add_co_i32 s3, s3, s2
	s_cmp_eq_u32 s15, 0
	s_cselect_b32 s2, ttmp9, s3
	s_delay_alu instid0(SALU_CYCLE_1) | instskip(SKIP_3) | instid1(SALU_CYCLE_1)
	s_ashr_i32 s3, s2, 31
	s_wait_kmcnt 0x0
	s_ashr_i32 s19, s7, 31
	s_mov_b32 s18, s7
	s_mul_u64 s[8:9], s[18:19], s[2:3]
	s_delay_alu instid0(SALU_CYCLE_1) | instskip(NEXT) | instid1(SALU_CYCLE_1)
	s_and_b64 s[10:11], s[8:9], 0xffffffff00000000
	s_cmp_lg_u64 s[10:11], 0
	s_cbranch_scc0 .LBB26_21
; %bb.1:
	s_add_nc_u64 s[10:11], s[16:17], 0
	s_mov_b32 s23, s17
	s_xor_b64 s[10:11], s[10:11], 0
	s_mov_b32 s27, s17
	s_cvt_f32_u32 s3, s10
	s_cvt_f32_u32 s7, s11
	s_sub_nc_u64 s[20:21], 0, s[10:11]
	s_delay_alu instid0(SALU_CYCLE_2) | instskip(NEXT) | instid1(SALU_CYCLE_3)
	s_fmamk_f32 s3, s7, 0x4f800000, s3
	v_s_rcp_f32 s3, s3
	s_delay_alu instid0(TRANS32_DEP_1) | instskip(NEXT) | instid1(SALU_CYCLE_3)
	s_mul_f32 s3, s3, 0x5f7ffffc
	s_mul_f32 s7, s3, 0x2f800000
	s_delay_alu instid0(SALU_CYCLE_3) | instskip(NEXT) | instid1(SALU_CYCLE_3)
	s_trunc_f32 s7, s7
	s_fmamk_f32 s3, s7, 0xcf800000, s3
	s_cvt_u32_f32 s13, s7
	s_delay_alu instid0(SALU_CYCLE_2) | instskip(NEXT) | instid1(SALU_CYCLE_3)
	s_cvt_u32_f32 s12, s3
	s_mul_u64 s[24:25], s[20:21], s[12:13]
	s_delay_alu instid0(SALU_CYCLE_1)
	s_mul_hi_u32 s29, s12, s25
	s_mul_i32 s28, s12, s25
	s_mul_hi_u32 s22, s12, s24
	s_mul_i32 s7, s13, s24
	s_add_nc_u64 s[22:23], s[22:23], s[28:29]
	s_mul_hi_u32 s3, s13, s24
	s_mul_hi_u32 s14, s13, s25
	s_add_co_u32 s7, s22, s7
	s_add_co_ci_u32 s26, s23, s3
	s_mul_i32 s24, s13, s25
	s_add_co_ci_u32 s25, s14, 0
	s_delay_alu instid0(SALU_CYCLE_1) | instskip(SKIP_3) | instid1(SALU_CYCLE_1)
	s_add_nc_u64 s[22:23], s[26:27], s[24:25]
	s_mov_b32 s25, s17
	s_add_co_u32 s12, s12, s22
	s_cselect_b32 s3, -1, 0
	s_cmp_lg_u32 s3, 0
	s_add_co_ci_u32 s13, s13, s23
	s_mov_b32 s23, s17
	s_mul_u64 s[20:21], s[20:21], s[12:13]
	s_delay_alu instid0(SALU_CYCLE_1)
	s_mul_hi_u32 s27, s12, s21
	s_mul_i32 s26, s12, s21
	s_mul_hi_u32 s22, s12, s20
	s_mul_i32 s7, s13, s20
	s_add_nc_u64 s[22:23], s[22:23], s[26:27]
	s_mul_hi_u32 s3, s13, s20
	s_mul_hi_u32 s14, s13, s21
	s_add_co_u32 s7, s22, s7
	s_add_co_ci_u32 s24, s23, s3
	s_mul_i32 s20, s13, s21
	s_add_co_ci_u32 s21, s14, 0
	s_mov_b32 s23, s17
	s_add_nc_u64 s[20:21], s[24:25], s[20:21]
	s_delay_alu instid0(SALU_CYCLE_1) | instskip(SKIP_1) | instid1(SALU_CYCLE_1)
	s_add_co_u32 s3, s12, s20
	s_cselect_b32 s7, -1, 0
	s_cmp_lg_u32 s7, 0
	s_add_co_ci_u32 s7, s13, s21
	s_ashr_i32 s12, s9, 31
	s_delay_alu instid0(SALU_CYCLE_1) | instskip(NEXT) | instid1(SALU_CYCLE_1)
	s_mov_b32 s13, s12
	s_add_nc_u64 s[20:21], s[8:9], s[12:13]
	s_delay_alu instid0(SALU_CYCLE_1) | instskip(NEXT) | instid1(SALU_CYCLE_1)
	s_xor_b64 s[20:21], s[20:21], s[12:13]
	s_mul_hi_u32 s27, s20, s7
	s_mul_i32 s26, s20, s7
	s_mul_hi_u32 s22, s20, s3
	s_mul_hi_u32 s14, s21, s3
	s_mul_i32 s3, s21, s3
	s_add_nc_u64 s[22:23], s[22:23], s[26:27]
	s_mul_hi_u32 s9, s21, s7
	s_add_co_u32 s3, s22, s3
	s_add_co_ci_u32 s24, s23, s14
	s_mul_i32 s26, s21, s7
	s_add_co_ci_u32 s27, s9, 0
	s_delay_alu instid0(SALU_CYCLE_1) | instskip(NEXT) | instid1(SALU_CYCLE_1)
	s_add_nc_u64 s[22:23], s[24:25], s[26:27]
	s_and_b64 s[24:25], s[22:23], 0xffffffff00000000
	s_delay_alu instid0(SALU_CYCLE_1) | instskip(NEXT) | instid1(SALU_CYCLE_1)
	s_or_b32 s24, s24, s22
	s_mul_u64 s[22:23], s[10:11], s[24:25]
	s_add_nc_u64 s[26:27], s[24:25], 1
	s_sub_co_u32 s3, s20, s22
	s_cselect_b32 s7, -1, 0
	s_sub_co_i32 s9, s21, s23
	s_cmp_lg_u32 s7, 0
	s_add_nc_u64 s[28:29], s[24:25], 2
	s_sub_co_ci_u32 s9, s9, s11
	s_sub_co_u32 s14, s3, s10
	s_cselect_b32 s20, -1, 0
	s_delay_alu instid0(SALU_CYCLE_1) | instskip(SKIP_1) | instid1(SALU_CYCLE_1)
	s_cmp_lg_u32 s20, 0
	s_sub_co_ci_u32 s9, s9, 0
	s_cmp_ge_u32 s9, s11
	s_cselect_b32 s20, -1, 0
	s_cmp_ge_u32 s14, s10
	s_cselect_b32 s14, -1, 0
	s_cmp_eq_u32 s9, s11
	s_cselect_b32 s9, s14, s20
	s_delay_alu instid0(SALU_CYCLE_1) | instskip(SKIP_4) | instid1(SALU_CYCLE_1)
	s_cmp_lg_u32 s9, 0
	s_cselect_b32 s9, s28, s26
	s_cselect_b32 s14, s29, s27
	s_cmp_lg_u32 s7, 0
	s_sub_co_ci_u32 s7, s21, s23
	s_cmp_ge_u32 s7, s11
	s_cselect_b32 s20, -1, 0
	s_cmp_ge_u32 s3, s10
	s_cselect_b32 s3, -1, 0
	s_cmp_eq_u32 s7, s11
	s_cselect_b32 s3, s3, s20
	s_delay_alu instid0(SALU_CYCLE_1) | instskip(SKIP_4) | instid1(SALU_CYCLE_1)
	s_cmp_lg_u32 s3, 0
	s_mov_b32 s3, s17
	s_cselect_b32 s11, s14, s25
	s_cselect_b32 s10, s9, s24
	s_xor_b64 s[12:13], s[12:13], 0
	s_xor_b64 s[10:11], s[10:11], s[12:13]
	s_delay_alu instid0(SALU_CYCLE_1)
	s_sub_nc_u64 s[20:21], s[10:11], s[12:13]
	s_and_not1_b32 vcc_lo, exec_lo, s3
	s_cbranch_vccnz .LBB26_3
.LBB26_2:
	v_cvt_f32_u32_e32 v1, s16
	s_sub_co_i32 s7, 0, s16
	s_mov_b32 s21, 0
	s_delay_alu instid0(VALU_DEP_1) | instskip(SKIP_1) | instid1(TRANS32_DEP_1)
	v_rcp_iflag_f32_e32 v1, v1
	v_nop
	v_mul_f32_e32 v1, 0x4f7ffffe, v1
	s_delay_alu instid0(VALU_DEP_1) | instskip(NEXT) | instid1(VALU_DEP_1)
	v_cvt_u32_f32_e32 v1, v1
	v_readfirstlane_b32 s3, v1
	s_mul_i32 s7, s7, s3
	s_delay_alu instid0(SALU_CYCLE_1) | instskip(NEXT) | instid1(SALU_CYCLE_1)
	s_mul_hi_u32 s7, s3, s7
	s_add_co_i32 s3, s3, s7
	s_delay_alu instid0(SALU_CYCLE_1) | instskip(NEXT) | instid1(SALU_CYCLE_1)
	s_mul_hi_u32 s3, s8, s3
	s_mul_i32 s7, s3, s16
	s_delay_alu instid0(SALU_CYCLE_1)
	s_sub_co_i32 s7, s8, s7
	s_add_co_i32 s8, s3, 1
	s_sub_co_i32 s9, s7, s16
	s_cmp_ge_u32 s7, s16
	s_cselect_b32 s3, s8, s3
	s_cselect_b32 s7, s9, s7
	s_add_co_i32 s8, s3, 1
	s_cmp_ge_u32 s7, s16
	s_cselect_b32 s20, s8, s3
.LBB26_3:
	s_add_co_i32 s8, s2, 1
	s_delay_alu instid0(SALU_CYCLE_1) | instskip(NEXT) | instid1(SALU_CYCLE_1)
	s_ashr_i32 s9, s8, 31
	s_mul_u64 s[8:9], s[18:19], s[8:9]
	s_delay_alu instid0(SALU_CYCLE_1) | instskip(NEXT) | instid1(SALU_CYCLE_1)
	s_and_b64 s[10:11], s[8:9], 0xffffffff00000000
	s_cmp_lg_u64 s[10:11], 0
	s_cbranch_scc0 .LBB26_22
; %bb.4:
	s_add_nc_u64 s[10:11], s[16:17], 0
	s_delay_alu instid0(SALU_CYCLE_1) | instskip(SKIP_4) | instid1(SALU_CYCLE_2)
	s_xor_b64 s[12:13], s[10:11], 0
	s_mov_b32 s11, 0
	s_cvt_f32_u32 s3, s12
	s_cvt_f32_u32 s7, s13
	s_sub_nc_u64 s[24:25], 0, s[12:13]
	s_fmamk_f32 s3, s7, 0x4f800000, s3
	s_delay_alu instid0(SALU_CYCLE_3) | instskip(NEXT) | instid1(TRANS32_DEP_1)
	v_s_rcp_f32 s3, s3
	s_mul_f32 s3, s3, 0x5f7ffffc
	s_delay_alu instid0(SALU_CYCLE_3) | instskip(NEXT) | instid1(SALU_CYCLE_3)
	s_mul_f32 s7, s3, 0x2f800000
	s_trunc_f32 s7, s7
	s_delay_alu instid0(SALU_CYCLE_3) | instskip(SKIP_1) | instid1(SALU_CYCLE_2)
	s_fmamk_f32 s3, s7, 0xcf800000, s3
	s_cvt_u32_f32 s23, s7
	s_cvt_u32_f32 s22, s3
	s_delay_alu instid0(SALU_CYCLE_3) | instskip(NEXT) | instid1(SALU_CYCLE_1)
	s_mul_u64 s[26:27], s[24:25], s[22:23]
	s_mul_hi_u32 s29, s22, s27
	s_mul_i32 s28, s22, s27
	s_mul_hi_u32 s10, s22, s26
	s_mul_i32 s7, s23, s26
	s_add_nc_u64 s[28:29], s[10:11], s[28:29]
	s_mul_hi_u32 s3, s23, s26
	s_mul_hi_u32 s14, s23, s27
	s_add_co_u32 s7, s28, s7
	s_add_co_ci_u32 s10, s29, s3
	s_mul_i32 s26, s23, s27
	s_add_co_ci_u32 s27, s14, 0
	s_delay_alu instid0(SALU_CYCLE_1) | instskip(NEXT) | instid1(SALU_CYCLE_1)
	s_add_nc_u64 s[26:27], s[10:11], s[26:27]
	s_add_co_u32 s22, s22, s26
	s_cselect_b32 s3, -1, 0
	s_delay_alu instid0(SALU_CYCLE_1) | instskip(SKIP_1) | instid1(SALU_CYCLE_1)
	s_cmp_lg_u32 s3, 0
	s_add_co_ci_u32 s23, s23, s27
	s_mul_u64 s[24:25], s[24:25], s[22:23]
	s_delay_alu instid0(SALU_CYCLE_1)
	s_mul_hi_u32 s27, s22, s25
	s_mul_i32 s26, s22, s25
	s_mul_hi_u32 s10, s22, s24
	s_mul_i32 s7, s23, s24
	s_add_nc_u64 s[26:27], s[10:11], s[26:27]
	s_mul_hi_u32 s3, s23, s24
	s_mul_hi_u32 s14, s23, s25
	s_add_co_u32 s7, s26, s7
	s_add_co_ci_u32 s10, s27, s3
	s_mul_i32 s24, s23, s25
	s_add_co_ci_u32 s25, s14, 0
	s_delay_alu instid0(SALU_CYCLE_1) | instskip(NEXT) | instid1(SALU_CYCLE_1)
	s_add_nc_u64 s[24:25], s[10:11], s[24:25]
	s_add_co_u32 s3, s22, s24
	s_cselect_b32 s7, -1, 0
	s_delay_alu instid0(SALU_CYCLE_1) | instskip(SKIP_2) | instid1(SALU_CYCLE_1)
	s_cmp_lg_u32 s7, 0
	s_add_co_ci_u32 s7, s23, s25
	s_ashr_i32 s22, s9, 31
	s_mov_b32 s23, s22
	s_delay_alu instid0(SALU_CYCLE_1) | instskip(NEXT) | instid1(SALU_CYCLE_1)
	s_add_nc_u64 s[24:25], s[8:9], s[22:23]
	s_xor_b64 s[24:25], s[24:25], s[22:23]
	s_delay_alu instid0(SALU_CYCLE_1)
	s_mul_hi_u32 s27, s24, s7
	s_mul_i32 s26, s24, s7
	s_mul_hi_u32 s10, s24, s3
	s_mul_hi_u32 s14, s25, s3
	s_mul_i32 s3, s25, s3
	s_add_nc_u64 s[26:27], s[10:11], s[26:27]
	s_mul_hi_u32 s9, s25, s7
	s_add_co_u32 s3, s26, s3
	s_add_co_ci_u32 s10, s27, s14
	s_mul_i32 s28, s25, s7
	s_add_co_ci_u32 s29, s9, 0
	s_delay_alu instid0(SALU_CYCLE_1) | instskip(NEXT) | instid1(SALU_CYCLE_1)
	s_add_nc_u64 s[26:27], s[10:11], s[28:29]
	s_and_b64 s[28:29], s[26:27], 0xffffffff00000000
	s_delay_alu instid0(SALU_CYCLE_1) | instskip(NEXT) | instid1(SALU_CYCLE_1)
	s_or_b32 s28, s28, s26
	s_mul_u64 s[26:27], s[12:13], s[28:29]
	s_add_nc_u64 s[30:31], s[28:29], 1
	s_sub_co_u32 s3, s24, s26
	s_cselect_b32 s7, -1, 0
	s_sub_co_i32 s9, s25, s27
	s_cmp_lg_u32 s7, 0
	s_add_nc_u64 s[34:35], s[28:29], 2
	s_sub_co_ci_u32 s9, s9, s13
	s_sub_co_u32 s10, s3, s12
	s_cselect_b32 s14, -1, 0
	s_delay_alu instid0(SALU_CYCLE_1) | instskip(SKIP_1) | instid1(SALU_CYCLE_1)
	s_cmp_lg_u32 s14, 0
	s_sub_co_ci_u32 s9, s9, 0
	s_cmp_ge_u32 s9, s13
	s_cselect_b32 s14, -1, 0
	s_cmp_ge_u32 s10, s12
	s_cselect_b32 s10, -1, 0
	s_cmp_eq_u32 s9, s13
	s_cselect_b32 s9, s10, s14
	s_delay_alu instid0(SALU_CYCLE_1) | instskip(SKIP_4) | instid1(SALU_CYCLE_1)
	s_cmp_lg_u32 s9, 0
	s_cselect_b32 s9, s34, s30
	s_cselect_b32 s10, s35, s31
	s_cmp_lg_u32 s7, 0
	s_sub_co_ci_u32 s7, s25, s27
	s_cmp_ge_u32 s7, s13
	s_cselect_b32 s14, -1, 0
	s_cmp_ge_u32 s3, s12
	s_cselect_b32 s3, -1, 0
	s_cmp_eq_u32 s7, s13
	s_cselect_b32 s3, s3, s14
	s_delay_alu instid0(SALU_CYCLE_1) | instskip(SKIP_3) | instid1(SALU_CYCLE_1)
	s_cmp_lg_u32 s3, 0
	s_cselect_b32 s13, s10, s29
	s_cselect_b32 s12, s9, s28
	s_xor_b64 s[22:23], s[22:23], 0
	s_xor_b64 s[12:13], s[12:13], s[22:23]
	s_delay_alu instid0(SALU_CYCLE_1)
	s_sub_nc_u64 s[24:25], s[12:13], s[22:23]
	s_load_b96 s[12:14], s[0:1], 0x44
	s_cbranch_execnz .LBB26_6
.LBB26_5:
	v_cvt_f32_u32_e32 v1, s16
	s_sub_co_i32 s7, 0, s16
	s_delay_alu instid0(VALU_DEP_1) | instskip(SKIP_1) | instid1(TRANS32_DEP_1)
	v_rcp_iflag_f32_e32 v1, v1
	v_nop
	v_mul_f32_e32 v1, 0x4f7ffffe, v1
	s_delay_alu instid0(VALU_DEP_1) | instskip(NEXT) | instid1(VALU_DEP_1)
	v_cvt_u32_f32_e32 v1, v1
	v_readfirstlane_b32 s3, v1
	s_mul_i32 s7, s7, s3
	s_delay_alu instid0(SALU_CYCLE_1) | instskip(NEXT) | instid1(SALU_CYCLE_1)
	s_mul_hi_u32 s7, s3, s7
	s_add_co_i32 s3, s3, s7
	s_delay_alu instid0(SALU_CYCLE_1) | instskip(NEXT) | instid1(SALU_CYCLE_1)
	s_mul_hi_u32 s3, s8, s3
	s_mul_i32 s7, s3, s16
	s_delay_alu instid0(SALU_CYCLE_1)
	s_sub_co_i32 s7, s8, s7
	s_add_co_i32 s8, s3, 1
	s_sub_co_i32 s9, s7, s16
	s_cmp_ge_u32 s7, s16
	s_cselect_b32 s3, s8, s3
	s_cselect_b32 s7, s9, s7
	s_add_co_i32 s8, s3, 1
	s_cmp_ge_u32 s7, s16
	s_cselect_b32 s24, s8, s3
.LBB26_6:
	s_delay_alu instid0(SALU_CYCLE_1)
	s_cmp_eq_u32 s20, s24
	s_mov_b64 s[8:9], 0xffffffff
	s_cselect_b32 s3, -1, 0
	s_and_b64 s[8:9], s[20:21], s[8:9]
	s_mov_b32 s23, 0
	s_wait_kmcnt 0x0
	s_mov_b32 s22, s12
	s_mov_b32 s25, s23
	s_mul_u64 s[10:11], s[8:9], s[22:23]
	s_delay_alu instid0(SALU_CYCLE_1) | instskip(SKIP_2) | instid1(SALU_CYCLE_1)
	s_add_co_i32 s7, s11, s20
	s_mul_u64 s[10:11], s[24:25], s[22:23]
	s_lshr_b32 s12, s7, s13
	s_mul_i32 s7, s12, s14
	s_delay_alu instid0(SALU_CYCLE_1) | instskip(SKIP_2) | instid1(SALU_CYCLE_1)
	s_cmp_eq_u32 s7, s20
	s_cselect_b32 s7, -1, 0
	s_add_co_i32 s10, s11, s24
	s_lshr_b32 s10, s10, s13
	s_delay_alu instid0(SALU_CYCLE_1)
	s_cmp_eq_u32 s12, s10
	s_mul_i32 s10, s10, s14
	s_cselect_b32 s11, -1, 0
	s_cmp_lg_u32 s10, s24
	s_cselect_b32 s10, -1, 0
	s_or_b32 s3, s3, s7
	s_and_b32 s10, s11, s10
	s_delay_alu instid0(SALU_CYCLE_1) | instskip(NEXT) | instid1(SALU_CYCLE_1)
	s_or_b32 s3, s3, s10
	s_and_b32 vcc_lo, exec_lo, s3
	s_cbranch_vccnz .LBB26_24
; %bb.7:
	s_load_b256 s[24:31], s[0:1], 0x20
	s_bfe_u32 s7, ttmp6, 0x40014
	s_bfe_u32 s33, ttmp6, 0x40010
	s_lshr_b32 s3, ttmp7, 16
	s_add_co_i32 s7, s7, 1
	s_and_b32 s21, ttmp7, 0xffff
	s_add_co_i32 s33, s33, 1
	s_bfe_u32 s10, ttmp6, 0x40008
	s_mul_i32 s7, s3, s7
	s_bfe_u32 s34, ttmp6, 0x40004
	s_mul_i32 s33, s21, s33
	s_mov_b32 s11, s23
	s_add_co_i32 s35, s10, s7
	s_add_co_i32 s34, s34, s33
	s_cmp_eq_u32 s15, 0
	s_cselect_b32 s7, s21, s34
	s_cselect_b32 s3, s3, s35
	s_wait_kmcnt 0x0
	s_mov_b32 s10, s24
	s_delay_alu instid0(SALU_CYCLE_1) | instskip(NEXT) | instid1(SALU_CYCLE_1)
	s_mul_u64 s[8:9], s[8:9], s[10:11]
	s_add_co_i32 s8, s9, s20
	s_delay_alu instid0(SALU_CYCLE_1) | instskip(SKIP_2) | instid1(SALU_CYCLE_1)
	s_lshr_b32 s15, s8, s25
	s_load_b32 s8, s[0:1], 0x40
	s_mul_i32 s9, s15, s26
	s_sub_co_i32 s9, s20, s9
	s_delay_alu instid0(SALU_CYCLE_1) | instskip(NEXT) | instid1(SALU_CYCLE_1)
	s_mul_hi_u32 s10, s9, s27
	s_add_co_i32 s10, s9, s10
	s_delay_alu instid0(SALU_CYCLE_1) | instskip(NEXT) | instid1(SALU_CYCLE_1)
	s_lshr_b32 s21, s10, s28
	s_mul_i32 s10, s21, s29
	s_delay_alu instid0(SALU_CYCLE_1) | instskip(NEXT) | instid1(SALU_CYCLE_1)
	s_sub_co_i32 s10, s9, s10
	s_mul_hi_u32 s9, s10, s30
	s_delay_alu instid0(SALU_CYCLE_1) | instskip(NEXT) | instid1(SALU_CYCLE_1)
	s_add_co_i32 s9, s10, s9
	s_lshr_b32 s25, s9, s31
	s_mov_b32 s9, s23
	s_wait_kmcnt 0x0
	s_mul_i32 s8, s25, s8
	s_lshl_b32 s25, s25, 2
	s_sub_co_i32 s8, s10, s8
	s_delay_alu instid0(SALU_CYCLE_1) | instskip(NEXT) | instid1(SALU_CYCLE_1)
	s_mul_u64 s[10:11], s[8:9], s[22:23]
	s_add_co_i32 s8, s8, s11
	s_delay_alu instid0(SALU_CYCLE_1) | instskip(NEXT) | instid1(SALU_CYCLE_1)
	s_lshr_b32 s24, s8, s13
	s_lshl_b32 s8, s24, 2
	s_delay_alu instid0(SALU_CYCLE_1) | instskip(NEXT) | instid1(SALU_CYCLE_1)
	s_add_co_i32 s8, s8, s7
	s_cmp_lt_i32 s8, s4
	s_cselect_b32 s8, -1, 0
	s_add_co_i32 s25, s25, s3
	s_delay_alu instid0(SALU_CYCLE_1) | instskip(SKIP_1) | instid1(SALU_CYCLE_1)
	s_cmp_lt_i32 s25, s6
	s_cselect_b32 s9, -1, 0
	s_and_b32 s8, s8, s9
	s_delay_alu instid0(SALU_CYCLE_1)
	s_and_not1_b32 vcc_lo, exec_lo, s8
	s_cbranch_vccnz .LBB26_24
; %bb.8:
	s_load_b128 s[8:11], s[0:1], 0x0
	s_wait_xcnt 0x0
	s_mul_i32 s0, s15, s4
	s_mul_i32 s21, s21, s6
	s_add_co_i32 s0, s0, s7
	s_add_co_i32 s1, s25, s21
	s_mul_i32 s0, s0, s5
	s_mul_i32 s4, s5, s24
	s_add_co_i32 s0, s1, s0
	s_mulk_i32 s4, 0x180
	s_mulk_i32 s0, 0x60
	s_lshl_b32 s15, s7, 2
	v_add3_u32 v2, s4, s0, v0
	s_add_nc_u64 s[0:1], s[16:17], 0
	s_add_co_i32 s15, s15, s3
	s_xor_b64 s[6:7], s[0:1], 0
	s_lshl_b32 s0, s2, 4
	s_cvt_f32_u32 s3, s6
	s_cvt_f32_u32 s4, s7
	s_add_co_i32 s0, s15, s0
	v_cvt_f32_u32_e32 v4, s16
	s_wait_kmcnt 0x0
	global_load_b32 v1, v2, s[8:9] scale_offset
	s_fmamk_f32 s3, s4, 0x4f800000, s3
	s_ashr_i32 s1, s0, 31
	s_lshl_b32 s24, s16, 6
	s_lshl_b64 s[0:1], s[0:1], 3
	v_s_rcp_f32 s3, s3
	s_add_nc_u64 s[0:1], s[10:11], s[0:1]
	v_rcp_iflag_f32_e32 v4, v4
	s_load_b64 s[28:29], s[0:1], 0x0
	s_mov_b32 s25, 0
	v_mad_u32 v6, 0x60, s15, v0
	v_ashrrev_i32_e32 v3, 31, v2
	s_wait_xcnt 0x0
	s_lshl_b64 s[0:1], s[24:25], 2
	s_mul_f32 s3, s3, 0x5f7ffffc
	v_mul_f32_e32 v4, 0x4f7ffffe, v4
	s_add_nc_u64 s[26:27], s[10:11], s[0:1]
	v_lshl_add_u64 v[2:3], v[2:3], 2, s[8:9]
	s_mul_f32 s4, s3, 0x2f800000
	s_mov_b64 s[8:9], 0xffffffff
	v_cvt_u32_f32_e32 v7, v4
	s_add_co_i32 s36, s2, -1
	s_trunc_f32 s4, s4
	s_sub_nc_u64 s[34:35], 0, s[6:7]
	s_delay_alu instid0(SALU_CYCLE_2)
	s_fmamk_f32 s0, s4, 0xcf800000, s3
	s_cvt_u32_f32 s31, s4
	s_wait_kmcnt 0x0
	v_mov_b32_e32 v0, s29
	s_cvt_u32_f32 s30, s0
.LBB26_9:                               ; =>This Inner Loop Header: Depth=1
	s_ashr_i32 s37, s36, 31
                                        ; implicit-def: $sgpr40_sgpr41
	s_delay_alu instid0(SALU_CYCLE_1) | instskip(NEXT) | instid1(SALU_CYCLE_1)
	s_mul_u64 s[0:1], s[36:37], s[18:19]
	s_and_b64 s[2:3], s[0:1], 0xffffffff00000000
	s_delay_alu instid0(SALU_CYCLE_1)
	s_cmp_lg_u64 s[2:3], 0
	s_mov_b32 s2, -1
	s_cbranch_scc0 .LBB26_11
; %bb.10:                               ;   in Loop: Header=BB26_9 Depth=1
	s_mul_u64 s[2:3], s[34:35], s[30:31]
	s_delay_alu instid0(SALU_CYCLE_1)
	s_mul_hi_u32 s5, s30, s3
	s_mul_i32 s4, s30, s3
	s_mul_hi_u32 s24, s30, s2
	s_mul_hi_u32 s17, s31, s2
	s_add_nc_u64 s[4:5], s[24:25], s[4:5]
	s_mul_i32 s2, s31, s2
	s_mul_hi_u32 s21, s31, s3
	s_add_co_u32 s2, s4, s2
	s_add_co_ci_u32 s24, s5, s17
	s_add_co_ci_u32 s5, s21, 0
	s_mul_i32 s4, s31, s3
	s_delay_alu instid0(SALU_CYCLE_1) | instskip(NEXT) | instid1(SALU_CYCLE_1)
	s_add_nc_u64 s[2:3], s[24:25], s[4:5]
	s_add_co_u32 s2, s30, s2
	s_cselect_b32 s4, -1, 0
	s_delay_alu instid0(SALU_CYCLE_1) | instskip(SKIP_1) | instid1(SALU_CYCLE_1)
	s_cmp_lg_u32 s4, 0
	s_add_co_ci_u32 s3, s31, s3
	s_mul_u64 s[4:5], s[34:35], s[2:3]
	s_delay_alu instid0(SALU_CYCLE_1)
	s_mul_hi_u32 s39, s2, s5
	s_mul_i32 s38, s2, s5
	s_mul_hi_u32 s24, s2, s4
	s_mul_hi_u32 s17, s3, s4
	s_mul_i32 s4, s3, s4
	s_add_nc_u64 s[38:39], s[24:25], s[38:39]
	s_mul_hi_u32 s21, s3, s5
	s_add_co_u32 s4, s38, s4
	s_add_co_ci_u32 s24, s39, s17
	s_mul_i32 s4, s3, s5
	s_add_co_ci_u32 s5, s21, 0
	s_delay_alu instid0(SALU_CYCLE_1) | instskip(NEXT) | instid1(SALU_CYCLE_1)
	s_add_nc_u64 s[4:5], s[24:25], s[4:5]
	s_add_co_u32 s17, s2, s4
	s_cselect_b32 s2, -1, 0
	s_delay_alu instid0(SALU_CYCLE_1) | instskip(SKIP_2) | instid1(SALU_CYCLE_1)
	s_cmp_lg_u32 s2, 0
	s_add_co_ci_u32 s21, s3, s5
	s_ashr_i32 s2, s1, 31
	s_mov_b32 s3, s2
	s_delay_alu instid0(SALU_CYCLE_1) | instskip(NEXT) | instid1(SALU_CYCLE_1)
	s_add_nc_u64 s[4:5], s[0:1], s[2:3]
	s_xor_b64 s[4:5], s[4:5], s[2:3]
	s_delay_alu instid0(SALU_CYCLE_1)
	s_mul_hi_u32 s39, s4, s21
	s_mul_i32 s38, s4, s21
	s_mul_hi_u32 s24, s4, s17
	s_mul_hi_u32 s29, s5, s17
	s_mul_i32 s17, s5, s17
	s_add_nc_u64 s[38:39], s[24:25], s[38:39]
	s_mul_hi_u32 s1, s5, s21
	s_add_co_u32 s17, s38, s17
	s_add_co_ci_u32 s24, s39, s29
	s_mul_i32 s40, s5, s21
	s_add_co_ci_u32 s41, s1, 0
	s_delay_alu instid0(SALU_CYCLE_1) | instskip(NEXT) | instid1(SALU_CYCLE_1)
	s_add_nc_u64 s[38:39], s[24:25], s[40:41]
	s_and_b64 s[40:41], s[38:39], 0xffffffff00000000
	s_delay_alu instid0(SALU_CYCLE_1) | instskip(NEXT) | instid1(SALU_CYCLE_1)
	s_or_b32 s40, s40, s38
	s_mul_u64 s[38:39], s[6:7], s[40:41]
	s_add_nc_u64 s[42:43], s[40:41], 1
	s_sub_co_u32 s1, s4, s38
	s_cselect_b32 s4, -1, 0
	s_sub_co_i32 s17, s5, s39
	s_cmp_lg_u32 s4, 0
	s_add_nc_u64 s[44:45], s[40:41], 2
	s_sub_co_ci_u32 s17, s17, s7
	s_sub_co_u32 s21, s1, s6
	s_cselect_b32 s24, -1, 0
	s_delay_alu instid0(SALU_CYCLE_1) | instskip(SKIP_1) | instid1(SALU_CYCLE_1)
	s_cmp_lg_u32 s24, 0
	s_sub_co_ci_u32 s17, s17, 0
	s_cmp_ge_u32 s17, s7
	s_cselect_b32 s24, -1, 0
	s_cmp_ge_u32 s21, s6
	s_cselect_b32 s21, -1, 0
	s_cmp_eq_u32 s17, s7
	s_cselect_b32 s17, s21, s24
	s_delay_alu instid0(SALU_CYCLE_1) | instskip(SKIP_4) | instid1(SALU_CYCLE_1)
	s_cmp_lg_u32 s17, 0
	s_cselect_b32 s17, s44, s42
	s_cselect_b32 s21, s45, s43
	s_cmp_lg_u32 s4, 0
	s_sub_co_ci_u32 s4, s5, s39
	s_cmp_ge_u32 s4, s7
	s_cselect_b32 s5, -1, 0
	s_cmp_ge_u32 s1, s6
	s_cselect_b32 s1, -1, 0
	s_cmp_eq_u32 s4, s7
	s_cselect_b32 s1, s1, s5
	s_delay_alu instid0(SALU_CYCLE_1) | instskip(SKIP_3) | instid1(SALU_CYCLE_1)
	s_cmp_lg_u32 s1, 0
	s_cselect_b32 s5, s21, s41
	s_cselect_b32 s4, s17, s40
	s_xor_b64 s[2:3], s[2:3], 0
	s_xor_b64 s[4:5], s[4:5], s[2:3]
	s_delay_alu instid0(SALU_CYCLE_1)
	s_sub_nc_u64 s[40:41], s[4:5], s[2:3]
	s_mov_b32 s2, 0
.LBB26_11:                              ;   in Loop: Header=BB26_9 Depth=1
	s_delay_alu instid0(SALU_CYCLE_1)
	s_and_not1_b32 vcc_lo, exec_lo, s2
	s_cbranch_vccnz .LBB26_13
; %bb.12:                               ;   in Loop: Header=BB26_9 Depth=1
	v_readfirstlane_b32 s1, v7
	s_sub_co_i32 s2, 0, s16
	s_delay_alu instid0(SALU_CYCLE_1) | instskip(NEXT) | instid1(SALU_CYCLE_1)
	s_mul_i32 s2, s2, s1
	s_mul_hi_u32 s2, s1, s2
	s_delay_alu instid0(SALU_CYCLE_1) | instskip(NEXT) | instid1(SALU_CYCLE_1)
	s_add_co_i32 s1, s1, s2
	s_mul_hi_u32 s1, s0, s1
	s_delay_alu instid0(SALU_CYCLE_1) | instskip(NEXT) | instid1(SALU_CYCLE_1)
	s_mul_i32 s2, s1, s16
	s_sub_co_i32 s0, s0, s2
	s_add_co_i32 s2, s1, 1
	s_sub_co_i32 s3, s0, s16
	s_cmp_ge_u32 s0, s16
	s_cselect_b32 s1, s2, s1
	s_cselect_b32 s0, s3, s0
	s_add_co_i32 s2, s1, 1
	s_cmp_ge_u32 s0, s16
	s_cselect_b32 s24, s2, s1
	s_delay_alu instid0(SALU_CYCLE_1)
	s_mov_b64 s[40:41], s[24:25]
.LBB26_13:                              ;   in Loop: Header=BB26_9 Depth=1
	s_delay_alu instid0(SALU_CYCLE_1)
	s_cmp_lg_u32 s20, s40
	s_mov_b32 s0, -1
                                        ; implicit-def: $vgpr4_vgpr5
                                        ; implicit-def: $sgpr24
                                        ; implicit-def: $sgpr17
                                        ; implicit-def: $sgpr21
                                        ; implicit-def: $sgpr29
	s_cbranch_scc0 .LBB26_18
; %bb.14:                               ;   in Loop: Header=BB26_9 Depth=1
	s_add_co_i32 s0, s36, s16
	v_max_num_f32_e64 v4, s28, s28
	s_lshl_b32 s0, s0, 4
	s_mov_b32 s29, s20
	s_add_co_i32 s0, s0, s15
	s_load_b64 s[38:39], s[10:11], s0 offset:0x0 scale_offset
	s_wait_xcnt 0x0
	v_readfirstlane_b32 s0, v4
	s_wait_kmcnt 0x0
	v_max_num_f32_e64 v5, s38, s38
	s_delay_alu instid0(VALU_DEP_1) | instskip(SKIP_1) | instid1(SALU_CYCLE_3)
	v_readfirstlane_b32 s1, v5
	s_max_num_f32 s17, s0, s1
	s_sub_f32 s33, s28, s17
	s_sub_f32 s37, s38, s17
	s_delay_alu instid0(SALU_CYCLE_2)
	s_cmp_nlt_f32 s33, 0xc2ce8ed0
	s_cselect_b32 s1, -1, 0
	s_cmp_ngt_f32 s33, 0x42b17218
	s_cselect_b32 s2, -1, 0
	s_cmp_ge_f32 s33, 0xc1a00000
	s_cselect_b32 s0, -1, 0
	s_cmp_nlt_f32 s37, 0xc2ce8ed0
	s_cselect_b32 s3, -1, 0
	s_cmp_ngt_f32 s37, 0x42b17218
	s_cselect_b32 s4, -1, 0
	s_cmp_ge_f32 s37, 0xc1a00000
	s_cselect_b32 s5, -1, 0
	s_and_b64 s[42:43], s[40:41], s[8:9]
	s_delay_alu instid0(SALU_CYCLE_1) | instskip(NEXT) | instid1(SALU_CYCLE_1)
	s_mul_u64 s[42:43], s[42:43], s[22:23]
	s_add_co_i32 s21, s43, s40
	s_delay_alu instid0(SALU_CYCLE_1) | instskip(NEXT) | instid1(SALU_CYCLE_1)
	s_lshr_b32 s21, s21, s13
	s_mul_i32 s24, s21, s14
	s_delay_alu instid0(SALU_CYCLE_1) | instskip(SKIP_3) | instid1(SALU_CYCLE_1)
	s_cmp_eq_u32 s24, s40
	s_cselect_b32 s24, -1, 0
	s_cmp_lt_u32 s21, s12
	s_cselect_b32 s21, -1, 0
	s_or_b32 s21, s21, s24
	s_mov_b32 s24, -1
	s_and_b32 vcc_lo, exec_lo, s21
	s_mov_b32 s21, s36
	s_cbranch_vccnz .LBB26_16
; %bb.15:                               ;   in Loop: Header=BB26_9 Depth=1
	s_add_co_i32 s21, s36, -1
	s_mov_b32 s24, 0
	s_mov_b32 s29, s40
.LBB26_16:                              ;   in Loop: Header=BB26_9 Depth=1
	v_mad_u32 v4, 0x600, s36, v6
	s_mul_f32 s40, s33, 0x3fb8aa3b
	s_mul_f32 s38, s37, 0x3fb8aa3b
	s_delay_alu instid0(SALU_CYCLE_2)
	s_xor_b32 s42, s40, 0x80000000
	s_rndne_f32 s44, s40
	s_fmamk_f32 s42, s33, 0x3fb8aa3b, s42
	s_xor_b32 s41, s38, 0x80000000
	s_rndne_f32 s43, s38
	s_sub_f32 s40, s40, s44
	global_load_b32 v5, v4, s[26:27] scale_offset
	s_fmamk_f32 s33, s33, 0x32a5705f, s42
	s_fmamk_f32 s41, s37, 0x3fb8aa3b, s41
	s_sub_f32 s38, s38, s43
	s_delay_alu instid0(SALU_CYCLE_1) | instskip(NEXT) | instid1(SALU_CYCLE_1)
	s_add_f32 s33, s40, s33
	s_fmamk_f32 s37, s37, 0x32a5705f, s41
	s_cvt_i32_f32 s40, s44
	s_delay_alu instid0(SALU_CYCLE_1) | instskip(NEXT) | instid1(SALU_CYCLE_1)
	v_s_exp_f32 s33, s33
	s_add_f32 s37, s38, s37
	s_cvt_i32_f32 s38, s43
	s_delay_alu instid0(SALU_CYCLE_2) | instskip(NEXT) | instid1(TRANS32_DEP_2)
	v_s_exp_f32 s37, s37
	v_ldexp_f32 v8, s33, s40
	s_wait_xcnt 0x0
	s_delay_alu instid0(TRANS32_DEP_1) | instskip(NEXT) | instid1(VALU_DEP_2)
	v_ldexp_f32 v4, s37, s38
	v_cndmask_b32_e64 v8, 0, v8, s1
	s_delay_alu instid0(VALU_DEP_1) | instskip(NEXT) | instid1(VALU_DEP_1)
	v_cndmask_b32_e64 v9, 0x7f800000, v8, s2
	v_dual_cndmask_b32 v4, 0, v4, s3 :: v_dual_cndmask_b32 v10, 0, v9, s0
	s_delay_alu instid0(VALU_DEP_1) | instskip(NEXT) | instid1(VALU_DEP_1)
	v_cndmask_b32_e64 v4, 0x7f800000, v4, s4
	v_dual_cndmask_b32 v8, 0, v4, s5 :: v_dual_mov_b32 v4, s39
	s_wait_loadcnt 0x0
	s_delay_alu instid0(VALU_DEP_1) | instskip(NEXT) | instid1(VALU_DEP_1)
	v_pk_mul_f32 v[4:5], v[4:5], v[8:9] op_sel_hi:[1,0]
	v_pk_fma_f32 v[4:5], v[0:1], v[10:11], v[4:5] op_sel_hi:[1,0,1]
	s_cbranch_execz .LBB26_19
.LBB26_17:                              ;   in Loop: Header=BB26_9 Depth=1
	s_and_not1_b32 vcc_lo, exec_lo, s24
	s_cbranch_vccnz .LBB26_20
	s_branch .LBB26_23
.LBB26_18:                              ;   in Loop: Header=BB26_9 Depth=1
	s_and_not1_b32 vcc_lo, exec_lo, s0
	s_cbranch_vccnz .LBB26_17
.LBB26_19:                              ;   in Loop: Header=BB26_9 Depth=1
	s_wait_loadcnt 0x0
	v_mov_b64_e32 v[4:5], v[0:1]
	s_add_co_i32 s21, s36, -1
	s_mov_b32 s29, s20
	s_mov_b32 s17, s28
	s_cbranch_execz .LBB26_23
.LBB26_20:                              ;   in Loop: Header=BB26_9 Depth=1
	s_wait_loadcnt 0x0
	s_delay_alu instid0(VALU_DEP_1)
	v_mov_b64_e32 v[0:1], v[4:5]
	s_mov_b32 s20, s29
	s_mov_b32 s36, s21
	;; [unrolled: 1-line block ×3, first 2 shown]
	s_branch .LBB26_9
.LBB26_21:
                                        ; implicit-def: $sgpr20_sgpr21
	s_branch .LBB26_2
.LBB26_22:
                                        ; implicit-def: $sgpr24_sgpr25
	s_load_b96 s[12:14], s[0:1], 0x44
	s_branch .LBB26_5
.LBB26_23:
	s_delay_alu instid0(VALU_DEP_1) | instskip(SKIP_1) | instid1(VALU_DEP_1)
	v_div_scale_f32 v0, null, v4, v4, v5
	s_wait_loadcnt 0x0
	v_rcp_f32_e32 v1, v0
	v_nop
	s_delay_alu instid0(TRANS32_DEP_1) | instskip(NEXT) | instid1(VALU_DEP_1)
	v_fma_f32 v6, -v0, v1, 1.0
	v_fmac_f32_e32 v1, v6, v1
	v_div_scale_f32 v6, vcc_lo, v5, v4, v5
	s_delay_alu instid0(VALU_DEP_1) | instskip(NEXT) | instid1(VALU_DEP_1)
	v_mul_f32_e32 v7, v6, v1
	v_fma_f32 v8, -v0, v7, v6
	s_delay_alu instid0(VALU_DEP_1) | instskip(NEXT) | instid1(VALU_DEP_1)
	v_fmac_f32_e32 v7, v8, v1
	v_fma_f32 v0, -v0, v7, v6
	s_delay_alu instid0(VALU_DEP_1) | instskip(NEXT) | instid1(VALU_DEP_1)
	v_div_fmas_f32 v0, v0, v1, v7
	v_div_fixup_f32 v0, v0, v4, v5
	global_store_b32 v[2:3], v0, off
.LBB26_24:
	s_endpgm
	.section	.rodata,"a",@progbits
	.p2align	6, 0x0
	.amdhsa_kernel _ZL33flash_attn_stream_k_fixup_generalILi96ELi4ELi4EEvPfPK15HIP_vector_typeIfLj2EEiiiiS1_IjLj3EES5_S5_S5_
		.amdhsa_group_segment_fixed_size 0
		.amdhsa_private_segment_fixed_size 0
		.amdhsa_kernarg_size 336
		.amdhsa_user_sgpr_count 2
		.amdhsa_user_sgpr_dispatch_ptr 0
		.amdhsa_user_sgpr_queue_ptr 0
		.amdhsa_user_sgpr_kernarg_segment_ptr 1
		.amdhsa_user_sgpr_dispatch_id 0
		.amdhsa_user_sgpr_kernarg_preload_length 0
		.amdhsa_user_sgpr_kernarg_preload_offset 0
		.amdhsa_user_sgpr_private_segment_size 0
		.amdhsa_wavefront_size32 1
		.amdhsa_uses_dynamic_stack 0
		.amdhsa_enable_private_segment 0
		.amdhsa_system_sgpr_workgroup_id_x 1
		.amdhsa_system_sgpr_workgroup_id_y 1
		.amdhsa_system_sgpr_workgroup_id_z 1
		.amdhsa_system_sgpr_workgroup_info 0
		.amdhsa_system_vgpr_workitem_id 0
		.amdhsa_next_free_vgpr 12
		.amdhsa_next_free_sgpr 46
		.amdhsa_named_barrier_count 0
		.amdhsa_reserve_vcc 1
		.amdhsa_float_round_mode_32 0
		.amdhsa_float_round_mode_16_64 0
		.amdhsa_float_denorm_mode_32 3
		.amdhsa_float_denorm_mode_16_64 3
		.amdhsa_fp16_overflow 0
		.amdhsa_memory_ordered 1
		.amdhsa_forward_progress 1
		.amdhsa_inst_pref_size 27
		.amdhsa_round_robin_scheduling 0
		.amdhsa_exception_fp_ieee_invalid_op 0
		.amdhsa_exception_fp_denorm_src 0
		.amdhsa_exception_fp_ieee_div_zero 0
		.amdhsa_exception_fp_ieee_overflow 0
		.amdhsa_exception_fp_ieee_underflow 0
		.amdhsa_exception_fp_ieee_inexact 0
		.amdhsa_exception_int_div_zero 0
	.end_amdhsa_kernel
	.section	.text._ZL33flash_attn_stream_k_fixup_generalILi96ELi4ELi4EEvPfPK15HIP_vector_typeIfLj2EEiiiiS1_IjLj3EES5_S5_S5_,"axG",@progbits,_ZL33flash_attn_stream_k_fixup_generalILi96ELi4ELi4EEvPfPK15HIP_vector_typeIfLj2EEiiiiS1_IjLj3EES5_S5_S5_,comdat
.Lfunc_end26:
	.size	_ZL33flash_attn_stream_k_fixup_generalILi96ELi4ELi4EEvPfPK15HIP_vector_typeIfLj2EEiiiiS1_IjLj3EES5_S5_S5_, .Lfunc_end26-_ZL33flash_attn_stream_k_fixup_generalILi96ELi4ELi4EEvPfPK15HIP_vector_typeIfLj2EEiiiiS1_IjLj3EES5_S5_S5_
                                        ; -- End function
	.set _ZL33flash_attn_stream_k_fixup_generalILi96ELi4ELi4EEvPfPK15HIP_vector_typeIfLj2EEiiiiS1_IjLj3EES5_S5_S5_.num_vgpr, 12
	.set _ZL33flash_attn_stream_k_fixup_generalILi96ELi4ELi4EEvPfPK15HIP_vector_typeIfLj2EEiiiiS1_IjLj3EES5_S5_S5_.num_agpr, 0
	.set _ZL33flash_attn_stream_k_fixup_generalILi96ELi4ELi4EEvPfPK15HIP_vector_typeIfLj2EEiiiiS1_IjLj3EES5_S5_S5_.numbered_sgpr, 46
	.set _ZL33flash_attn_stream_k_fixup_generalILi96ELi4ELi4EEvPfPK15HIP_vector_typeIfLj2EEiiiiS1_IjLj3EES5_S5_S5_.num_named_barrier, 0
	.set _ZL33flash_attn_stream_k_fixup_generalILi96ELi4ELi4EEvPfPK15HIP_vector_typeIfLj2EEiiiiS1_IjLj3EES5_S5_S5_.private_seg_size, 0
	.set _ZL33flash_attn_stream_k_fixup_generalILi96ELi4ELi4EEvPfPK15HIP_vector_typeIfLj2EEiiiiS1_IjLj3EES5_S5_S5_.uses_vcc, 1
	.set _ZL33flash_attn_stream_k_fixup_generalILi96ELi4ELi4EEvPfPK15HIP_vector_typeIfLj2EEiiiiS1_IjLj3EES5_S5_S5_.uses_flat_scratch, 0
	.set _ZL33flash_attn_stream_k_fixup_generalILi96ELi4ELi4EEvPfPK15HIP_vector_typeIfLj2EEiiiiS1_IjLj3EES5_S5_S5_.has_dyn_sized_stack, 0
	.set _ZL33flash_attn_stream_k_fixup_generalILi96ELi4ELi4EEvPfPK15HIP_vector_typeIfLj2EEiiiiS1_IjLj3EES5_S5_S5_.has_recursion, 0
	.set _ZL33flash_attn_stream_k_fixup_generalILi96ELi4ELi4EEvPfPK15HIP_vector_typeIfLj2EEiiiiS1_IjLj3EES5_S5_S5_.has_indirect_call, 0
	.section	.AMDGPU.csdata,"",@progbits
; Kernel info:
; codeLenInByte = 3352
; TotalNumSgprs: 48
; NumVgprs: 12
; ScratchSize: 0
; MemoryBound: 0
; FloatMode: 240
; IeeeMode: 1
; LDSByteSize: 0 bytes/workgroup (compile time only)
; SGPRBlocks: 0
; VGPRBlocks: 0
; NumSGPRsForWavesPerEU: 48
; NumVGPRsForWavesPerEU: 12
; NamedBarCnt: 0
; Occupancy: 16
; WaveLimiterHint : 0
; COMPUTE_PGM_RSRC2:SCRATCH_EN: 0
; COMPUTE_PGM_RSRC2:USER_SGPR: 2
; COMPUTE_PGM_RSRC2:TRAP_HANDLER: 0
; COMPUTE_PGM_RSRC2:TGID_X_EN: 1
; COMPUTE_PGM_RSRC2:TGID_Y_EN: 1
; COMPUTE_PGM_RSRC2:TGID_Z_EN: 1
; COMPUTE_PGM_RSRC2:TIDIG_COMP_CNT: 0
	.section	.text._ZL15flash_attn_tileILi96ELi96ELi2ELi4ELb0EEvPKcS1_S1_S1_S1_PKiPfP15HIP_vector_typeIfLj2EEffffjfiS5_IjLj3EEiiiiiiiiiiiliiliiiiil,"axG",@progbits,_ZL15flash_attn_tileILi96ELi96ELi2ELi4ELb0EEvPKcS1_S1_S1_S1_PKiPfP15HIP_vector_typeIfLj2EEffffjfiS5_IjLj3EEiiiiiiiiiiiliiliiiiil,comdat
	.globl	_ZL15flash_attn_tileILi96ELi96ELi2ELi4ELb0EEvPKcS1_S1_S1_S1_PKiPfP15HIP_vector_typeIfLj2EEffffjfiS5_IjLj3EEiiiiiiiiiiiliiliiiiil ; -- Begin function _ZL15flash_attn_tileILi96ELi96ELi2ELi4ELb0EEvPKcS1_S1_S1_S1_PKiPfP15HIP_vector_typeIfLj2EEffffjfiS5_IjLj3EEiiiiiiiiiiiliiliiiiil
	.p2align	8
	.type	_ZL15flash_attn_tileILi96ELi96ELi2ELi4ELb0EEvPKcS1_S1_S1_S1_PKiPfP15HIP_vector_typeIfLj2EEffffjfiS5_IjLj3EEiiiiiiiiiiiliiliiiiil,@function
_ZL15flash_attn_tileILi96ELi96ELi2ELi4ELb0EEvPKcS1_S1_S1_S1_PKiPfP15HIP_vector_typeIfLj2EEffffjfiS5_IjLj3EEiiiiiiiiiiiliiliiiiil: ; @_ZL15flash_attn_tileILi96ELi96ELi2ELi4ELb0EEvPKcS1_S1_S1_S1_PKiPfP15HIP_vector_typeIfLj2EEffffjfiS5_IjLj3EEiiiiiiiiiiiliiliiiiil
; %bb.0:
	s_clause 0x1
	s_load_b128 s[20:23], s[0:1], 0x5c
	s_load_b64 s[30:31], s[0:1], 0x80
	s_bfe_u32 s5, ttmp6, 0x40014
	s_lshr_b32 s4, ttmp7, 16
	s_add_co_i32 s5, s5, 1
	s_bfe_u32 s6, ttmp6, 0x40008
	s_mul_i32 s5, s4, s5
	s_getreg_b32 s24, hwreg(HW_REG_IB_STS2, 6, 4)
	s_add_co_i32 s6, s6, s5
	s_mov_b32 s37, 0
	s_mov_b64 s[34:35], 0
	s_wait_kmcnt 0x0
	s_ashr_i32 s2, s23, 31
	s_delay_alu instid0(SALU_CYCLE_1) | instskip(NEXT) | instid1(SALU_CYCLE_1)
	s_lshr_b32 s2, s2, 30
	s_add_co_i32 s2, s23, s2
	s_delay_alu instid0(SALU_CYCLE_1) | instskip(NEXT) | instid1(SALU_CYCLE_1)
	s_ashr_i32 s2, s2, 2
	s_cvt_f32_u32 s3, s2
	s_sub_co_i32 s7, 0, s2
	s_delay_alu instid0(SALU_CYCLE_2) | instskip(SKIP_1) | instid1(TRANS32_DEP_1)
	v_rcp_iflag_f32_e32 v1, s3
	v_nop
	v_readfirstlane_b32 s3, v1
	s_mul_f32 s3, s3, 0x4f7ffffe
	s_delay_alu instid0(SALU_CYCLE_3) | instskip(NEXT) | instid1(SALU_CYCLE_3)
	s_cvt_u32_f32 s3, s3
	s_mul_i32 s7, s7, s3
	s_delay_alu instid0(SALU_CYCLE_1) | instskip(NEXT) | instid1(SALU_CYCLE_1)
	s_mul_hi_u32 s7, s3, s7
	s_add_co_i32 s3, s3, s7
	s_cmp_eq_u32 s24, 0
	s_cselect_b32 s4, s4, s6
	s_delay_alu instid0(SALU_CYCLE_1) | instskip(NEXT) | instid1(SALU_CYCLE_1)
	s_mul_hi_u32 s3, s4, s3
	s_mul_i32 s5, s3, s2
	s_add_co_i32 s6, s3, 1
	s_sub_co_i32 s5, s4, s5
	s_delay_alu instid0(SALU_CYCLE_1)
	s_sub_co_i32 s7, s5, s2
	s_cmp_ge_u32 s5, s2
	s_cselect_b32 s3, s6, s3
	s_cselect_b32 s5, s7, s5
	s_add_co_i32 s6, s3, 1
	s_cmp_ge_u32 s5, s2
	s_cselect_b32 s28, s6, s3
	s_abs_i32 s2, s31
	s_abs_i32 s6, s23
	s_cvt_f32_u32 s3, s2
	s_sub_co_i32 s5, 0, s2
	s_lshl_b32 s25, s4, 2
	s_xor_b32 s4, s23, s31
	v_rcp_iflag_f32_e32 v1, s3
	s_ashr_i32 s26, s4, 31
	v_nop
	s_delay_alu instid0(TRANS32_DEP_1) | instskip(SKIP_1) | instid1(SALU_CYCLE_3)
	v_readfirstlane_b32 s3, v1
	s_mul_f32 s3, s3, 0x4f7ffffe
	s_cvt_u32_f32 s3, s3
	s_delay_alu instid0(SALU_CYCLE_3) | instskip(NEXT) | instid1(SALU_CYCLE_1)
	s_mul_i32 s5, s5, s3
	s_mul_hi_u32 s5, s3, s5
	s_delay_alu instid0(SALU_CYCLE_1) | instskip(NEXT) | instid1(SALU_CYCLE_1)
	s_add_co_i32 s3, s3, s5
	s_mul_hi_u32 s3, s6, s3
	s_delay_alu instid0(SALU_CYCLE_1) | instskip(NEXT) | instid1(SALU_CYCLE_1)
	s_mul_i32 s5, s3, s2
	s_sub_co_i32 s4, s6, s5
	s_add_co_i32 s5, s3, 1
	s_sub_co_i32 s6, s4, s2
	s_cmp_ge_u32 s4, s2
	s_cselect_b32 s3, s5, s3
	s_cselect_b32 s4, s6, s4
	s_add_co_i32 s5, s3, 1
	s_cmp_ge_u32 s4, s2
	s_cselect_b32 s2, s5, s3
	s_load_b512 s[4:19], s[0:1], 0x0
	s_xor_b32 s27, s2, s26
	s_load_b64 s[2:3], s[0:1], 0xb8
	s_sub_co_i32 s29, s27, s26
	s_delay_alu instid0(SALU_CYCLE_1) | instskip(NEXT) | instid1(SALU_CYCLE_1)
	s_abs_i32 s39, s29
	s_cvt_f32_u32 s26, s39
	s_delay_alu instid0(SALU_CYCLE_3) | instskip(SKIP_2) | instid1(TRANS32_DEP_1)
	v_rcp_iflag_f32_e32 v1, s26
	s_mul_i32 s26, s28, s23
	v_nop
	v_readfirstlane_b32 s36, v1
	s_wait_kmcnt 0x0
	s_cmp_eq_u64 s[10:11], 0
	s_cbranch_scc1 .LBB27_2
; %bb.1:
	s_abs_i32 s2, s2
	s_abs_i32 s33, s28
	s_cvt_f32_u32 s27, s2
	s_sub_co_i32 s31, 0, s2
	s_load_b64 s[34:35], s[0:1], 0xc8
	s_delay_alu instid0(SALU_CYCLE_1) | instskip(SKIP_1) | instid1(TRANS32_DEP_1)
	v_rcp_iflag_f32_e32 v1, s27
	v_nop
	v_readfirstlane_b32 s27, v1
	s_mul_f32 s27, s27, 0x4f7ffffe
	s_delay_alu instid0(SALU_CYCLE_3) | instskip(NEXT) | instid1(SALU_CYCLE_3)
	s_cvt_u32_f32 s27, s27
	s_mul_i32 s31, s31, s27
	s_delay_alu instid0(SALU_CYCLE_1) | instskip(NEXT) | instid1(SALU_CYCLE_1)
	s_mul_hi_u32 s31, s27, s31
	s_add_co_i32 s27, s27, s31
	s_ashr_i32 s31, s28, 31
	s_mul_hi_u32 s27, s33, s27
	s_delay_alu instid0(SALU_CYCLE_1) | instskip(NEXT) | instid1(SALU_CYCLE_1)
	s_mul_i32 s27, s27, s2
	s_sub_co_i32 s27, s33, s27
	s_delay_alu instid0(SALU_CYCLE_1) | instskip(SKIP_2) | instid1(SALU_CYCLE_1)
	s_sub_co_i32 s33, s27, s2
	s_cmp_ge_u32 s27, s2
	s_cselect_b32 s27, s33, s27
	s_sub_co_i32 s33, s27, s2
	s_cmp_ge_u32 s27, s2
	s_cselect_b32 s2, s33, s27
	s_delay_alu instid0(SALU_CYCLE_1) | instskip(NEXT) | instid1(SALU_CYCLE_1)
	s_xor_b32 s2, s2, s31
	s_sub_co_i32 s40, s2, s31
	s_delay_alu instid0(SALU_CYCLE_1) | instskip(SKIP_2) | instid1(SALU_CYCLE_1)
	s_ashr_i32 s41, s40, 31
	s_wait_kmcnt 0x0
	s_mul_u64 s[34:35], s[34:35], s[40:41]
	s_add_nc_u64 s[34:35], s[10:11], s[34:35]
.LBB27_2:
	s_bfe_u32 s2, ttmp6, 0x4000c
	v_and_b32_e32 v51, 0x3ff, v0
	s_add_co_i32 s2, s2, 1
	v_bfe_u32 v0, v0, 10, 10
	s_and_b32 s10, ttmp6, 15
	s_mul_i32 s2, ttmp9, s2
	s_sub_co_i32 s31, s25, s26
	s_add_co_i32 s10, s10, s2
	s_movk_i32 s11, 0xc0
	s_cmp_eq_u32 s24, 0
	v_cmp_gt_u32_e64 s2, 24, v51
	v_mad_u32_u24 v57, v0, s11, 0xe80
	v_dual_lshlrev_b32 v61, 3, v51 :: v_dual_bitop2_b32 v40, 3, v0 bitop3:0x40
	v_lshrrev_b32_e32 v60, 2, v0
	s_cselect_b32 s10, ttmp9, s10
	s_delay_alu instid0(SALU_CYCLE_1)
	s_lshl_b32 s33, s10, 1
	s_and_saveexec_b32 s11, s2
	s_cbranch_execz .LBB27_4
; %bb.3:
	v_add_nc_u32_e32 v1, s33, v60
	s_load_b96 s[40:42], s[0:1], 0x70
	v_dual_mov_b32 v41, 0 :: v_dual_lshlrev_b32 v6, 4, v51
	s_delay_alu instid0(VALU_DEP_2) | instskip(NEXT) | instid1(VALU_DEP_2)
	v_mul_hi_u32 v2, s20, v1
	v_dual_mov_b32 v3, v41 :: v_dual_mov_b32 v7, v41
	s_delay_alu instid0(VALU_DEP_2) | instskip(NEXT) | instid1(VALU_DEP_1)
	v_add_nc_u32_e32 v2, v1, v2
	v_lshrrev_b32_e32 v2, s21, v2
	s_wait_kmcnt 0x0
	s_ashr_i32 s27, s41, 31
	s_mov_b32 s26, s41
	s_mul_i32 s44, s31, s41
	s_lshr_b64 s[26:27], s[26:27], 2
	v_mul_lo_u32 v2, v2, s22
	v_mul_u64_e32 v[4:5], s[26:27], v[40:41]
	s_ashr_i32 s41, s40, 31
	s_ashr_i32 s45, s44, 31
	s_lshr_b64 s[26:27], s[40:41], 2
	s_delay_alu instid0(VALU_DEP_2) | instskip(NEXT) | instid1(VALU_DEP_1)
	v_sub_nc_u32_e32 v2, v1, v2
	v_mul_u64_e32 v[2:3], s[26:27], v[2:3]
	s_mul_i32 s26, s28, s42
	s_delay_alu instid0(SALU_CYCLE_1) | instskip(NEXT) | instid1(SALU_CYCLE_1)
	s_ashr_i32 s27, s26, 31
	s_add_nc_u64 s[4:5], s[4:5], s[26:27]
	s_delay_alu instid0(SALU_CYCLE_1)
	s_add_nc_u64 s[4:5], s[4:5], s[44:45]
	s_delay_alu instid0(VALU_DEP_3) | instid1(SALU_CYCLE_1)
	v_lshl_add_u64 v[4:5], v[4:5], 2, s[4:5]
	s_load_b32 s4, s[0:1], 0x40
	s_delay_alu instid0(VALU_DEP_1) | instskip(NEXT) | instid1(VALU_DEP_1)
	v_lshl_add_u64 v[2:3], v[2:3], 2, v[4:5]
	v_add_nc_u64_e32 v[2:3], v[2:3], v[6:7]
	global_load_b128 v[2:5], v[2:3], off
	s_wait_loadcnt 0x0
	s_wait_kmcnt 0x0
	v_fma_mixlo_f16 v1, s4, v2, 0
	v_mov_b32_e32 v2, v5
	s_delay_alu instid0(VALU_DEP_2) | instskip(NEXT) | instid1(VALU_DEP_2)
	v_and_b32_e32 v1, 0xffff, v1
	v_pk_mul_f32 v[2:3], s[4:5], v[2:3] op_sel_hi:[0,1]
	s_delay_alu instid0(VALU_DEP_1) | instskip(SKIP_1) | instid1(VALU_DEP_2)
	v_cvt_pk_f16_f32 v2, v2, v3
	v_fma_mixlo_f16 v3, s4, v4, 0
	v_and_b32_e32 v4, 0xffff0000, v2
	s_delay_alu instid0(VALU_DEP_2) | instskip(NEXT) | instid1(VALU_DEP_2)
	v_and_b32_e32 v3, 0xffff, v3
	v_dual_lshlrev_b32 v2, 16, v2 :: v_dual_bitop2_b32 v1, v4, v1 bitop3:0x54
	v_add_nc_u32_e32 v4, v57, v61
	s_delay_alu instid0(VALU_DEP_2) | instskip(NEXT) | instid1(VALU_DEP_3)
	v_or3_b32 v3, v2, v3, 0
	v_or3_b32 v2, 0, 0, v1
	ds_store_b64 v4, v[2:3]
.LBB27_4:
	s_or_b32 exec_lo, exec_lo, s11
	s_cmp_eq_u64 s[14:15], 0
	s_wait_dscnt 0x0
	s_barrier_signal -1
	s_barrier_wait -1
	s_cbranch_scc1 .LBB27_6
; %bb.5:
	s_load_b32 s4, s[0:1], 0xd0
	s_wait_kmcnt 0x0
	s_mul_i32 s4, s4, s28
	s_delay_alu instid0(SALU_CYCLE_1)
	s_add_co_i32 s4, s4, s10
	s_load_b32 s30, s[14:15], s4 offset:0x0 scale_offset
.LBB27_6:
	s_wait_xcnt 0x0
	s_bfe_u32 s4, ttmp6, 0x40010
	s_and_b32 s5, ttmp7, 0xffff
	s_add_co_i32 s4, s4, 1
	s_bfe_u32 s10, ttmp6, 0x40004
	s_mul_i32 s4, s5, s4
	v_mbcnt_lo_u32_b32 v41, -1, 0
	s_add_co_i32 s10, s10, s4
	s_cmp_eq_u32 s24, 0
	s_mov_b32 s4, 0
	s_cselect_b32 s38, s5, s10
	s_delay_alu instid0(SALU_CYCLE_1)
	s_lshl_b32 s10, s38, 5
	s_wait_kmcnt 0x0
	s_cmp_lt_i32 s10, s30
	s_cbranch_scc1 .LBB27_9
; %bb.7:
	v_mbcnt_lo_u32_b32 v1, -1, 0
	s_delay_alu instid0(VALU_DEP_1)
	v_dual_mov_b32 v62, 32 :: v_dual_bitop2_b32 v74, 16, v1 bitop3:0x14
	v_xor_b32_e32 v75, 8, v1
	v_xor_b32_e32 v76, 4, v1
	;; [unrolled: 1-line block ×4, first 2 shown]
	s_and_not1_b32 vcc_lo, exec_lo, s4
	s_cbranch_vccz .LBB27_10
; %bb.8:
	v_dual_mov_b32 v71, 0 :: v_dual_mov_b32 v79, 0
	v_mov_b32_e32 v56, 0xfeffffff
	v_mov_b32_e32 v72, 0
	s_branch .LBB27_30
.LBB27_9:
                                        ; implicit-def: $vgpr1
                                        ; implicit-def: $vgpr62
                                        ; implicit-def: $vgpr74
                                        ; implicit-def: $vgpr75
                                        ; implicit-def: $vgpr76
                                        ; implicit-def: $vgpr77
                                        ; implicit-def: $vgpr78
.LBB27_10:
	v_dual_add_nc_u32 v1, s33, v60 :: v_dual_lshrrev_b32 v3, 1, v51
	s_clause 0x1
	s_load_b64 s[4:5], s[0:1], 0x8c
	s_load_b128 s[24:27], s[0:1], 0x98
	s_mul_f32 s11, s36, 0x4f7ffffe
	s_sub_co_i32 s14, 0, s39
	v_mul_hi_u32 v2, s20, v1
	v_dual_lshlrev_b32 v5, 2, v51 :: v_dual_lshrrev_b32 v4, 2, v51
	s_cvt_u32_f32 s11, s11
	s_abs_i32 s36, s31
	s_mov_b32 s15, s37
	v_lshl_add_u32 v3, v0, 4, v3
	s_mul_i32 s14, s14, s11
	v_lshl_add_u32 v7, v0, 3, v4
	s_mul_hi_u32 s14, s11, s14
	s_ashr_i32 s42, s31, 31
	s_delay_alu instid0(VALU_DEP_4) | instskip(SKIP_3) | instid1(VALU_DEP_1)
	v_dual_add_nc_u32 v6, v1, v2 :: v_dual_bitop2_b32 v2, 4, v5 bitop3:0x40
	s_add_co_i32 s14, s11, s14
	s_ashr_i32 s11, s3, 1
	s_mul_u64 s[14:15], s[36:37], s[14:15]
	v_dual_lshrrev_b32 v6, s21, v6 :: v_dual_bitop2_b32 v4, 12, v5 bitop3:0x40
	s_wait_kmcnt 0x0
	s_ashr_i32 s14, s26, 2
	s_ashr_i32 s26, s4, 2
	s_mul_i32 s3, s15, s39
	v_mul_lo_u32 v42, s26, v3
	v_mul_lo_u32 v6, v6, s22
	v_mul_u32_u24_e32 v8, 0x70, v3
	v_lshlrev_b32_e32 v9, 2, v2
	s_ashr_i32 s43, s29, 31
	s_load_b64 s[40:41], s[0:1], 0xa8
	s_sub_co_i32 s3, s36, s3
	s_ashr_i32 s29, s28, 31
	s_xor_b32 s37, s42, s43
	s_add_co_i32 s4, s15, 1
	s_sub_co_i32 s36, s3, s39
	s_cmp_ge_u32 s3, s39
	v_cmp_gt_u32_e32 vcc_lo, 32, v3
	v_lshlrev_b32_e32 v3, 2, v4
	v_add3_u32 v64, v8, v9, 64
	v_dual_lshrrev_b32 v8, 3, v51 :: v_dual_ashrrev_i32 v43, 31, v42
	s_cselect_b32 s4, s4, s15
	s_cselect_b32 s3, s36, s3
	s_add_co_i32 s15, s4, 1
	s_cmp_ge_u32 s3, s39
	v_mul_lo_u32 v44, s26, v7
	v_dual_mov_b32 v47, 0 :: v_dual_sub_nc_u32 v1, v1, v6
	v_lshl_add_u32 v6, v0, 2, v8
	s_cselect_b32 s3, s15, s4
	v_mul_lo_u32 v48, s14, v7
	s_xor_b32 s3, s3, s37
	v_lshl_add_u32 v66, v0, 6, 0x1480
	v_mul_lo_u32 v52, s14, v6
	s_sub_co_i32 s3, s3, s37
	v_mul_u32_u24_e32 v0, 0xc0, v7
	v_dual_ashrrev_i32 v45, 31, v44 :: v_dual_bitop2_b32 v50, 28, v5 bitop3:0x40
	s_mul_u64 s[24:25], s[24:25], s[28:29]
	s_mul_i32 s4, s3, s5
	s_add_nc_u64 s[6:7], s[6:7], s[24:25]
	s_ashr_i32 s5, s4, 31
	v_mad_u32 v67, v1, s11, v51
	v_dual_lshlrev_b32 v1, 2, v50 :: v_dual_bitop2_b32 v0, v0, v3 bitop3:0x54
	s_wait_kmcnt 0x0
	s_mul_u64 s[36:37], s[40:41], s[28:29]
	s_add_nc_u64 s[24:25], s[6:7], s[4:5]
	s_mul_i32 s6, s3, s27
	s_add_nc_u64 s[4:5], s[8:9], s[36:37]
	s_ashr_i32 s7, s6, 31
	v_cmp_gt_u32_e64 s3, 32, v7
	s_add_nc_u64 s[8:9], s[4:5], s[6:7]
	v_mul_u32_u24_e32 v63, 0x70, v51
	v_mad_u32_u24 v65, 0x70, v7, v3
	v_lshl_add_u32 v68, v51, 1, v66
	v_cmp_gt_u32_e64 s4, 16, v7
	v_cmp_gt_u32_e64 s5, 16, v6
	v_dual_mov_b32 v62, 32 :: v_dual_add_nc_u32 v69, 0x80, v0
	v_dual_mov_b32 v80, 0xfeffffff :: v_dual_ashrrev_i32 v49, 31, v48
	v_mad_u32_u24 v70, 0xc0, v6, v1
	v_dual_ashrrev_i32 v53, 31, v52 :: v_dual_lshlrev_b32 v46, 2, v2
	v_dual_lshlrev_b32 v54, 2, v4 :: v_dual_mov_b32 v72, v47
	v_dual_mov_b32 v71, v47 :: v_dual_mov_b32 v73, v47
	s_ashr_i32 s27, s26, 31
	s_ashr_i32 s15, s14, 31
	s_add_nc_u64 s[20:21], s[0:1], 0xd0
.LBB27_11:                              ; =>This Inner Loop Header: Depth=1
	s_ashr_i32 s11, s10, 31
	s_delay_alu instid0(SALU_CYCLE_1) | instskip(NEXT) | instid1(SALU_CYCLE_1)
	s_mul_u64 s[6:7], s[10:11], s[26:27]
	s_lshl_b64 s[6:7], s[6:7], 2
	s_delay_alu instid0(SALU_CYCLE_1) | instskip(NEXT) | instid1(SALU_CYCLE_1)
	s_add_nc_u64 s[6:7], s[24:25], s[6:7]
	v_lshl_add_u64 v[0:1], v[42:43], 2, s[6:7]
	s_and_saveexec_b32 s29, vcc_lo
	s_cbranch_execz .LBB27_13
; %bb.12:                               ;   in Loop: Header=BB27_11 Depth=1
	s_delay_alu instid0(VALU_DEP_1)
	v_add_nc_u64_e32 v[2:3], v[0:1], v[46:47]
	global_load_b128 v[2:5], v[2:3], off offset:64
	s_wait_loadcnt 0x0
	ds_store_b128 v64, v[2:5]
.LBB27_13:                              ;   in Loop: Header=BB27_11 Depth=1
	s_or_b32 exec_lo, exec_lo, s29
	v_lshl_add_u64 v[2:3], v[44:45], 2, s[6:7]
	s_and_saveexec_b32 s6, s3
	s_cbranch_execz .LBB27_15
; %bb.14:                               ;   in Loop: Header=BB27_11 Depth=1
	v_mov_b32_e32 v55, v47
	s_delay_alu instid0(VALU_DEP_1)
	v_add_nc_u64_e32 v[4:5], v[2:3], v[54:55]
	global_load_b128 v[4:7], v[4:5], off
	s_wait_loadcnt 0x0
	ds_store_b128 v65, v[4:7]
.LBB27_15:                              ;   in Loop: Header=BB27_11 Depth=1
	s_or_b32 exec_lo, exec_lo, s6
	s_wait_dscnt 0x0
	s_barrier_signal -1
	s_barrier_wait -1
	ds_load_b128 v[6:9], v63
	ds_load_b128 v[10:13], v57
	v_mov_b32_e32 v4, 0
	s_wait_dscnt 0x0
	;;#ASMSTART
	v_dot2_f32_f16 v4, v6, v10, v4
	;;#ASMEND
	;;#ASMSTART
	v_dot2_f32_f16 v4, v7, v11, v4
	;;#ASMEND
	;;#ASMSTART
	v_dot2_f32_f16 v4, v8, v12, v4
	;;#ASMEND
	;;#ASMSTART
	v_dot2_f32_f16 v4, v9, v13, v4
	;;#ASMEND
	ds_load_b128 v[6:9], v63 offset:16
	ds_load_b128 v[10:13], v57 offset:16
	s_wait_dscnt 0x0
	;;#ASMSTART
	v_dot2_f32_f16 v4, v6, v10, v4
	;;#ASMEND
	;;#ASMSTART
	v_dot2_f32_f16 v4, v7, v11, v4
	;;#ASMEND
	;;#ASMSTART
	v_dot2_f32_f16 v4, v8, v12, v4
	;;#ASMEND
	;;#ASMSTART
	v_dot2_f32_f16 v4, v9, v13, v4
	;;#ASMEND
	ds_load_b128 v[6:9], v63 offset:32
	ds_load_b128 v[10:13], v57 offset:32
	s_wait_dscnt 0x0
	;;#ASMSTART
	v_dot2_f32_f16 v4, v6, v10, v4
	;;#ASMEND
	;;#ASMSTART
	v_dot2_f32_f16 v4, v7, v11, v4
	;;#ASMEND
	;;#ASMSTART
	v_dot2_f32_f16 v4, v8, v12, v4
	;;#ASMEND
	;;#ASMSTART
	v_dot2_f32_f16 v4, v9, v13, v4
	;;#ASMEND
	ds_load_b128 v[6:9], v63 offset:48
	ds_load_b128 v[10:13], v57 offset:48
	s_wait_dscnt 0x0
	;;#ASMSTART
	v_dot2_f32_f16 v4, v6, v10, v4
	;;#ASMEND
	;;#ASMSTART
	v_dot2_f32_f16 v4, v7, v11, v4
	;;#ASMEND
	;;#ASMSTART
	v_dot2_f32_f16 v4, v8, v12, v4
	;;#ASMEND
	;;#ASMSTART
	v_dot2_f32_f16 v4, v9, v13, v4
	;;#ASMEND
	ds_load_b128 v[6:9], v63 offset:64
	ds_load_b128 v[10:13], v57 offset:64
	s_wait_dscnt 0x0
	;;#ASMSTART
	v_dot2_f32_f16 v4, v6, v10, v4
	;;#ASMEND
	;;#ASMSTART
	v_dot2_f32_f16 v4, v7, v11, v4
	;;#ASMEND
	;;#ASMSTART
	v_dot2_f32_f16 v4, v8, v12, v4
	;;#ASMEND
	;;#ASMSTART
	v_dot2_f32_f16 v4, v9, v13, v4
	;;#ASMEND
	ds_load_b128 v[6:9], v63 offset:80
	ds_load_b128 v[10:13], v57 offset:80
	s_wait_dscnt 0x0
	;;#ASMSTART
	v_dot2_f32_f16 v4, v6, v10, v4
	;;#ASMEND
	;;#ASMSTART
	v_dot2_f32_f16 v4, v7, v11, v4
	;;#ASMEND
	;; [unrolled: 3-line block ×4, first 2 shown]
	s_barrier_signal -1
	s_barrier_wait -1
	s_and_saveexec_b32 s6, vcc_lo
	s_cbranch_execz .LBB27_17
; %bb.16:                               ;   in Loop: Header=BB27_11 Depth=1
	v_add_nc_u64_e32 v[0:1], v[0:1], v[46:47]
	global_load_b128 v[6:9], v[0:1], off offset:160
	s_wait_loadcnt 0x0
	ds_store_b128 v64, v[6:9]
.LBB27_17:                              ;   in Loop: Header=BB27_11 Depth=1
	s_or_b32 exec_lo, exec_lo, s6
	s_and_saveexec_b32 s6, s3
	s_cbranch_execz .LBB27_19
; %bb.18:                               ;   in Loop: Header=BB27_11 Depth=1
	v_mov_b32_e32 v55, v47
	s_delay_alu instid0(VALU_DEP_1)
	v_add_nc_u64_e32 v[0:1], v[2:3], v[54:55]
	global_load_b128 v[0:3], v[0:1], off offset:96
	s_wait_loadcnt 0x0
	ds_store_b128 v65, v[0:3]
.LBB27_19:                              ;   in Loop: Header=BB27_11 Depth=1
	s_or_b32 exec_lo, exec_lo, s6
	s_wait_dscnt 0x0
	s_barrier_signal -1
	s_barrier_wait -1
	ds_load_b128 v[0:3], v63
	ds_load_b128 v[6:9], v57 offset:96
	v_dual_add_nc_u32 v5, s10, v67 :: v_dual_bitop2_b32 v74, 16, v41 bitop3:0x14
	v_xor_b32_e32 v78, 1, v41
	s_wait_dscnt 0x0
	;;#ASMSTART
	v_dot2_f32_f16 v4, v0, v6, v4
	;;#ASMEND
	;;#ASMSTART
	v_dot2_f32_f16 v4, v1, v7, v4
	;;#ASMEND
	;; [unrolled: 3-line block ×4, first 2 shown]
	ds_load_b128 v[0:3], v63 offset:16
	ds_load_b128 v[6:9], v57 offset:112
	v_cmp_gt_i32_e64 s6, 32, v74
	s_wait_dscnt 0x0
	;;#ASMSTART
	v_dot2_f32_f16 v4, v0, v6, v4
	;;#ASMEND
	;;#ASMSTART
	v_dot2_f32_f16 v4, v1, v7, v4
	;;#ASMEND
	;;#ASMSTART
	v_dot2_f32_f16 v4, v2, v8, v4
	;;#ASMEND
	;;#ASMSTART
	v_dot2_f32_f16 v4, v3, v9, v4
	;;#ASMEND
	ds_load_b128 v[0:3], v63 offset:32
	ds_load_b128 v[6:9], v57 offset:128
	s_wait_dscnt 0x0
	;;#ASMSTART
	v_dot2_f32_f16 v4, v0, v6, v4
	;;#ASMEND
	;;#ASMSTART
	v_dot2_f32_f16 v4, v1, v7, v4
	;;#ASMEND
	;;#ASMSTART
	v_dot2_f32_f16 v4, v2, v8, v4
	;;#ASMEND
	;;#ASMSTART
	v_dot2_f32_f16 v4, v3, v9, v4
	;;#ASMEND
	ds_load_b128 v[0:3], v63 offset:48
	ds_load_b128 v[6:9], v57 offset:144
	;; [unrolled: 15-line block ×4, first 2 shown]
	s_wait_dscnt 0x0
	;;#ASMSTART
	v_dot2_f32_f16 v4, v0, v6, v4
	;;#ASMEND
	;;#ASMSTART
	v_dot2_f32_f16 v4, v1, v7, v4
	;;#ASMEND
	;; [unrolled: 3-line block ×4, first 2 shown]
	global_load_u16 v0, v5, s[34:35] scale_offset
	s_wait_loadcnt 0x0
	s_barrier_signal -1
	s_barrier_wait -1
	v_dual_cndmask_b32 v2, v41, v74, s6 :: v_dual_max_num_f32 v1, v80, v80
	v_xor_b32_e32 v75, 8, v41
	s_delay_alu instid0(VALU_DEP_2) | instskip(NEXT) | instid1(VALU_DEP_2)
	v_dual_lshlrev_b32 v2, 2, v2 :: v_dual_bitop2_b32 v76, 4, v41 bitop3:0x14
	v_cmp_gt_i32_e64 s6, 32, v75
	v_cvt_f32_f16_e32 v0, v0
	s_delay_alu instid0(VALU_DEP_1) | instskip(NEXT) | instid1(VALU_DEP_1)
	v_add_f32_e32 v0, v4, v0
	v_add_f32_e32 v3, 0x40051340, v0
	s_delay_alu instid0(VALU_DEP_1)
	v_max_num_f32_e32 v1, v1, v3
	v_cndmask_b32_e64 v3, v41, v75, s6
	v_cmp_gt_i32_e64 s6, 32, v76
	ds_bpermute_b32 v2, v2, v1
	s_wait_dscnt 0x0
	v_dual_max_num_f32 v2, v2, v2 :: v_dual_lshlrev_b32 v3, 2, v3
	s_delay_alu instid0(VALU_DEP_1) | instskip(SKIP_3) | instid1(VALU_DEP_1)
	v_max_num_f32_e32 v1, v1, v2
	ds_bpermute_b32 v2, v3, v1
	s_wait_dscnt 0x0
	v_dual_cndmask_b32 v3, v41, v76, s6 :: v_dual_max_num_f32 v2, v2, v2
	v_dual_lshlrev_b32 v3, 2, v3 :: v_dual_max_num_f32 v1, v1, v2
	ds_bpermute_b32 v2, v3, v1
	s_wait_dscnt 0x0
	v_dual_max_num_f32 v2, v2, v2 :: v_dual_bitop2_b32 v77, 2, v41 bitop3:0x14
	s_delay_alu instid0(VALU_DEP_1) | instskip(NEXT) | instid1(VALU_DEP_2)
	v_cmp_gt_i32_e64 s6, 32, v77
	v_max_num_f32_e32 v1, v1, v2
	s_delay_alu instid0(VALU_DEP_2) | instskip(SKIP_1) | instid1(VALU_DEP_2)
	v_cndmask_b32_e64 v3, v41, v77, s6
	v_cmp_gt_i32_e64 s6, 32, v78
	v_lshlrev_b32_e32 v3, 2, v3
	ds_bpermute_b32 v2, v3, v1
	v_cndmask_b32_e64 v3, v41, v78, s6
	s_wait_dscnt 0x0
	s_delay_alu instid0(VALU_DEP_1) | instskip(NEXT) | instid1(VALU_DEP_1)
	v_dual_max_num_f32 v2, v2, v2 :: v_dual_lshlrev_b32 v3, 2, v3
	v_max_num_f32_e32 v1, v1, v2
	ds_bpermute_b32 v2, v3, v1
	s_wait_dscnt 0x0
	v_max_num_f32_e32 v2, v2, v2
	s_delay_alu instid0(VALU_DEP_1) | instskip(NEXT) | instid1(VALU_DEP_1)
	v_max_num_f32_e32 v56, v1, v2
	v_sub_f32_e32 v0, v0, v56
	s_delay_alu instid0(VALU_DEP_1) | instskip(SKIP_1) | instid1(VALU_DEP_2)
	v_mul_f32_e32 v1, 0x3fb8aa3b, v0
	v_cmp_ngt_f32_e64 s6, 0xc2ce8ed0, v0
	v_fma_f32 v2, 0x3fb8aa3b, v0, -v1
	v_rndne_f32_e32 v3, v1
	s_delay_alu instid0(VALU_DEP_1) | instskip(NEXT) | instid1(VALU_DEP_1)
	v_dual_fmac_f32 v2, 0x32a5705f, v0 :: v_dual_sub_f32 v1, v1, v3
	v_add_f32_e32 v1, v1, v2
	v_cvt_i32_f32_e32 v2, v3
	s_delay_alu instid0(VALU_DEP_2) | instskip(SKIP_1) | instid1(TRANS32_DEP_1)
	v_exp_f32_e32 v1, v1
	v_nop
	v_ldexp_f32 v1, v1, v2
	s_delay_alu instid0(VALU_DEP_1) | instskip(SKIP_1) | instid1(VALU_DEP_1)
	v_cndmask_b32_e64 v1, 0, v1, s6
	v_cmp_nlt_f32_e64 s6, 0x42b17218, v0
	v_cndmask_b32_e64 v79, 0x7f800000, v1, s6
	s_mul_u64 s[6:7], s[10:11], s[14:15]
	s_delay_alu instid0(SALU_CYCLE_1) | instskip(NEXT) | instid1(VALU_DEP_1)
	s_lshl_b64 s[6:7], s[6:7], 2
	v_cvt_f16_f32_e32 v0, v79
	s_add_nc_u64 s[6:7], s[8:9], s[6:7]
	ds_store_b16 v68, v0
	s_wait_xcnt 0x0
	s_and_saveexec_b32 s11, s4
	s_cbranch_execz .LBB27_21
; %bb.20:                               ;   in Loop: Header=BB27_11 Depth=1
	v_lshl_add_u64 v[0:1], v[48:49], 2, s[6:7]
	v_mov_b32_e32 v55, v47
	s_delay_alu instid0(VALU_DEP_1)
	v_add_nc_u64_e32 v[0:1], v[0:1], v[54:55]
	global_load_b128 v[0:3], v[0:1], off offset:128
	s_wait_loadcnt 0x0
	ds_store_b128 v69, v[0:3]
.LBB27_21:                              ;   in Loop: Header=BB27_11 Depth=1
	s_or_b32 exec_lo, exec_lo, s11
	v_lshlrev_b32_e32 v58, 2, v50
	s_and_saveexec_b32 s11, s5
	s_cbranch_execz .LBB27_23
; %bb.22:                               ;   in Loop: Header=BB27_11 Depth=1
	v_lshl_add_u64 v[0:1], v[52:53], 2, s[6:7]
	v_mov_b32_e32 v59, v47
	s_delay_alu instid0(VALU_DEP_1)
	v_add_nc_u64_e32 v[0:1], v[0:1], v[58:59]
	global_load_b128 v[0:3], v[0:1], off
	s_wait_loadcnt 0x0
	ds_store_b128 v70, v[0:3]
.LBB27_23:                              ;   in Loop: Header=BB27_11 Depth=1
	s_or_b32 exec_lo, exec_lo, s11
	v_add_nc_u32_e32 v82, 0x400, v61
	v_dual_sub_f32 v80, v80, v56 :: v_dual_add_nc_u32 v81, 0x800, v61
	s_wait_dscnt 0x0
	s_barrier_signal -1
	s_barrier_wait -1
	ds_load_2addr_b64 v[32:35], v61 offset1:24
	ds_load_b128 v[20:23], v66
	ds_load_b128 v[0:3], v66 offset:16
	ds_load_2addr_b64 v[24:27], v61 offset0:48 offset1:72
	ds_load_2addr_b64 v[36:39], v61 offset0:96 offset1:120
	;; [unrolled: 1-line block ×7, first 2 shown]
	s_or_b32 s36, s10, 16
	v_cmp_ngt_f32_e64 s6, 0xc2ce8ed0, v80
	s_ashr_i32 s37, s36, 31
	v_cmp_nlt_f32_e64 s7, 0x42b17218, v80
	s_mul_u64 s[36:37], s[36:37], s[14:15]
	s_wait_dscnt 0x0
	s_lshl_b64 s[36:37], s[36:37], 2
	s_barrier_signal -1
	s_add_nc_u64 s[36:37], s[8:9], s[36:37]
	s_barrier_wait -1
	s_and_saveexec_b32 s11, s4
	s_cbranch_execz .LBB27_25
; %bb.24:                               ;   in Loop: Header=BB27_11 Depth=1
	v_lshl_add_u64 v[84:85], v[48:49], 2, s[36:37]
	v_mov_b32_e32 v55, v47
	s_delay_alu instid0(VALU_DEP_1)
	v_add_nc_u64_e32 v[84:85], v[84:85], v[54:55]
	global_load_b128 v[84:87], v[84:85], off offset:128
	s_wait_loadcnt 0x0
	ds_store_b128 v69, v[84:87]
.LBB27_25:                              ;   in Loop: Header=BB27_11 Depth=1
	s_or_b32 exec_lo, exec_lo, s11
	s_and_saveexec_b32 s11, s5
	s_cbranch_execz .LBB27_27
; %bb.26:                               ;   in Loop: Header=BB27_11 Depth=1
	v_lshl_add_u64 v[84:85], v[52:53], 2, s[36:37]
	v_mov_b32_e32 v59, v47
	s_delay_alu instid0(VALU_DEP_1)
	v_add_nc_u64_e32 v[58:59], v[84:85], v[58:59]
	global_load_b128 v[84:87], v[58:59], off
	s_wait_loadcnt 0x0
	ds_store_b128 v70, v[84:87]
.LBB27_27:                              ;   in Loop: Header=BB27_11 Depth=1
	s_or_b32 exec_lo, exec_lo, s11
	v_mul_f32_e32 v55, 0x3fb8aa3b, v80
	s_wait_dscnt 0x0
	s_barrier_signal -1
	s_barrier_wait -1
	s_delay_alu instid0(VALU_DEP_1) | instskip(SKIP_1) | instid1(VALU_DEP_1)
	v_fma_f32 v58, 0x3fb8aa3b, v80, -v55
	v_rndne_f32_e32 v59, v55
	v_dual_fmac_f32 v58, 0x32a5705f, v80 :: v_dual_sub_f32 v55, v55, v59
	s_delay_alu instid0(VALU_DEP_1) | instskip(SKIP_1) | instid1(VALU_DEP_2)
	v_add_f32_e32 v55, v55, v58
	v_cvt_i32_f32_e32 v58, v59
	v_exp_f32_e32 v55, v55
	v_nop
	s_delay_alu instid0(TRANS32_DEP_1) | instskip(SKIP_1) | instid1(VALU_DEP_2)
	v_ldexp_f32 v55, v55, v58
	v_and_b32_e32 v58, 0xffff, v20
	v_dual_lshrrev_b32 v20, 16, v20 :: v_dual_cndmask_b32 v55, 0, v55, s6
	s_delay_alu instid0(VALU_DEP_2) | instskip(NEXT) | instid1(VALU_DEP_2)
	v_mul_u32_u24_e32 v58, 0x10001, v58
	v_mul_u32_u24_e32 v20, 0x10001, v20
	s_delay_alu instid0(VALU_DEP_2) | instskip(SKIP_4) | instid1(VALU_DEP_3)
	v_pk_mul_f16 v32, v32, v58
	v_pk_mul_f16 v33, v33, v58
	v_and_b32_e32 v58, 0xffff, v21
	v_lshrrev_b32_e32 v21, 16, v21
	v_cndmask_b32_e64 v55, 0x7f800000, v55, s7
	v_mul_u32_u24_e32 v58, 0x10001, v58
	s_delay_alu instid0(VALU_DEP_3) | instskip(NEXT) | instid1(VALU_DEP_3)
	v_mul_u32_u24_e32 v21, 0x10001, v21
	v_cvt_f16_f32_e32 v59, v55
	v_fmac_f32_e32 v79, v73, v55
	s_delay_alu instid0(VALU_DEP_2) | instskip(NEXT) | instid1(VALU_DEP_1)
	v_and_b32_e32 v59, 0xffff, v59
	v_mul_u32_u24_e32 v59, 0x10001, v59
	s_delay_alu instid0(VALU_DEP_1) | instskip(SKIP_1) | instid1(VALU_DEP_2)
	v_pk_fma_f16 v32, v72, v59, v32
	v_pk_fma_f16 v33, v71, v59, v33
	;; [unrolled: 1-line block ×3, first 2 shown]
	s_delay_alu instid0(VALU_DEP_2) | instskip(SKIP_2) | instid1(VALU_DEP_4)
	v_pk_fma_f16 v20, v35, v20, v33
	v_and_b32_e32 v33, 0xffff, v22
	v_lshrrev_b32_e32 v22, 16, v22
	v_pk_fma_f16 v24, v24, v58, v32
	s_delay_alu instid0(VALU_DEP_4) | instskip(NEXT) | instid1(VALU_DEP_4)
	v_pk_fma_f16 v20, v25, v58, v20
	v_mul_u32_u24_e32 v25, 0x10001, v33
	s_delay_alu instid0(VALU_DEP_4) | instskip(NEXT) | instid1(VALU_DEP_4)
	v_mul_u32_u24_e32 v22, 0x10001, v22
	v_pk_fma_f16 v24, v26, v21, v24
	s_delay_alu instid0(VALU_DEP_4) | instskip(SKIP_2) | instid1(VALU_DEP_4)
	v_pk_fma_f16 v20, v27, v21, v20
	v_and_b32_e32 v21, 0xffff, v23
	v_lshrrev_b32_e32 v23, 16, v23
	v_pk_fma_f16 v24, v36, v25, v24
	s_delay_alu instid0(VALU_DEP_4) | instskip(NEXT) | instid1(VALU_DEP_4)
	v_pk_fma_f16 v20, v37, v25, v20
	v_mul_u32_u24_e32 v21, 0x10001, v21
	s_delay_alu instid0(VALU_DEP_3) | instskip(NEXT) | instid1(VALU_DEP_3)
	v_pk_fma_f16 v24, v38, v22, v24
	v_pk_fma_f16 v20, v39, v22, v20
	v_lshrrev_b32_e32 v22, 16, v0
	v_and_b32_e32 v0, 0xffff, v0
	v_mul_u32_u24_e32 v23, 0x10001, v23
	v_pk_fma_f16 v24, v28, v21, v24
	v_pk_fma_f16 v20, v29, v21, v20
	v_lshrrev_b32_e32 v21, 16, v1
	v_mul_u32_u24_e32 v0, 0x10001, v0
	v_and_b32_e32 v1, 0xffff, v1
	v_pk_fma_f16 v24, v30, v23, v24
	v_pk_fma_f16 v20, v31, v23, v20
	v_mul_u32_u24_e32 v22, 0x10001, v22
	v_and_b32_e32 v23, 0xffff, v2
	v_mul_u32_u24_e32 v1, 0x10001, v1
	v_pk_fma_f16 v16, v16, v0, v24
	v_pk_fma_f16 v0, v17, v0, v20
	s_delay_alu instid0(VALU_DEP_2) | instskip(NEXT) | instid1(VALU_DEP_2)
	v_pk_fma_f16 v20, v18, v22, v16
	v_pk_fma_f16 v0, v19, v22, v0
	ds_load_b128 v[16:19], v66 offset:32
	v_pk_fma_f16 v12, v12, v1, v20
	v_pk_fma_f16 v0, v13, v1, v0
	v_lshrrev_b32_e32 v1, 16, v2
	v_mul_u32_u24_e32 v21, 0x10001, v21
	v_mul_u32_u24_e32 v2, 0x10001, v23
	s_delay_alu instid0(VALU_DEP_3) | instskip(NEXT) | instid1(VALU_DEP_3)
	v_mul_u32_u24_e32 v22, 0x10001, v1
	v_pk_fma_f16 v20, v14, v21, v12
	v_pk_fma_f16 v0, v15, v21, v0
	v_and_b32_e32 v21, 0xffff, v3
	ds_load_2addr_b64 v[12:15], v61 offset1:24
	v_pk_fma_f16 v8, v8, v2, v20
	v_pk_fma_f16 v9, v9, v2, v0
	v_lshrrev_b32_e32 v20, 16, v3
	v_mul_u32_u24_e32 v21, 0x10001, v21
	ds_load_b128 v[0:3], v66 offset:48
	v_pk_fma_f16 v23, v10, v22, v8
	v_pk_fma_f16 v22, v11, v22, v9
	ds_load_2addr_b64 v[8:11], v61 offset0:48 offset1:72
	s_wait_dscnt 0x3
	v_and_b32_e32 v24, 0xffff, v16
	v_lshrrev_b32_e32 v16, 16, v16
	v_mul_u32_u24_e32 v20, 0x10001, v20
	v_pk_fma_f16 v4, v4, v21, v23
	v_pk_fma_f16 v5, v5, v21, v22
	v_mul_u32_u24_e32 v21, 0x10001, v24
	v_and_b32_e32 v23, 0xffff, v17
	v_mul_u32_u24_e32 v16, 0x10001, v16
	v_pk_fma_f16 v22, v6, v20, v4
	v_pk_fma_f16 v20, v7, v20, v5
	ds_load_2addr_b64 v[4:7], v61 offset0:96 offset1:120
	v_lshrrev_b32_e32 v17, 16, v17
	v_and_b32_e32 v24, 0xffff, v18
	s_wait_dscnt 0x3
	v_pk_fma_f16 v12, v12, v21, v22
	v_pk_fma_f16 v13, v13, v21, v20
	v_mul_u32_u24_e32 v20, 0x10001, v23
	v_and_b32_e32 v28, 0xffff, v19
	s_delay_alu instid0(VALU_DEP_4) | instskip(NEXT) | instid1(VALU_DEP_4)
	v_pk_fma_f16 v21, v14, v16, v12
	v_pk_fma_f16 v16, v15, v16, v13
	ds_load_2addr_b64 v[12:15], v61 offset0:144 offset1:168
	s_wait_dscnt 0x2
	v_pk_fma_f16 v8, v8, v20, v21
	v_pk_fma_f16 v9, v9, v20, v16
	v_lshrrev_b32_e32 v16, 16, v18
	v_mul_u32_u24_e32 v17, 0x10001, v17
	v_mul_u32_u24_e32 v18, 0x10001, v24
	ds_load_2addr_b64 v[20:23], v61 offset0:192 offset1:216
	v_mul_u32_u24_e32 v16, 0x10001, v16
	v_pk_fma_f16 v24, v10, v17, v8
	v_pk_fma_f16 v17, v11, v17, v9
	ds_load_2addr_b64 v[8:11], v82 offset0:112 offset1:136
	s_wait_dscnt 0x3
	v_pk_fma_f16 v4, v4, v18, v24
	v_pk_fma_f16 v5, v5, v18, v17
	v_lshrrev_b32_e32 v17, 16, v19
	v_mul_u32_u24_e32 v18, 0x10001, v28
	v_and_b32_e32 v28, 0xffff, v0
	v_pk_fma_f16 v19, v6, v16, v4
	v_pk_fma_f16 v16, v7, v16, v5
	v_lshrrev_b32_e32 v0, 16, v0
	v_mul_u32_u24_e32 v17, 0x10001, v17
	ds_load_2addr_b64 v[24:27], v81 offset0:32 offset1:56
	s_wait_dscnt 0x3
	v_pk_fma_f16 v12, v12, v18, v19
	v_pk_fma_f16 v13, v13, v18, v16
	v_mul_u32_u24_e32 v16, 0x10001, v28
	v_mul_u32_u24_e32 v0, 0x10001, v0
	ds_load_2addr_b64 v[4:7], v81 offset0:80 offset1:104
	v_pk_fma_f16 v12, v14, v17, v12
	v_pk_fma_f16 v13, v15, v17, v13
	v_and_b32_e32 v14, 0xffff, v1
	v_lshrrev_b32_e32 v1, 16, v1
	s_wait_dscnt 0x0
	v_pk_fma_f16 v12, v20, v16, v12
	v_pk_fma_f16 v13, v21, v16, v13
	v_mul_u32_u24_e32 v14, 0x10001, v14
	s_barrier_signal -1
	s_barrier_wait -1
	v_pk_fma_f16 v12, v22, v0, v12
	v_pk_fma_f16 v0, v23, v0, v13
	v_and_b32_e32 v13, 0xffff, v2
	v_lshrrev_b32_e32 v2, 16, v2
	v_mul_u32_u24_e32 v1, 0x10001, v1
	v_pk_fma_f16 v8, v8, v14, v12
	v_pk_fma_f16 v0, v9, v14, v0
	s_load_b32 s6, s[20:21], 0x4
	v_mul_u32_u24_e32 v9, 0x10001, v13
	s_delay_alu instid0(VALU_DEP_3) | instskip(NEXT) | instid1(VALU_DEP_3)
	v_pk_fma_f16 v8, v10, v1, v8
	v_pk_fma_f16 v0, v11, v1, v0
	v_and_b32_e32 v1, 0xffff, v3
	v_mul_u32_u24_e32 v2, 0x10001, v2
	v_lshrrev_b32_e32 v3, 16, v3
	v_pk_fma_f16 v8, v24, v9, v8
	v_pk_fma_f16 v0, v25, v9, v0
	v_mul_u32_u24_e32 v1, 0x10001, v1
	s_delay_alu instid0(VALU_DEP_3) | instskip(NEXT) | instid1(VALU_DEP_3)
	v_pk_fma_f16 v8, v26, v2, v8
	v_pk_fma_f16 v0, v27, v2, v0
	v_mul_u32_u24_e32 v2, 0x10001, v3
	s_delay_alu instid0(VALU_DEP_3) | instskip(NEXT) | instid1(VALU_DEP_3)
	v_pk_fma_f16 v3, v4, v1, v8
	v_pk_fma_f16 v0, v5, v1, v0
	s_wait_kmcnt 0x0
	s_lshl_b32 s6, s6, 5
	s_delay_alu instid0(VALU_DEP_2) | instskip(NEXT) | instid1(VALU_DEP_2)
	v_pk_fma_f16 v72, v6, v2, v3
	v_pk_fma_f16 v71, v7, v2, v0
	s_add_co_i32 s10, s6, s10
	s_delay_alu instid0(SALU_CYCLE_1)
	s_cmp_ge_i32 s10, s30
	s_cbranch_scc1 .LBB27_29
; %bb.28:                               ;   in Loop: Header=BB27_11 Depth=1
	v_dual_mov_b32 v80, v56 :: v_dual_mov_b32 v73, v79
	s_branch .LBB27_11
.LBB27_29:
	v_mov_b32_e32 v1, v41
.LBB27_30:
	v_cmp_lt_i32_e32 vcc_lo, v74, v62
	s_cmp_lg_u64 s[12:13], 0
	s_cselect_b32 s3, -1, 0
	s_cmp_eq_u32 s38, 0
	v_cndmask_b32_e32 v0, v1, v74, vcc_lo
	v_cmp_lt_i32_e32 vcc_lo, v75, v62
	s_cselect_b32 s4, -1, 0
	s_delay_alu instid0(SALU_CYCLE_1) | instskip(NEXT) | instid1(VALU_DEP_2)
	s_and_b32 s3, s4, s3
	v_dual_cndmask_b32 v2, v1, v75, vcc_lo :: v_dual_lshlrev_b32 v0, 2, v0
	v_cmp_lt_i32_e32 vcc_lo, v76, v62
	s_delay_alu instid0(VALU_DEP_2) | instskip(SKIP_4) | instid1(VALU_DEP_2)
	v_lshlrev_b32_e32 v2, 2, v2
	ds_bpermute_b32 v0, v0, v79
	v_cndmask_b32_e32 v3, v1, v76, vcc_lo
	v_cmp_lt_i32_e32 vcc_lo, v77, v62
	s_wait_dscnt 0x0
	v_dual_add_f32 v0, v79, v0 :: v_dual_lshlrev_b32 v3, 2, v3
	ds_bpermute_b32 v2, v2, v0
	s_wait_dscnt 0x0
	v_add_f32_e32 v0, v0, v2
	ds_bpermute_b32 v2, v3, v0
	v_cndmask_b32_e32 v3, v1, v77, vcc_lo
	v_cmp_lt_i32_e32 vcc_lo, v78, v62
	v_cndmask_b32_e32 v1, v1, v78, vcc_lo
	s_and_b32 vcc_lo, exec_lo, s3
	s_wait_dscnt 0x0
	v_dual_add_f32 v0, v0, v2 :: v_dual_lshlrev_b32 v3, 2, v3
	ds_bpermute_b32 v2, v3, v0
	s_wait_dscnt 0x0
	v_dual_add_f32 v0, v0, v2 :: v_dual_lshlrev_b32 v1, 2, v1
	ds_bpermute_b32 v1, v1, v0
	s_wait_dscnt 0x0
	v_add_f32_e32 v57, v0, v1
	s_cbranch_vccz .LBB27_33
; %bb.31:
	v_add_nc_u32_e32 v0, s31, v40
	global_load_b32 v1, v0, s[12:13] scale_offset
	s_wait_loadcnt 0x0
	v_dual_max_num_f32 v0, v56, v56 :: v_dual_max_num_f32 v2, v1, v1
	s_delay_alu instid0(VALU_DEP_1) | instskip(NEXT) | instid1(VALU_DEP_1)
	v_max_num_f32_e32 v0, v0, v2
	v_sub_f32_e32 v2, v56, v0
	s_delay_alu instid0(VALU_DEP_1) | instskip(NEXT) | instid1(VALU_DEP_1)
	v_mul_f32_e32 v3, 0x3fb8aa3b, v2
	v_fma_f32 v4, 0x3fb8aa3b, v2, -v3
	v_rndne_f32_e32 v5, v3
	s_delay_alu instid0(VALU_DEP_1) | instskip(NEXT) | instid1(VALU_DEP_3)
	v_dual_sub_f32 v3, v3, v5 :: v_dual_sub_f32 v1, v1, v0
	v_fmac_f32_e32 v4, 0x32a5705f, v2
	v_cvt_i32_f32_e32 v5, v5
	v_cmp_ngt_f32_e32 vcc_lo, 0xc2ce8ed0, v2
	s_delay_alu instid0(VALU_DEP_3) | instskip(NEXT) | instid1(VALU_DEP_1)
	v_dual_mul_f32 v6, 0x3fb8aa3b, v1 :: v_dual_add_f32 v3, v3, v4
	v_fma_f32 v7, 0x3fb8aa3b, v1, -v6
	s_delay_alu instid0(VALU_DEP_2) | instskip(SKIP_1) | instid1(VALU_DEP_2)
	v_exp_f32_e32 v3, v3
	v_rndne_f32_e32 v8, v6
	v_fmac_f32_e32 v7, 0x32a5705f, v1
	s_delay_alu instid0(TRANS32_DEP_1) | instskip(NEXT) | instid1(VALU_DEP_3)
	v_ldexp_f32 v3, v3, v5
	v_sub_f32_e32 v4, v6, v8
	v_cvt_i32_f32_e32 v5, v8
	s_delay_alu instid0(VALU_DEP_3) | instskip(SKIP_1) | instid1(VALU_DEP_2)
	v_cndmask_b32_e32 v3, 0, v3, vcc_lo
	v_cmp_nlt_f32_e32 vcc_lo, 0x42b17218, v2
	v_cndmask_b32_e32 v2, 0x7f800000, v3, vcc_lo
	v_add_f32_e32 v4, v4, v7
	v_cmp_ngt_f32_e32 vcc_lo, 0xc2ce8ed0, v1
	s_delay_alu instid0(VALU_DEP_2) | instskip(SKIP_1) | instid1(TRANS32_DEP_1)
	v_exp_f32_e32 v4, v4
	v_nop
	v_ldexp_f32 v3, v4, v5
	v_cvt_f16_f32_e32 v4, v2
	s_delay_alu instid0(VALU_DEP_2) | instskip(SKIP_1) | instid1(VALU_DEP_3)
	v_cndmask_b32_e32 v3, 0, v3, vcc_lo
	v_cmp_nlt_f32_e32 vcc_lo, 0x42b17218, v1
	v_and_b32_e32 v4, 0xffff, v4
	s_delay_alu instid0(VALU_DEP_3) | instskip(NEXT) | instid1(VALU_DEP_2)
	v_cndmask_b32_e32 v1, 0x7f800000, v3, vcc_lo
	v_mul_u32_u24_e32 v3, 0x10001, v4
	s_delay_alu instid0(VALU_DEP_2) | instskip(NEXT) | instid1(VALU_DEP_2)
	v_fmac_f32_e32 v1, v57, v2
	v_pk_mul_f16 v72, v72, v3
	v_pk_mul_f16 v71, v71, v3
	s_delay_alu instid0(VALU_DEP_3) | instskip(SKIP_2) | instid1(VALU_DEP_1)
	v_mov_b64_e32 v[56:57], v[0:1]
	v_add_nc_u32_e32 v0, s33, v60
	s_mov_b32 s3, exec_lo
	v_cmpx_gt_i32_e64 s22, v0
	s_cbranch_execnz .LBB27_34
.LBB27_32:
	s_sendmsg sendmsg(MSG_DEALLOC_VGPRS)
	s_endpgm
.LBB27_33:
	s_delay_alu instid0(VALU_DEP_1) | instskip(SKIP_1) | instid1(VALU_DEP_1)
	v_dual_mov_b32 v1, v57 :: v_dual_add_nc_u32 v0, s33, v60
	s_mov_b32 s3, exec_lo
	v_cmpx_gt_i32_e64 s22, v0
	s_cbranch_execz .LBB27_32
.LBB27_34:
	v_mad_u32 v0, s28, s22, v0
	s_load_b32 s0, s[0:1], 0xd4
	v_add_nc_u32_e32 v2, s31, v40
	s_delay_alu instid0(VALU_DEP_1) | instskip(SKIP_2) | instid1(VALU_DEP_1)
	v_mad_u32 v0, v0, s23, v2
	s_wait_kmcnt 0x0
	s_cmp_lg_u32 s0, 1
	v_mad_u32 v0, s0, v0, s38
	s_cselect_b32 s0, -1, 0
	s_and_saveexec_b32 s1, s2
	s_cbranch_execz .LBB27_36
; %bb.35:
	v_div_scale_f32 v2, null, v1, v1, 1.0
	v_div_scale_f32 v5, vcc_lo, 1.0, v1, 1.0
	v_lshrrev_b32_e32 v7, 16, v71
	s_delay_alu instid0(VALU_DEP_3) | instskip(NEXT) | instid1(VALU_DEP_1)
	v_rcp_f32_e32 v3, v2
	v_cvt_f32_f16_e32 v7, v7
	s_delay_alu instid0(TRANS32_DEP_1) | instskip(NEXT) | instid1(VALU_DEP_1)
	v_fma_f32 v4, -v2, v3, 1.0
	v_fmac_f32_e32 v3, v4, v3
	s_delay_alu instid0(VALU_DEP_1) | instskip(NEXT) | instid1(VALU_DEP_1)
	v_mul_f32_e32 v4, v5, v3
	v_fma_f32 v6, -v2, v4, v5
	s_delay_alu instid0(VALU_DEP_1) | instskip(SKIP_1) | instid1(VALU_DEP_2)
	v_fmac_f32_e32 v4, v6, v3
	v_cvt_f32_f16_e32 v6, v71
	v_dual_fma_f32 v2, -v2, v4, v5 :: v_dual_lshlrev_b32 v5, 2, v51
	s_delay_alu instid0(VALU_DEP_1) | instskip(NEXT) | instid1(VALU_DEP_2)
	v_div_fmas_f32 v4, v2, v3, v4
	v_mad_u32 v2, 0x60, v0, v5
	v_dual_lshrrev_b32 v5, 16, v72 :: v_dual_mov_b32 v3, 0
	s_delay_alu instid0(VALU_DEP_3) | instskip(SKIP_1) | instid1(VALU_DEP_3)
	v_div_fixup_f32 v1, v4, v1, 1.0
	v_cvt_f32_f16_e32 v4, v72
	v_cvt_f32_f16_e32 v5, v5
	s_delay_alu instid0(VALU_DEP_3) | instskip(SKIP_1) | instid1(VALU_DEP_2)
	v_cndmask_b32_e64 v8, v1, 1.0, s0
	v_lshl_add_u64 v[10:11], v[2:3], 2, s[16:17]
	v_pk_mul_f32 v[2:3], v[8:9], v[4:5] op_sel_hi:[0,1]
	v_pk_mul_f32 v[4:5], v[8:9], v[6:7] op_sel_hi:[0,1]
	global_store_b128 v[10:11], v[2:5], off
.LBB27_36:
	s_wait_xcnt 0x0
	s_or_b32 exec_lo, exec_lo, s1
	v_cmp_eq_u32_e32 vcc_lo, 0, v51
	s_and_b32 s0, vcc_lo, s0
	s_delay_alu instid0(SALU_CYCLE_1)
	s_and_b32 exec_lo, exec_lo, s0
	s_cbranch_execz .LBB27_32
; %bb.37:
	global_store_b64 v0, v[56:57], s[18:19] scale_offset
	s_sendmsg sendmsg(MSG_DEALLOC_VGPRS)
	s_endpgm
	.section	.rodata,"a",@progbits
	.p2align	6, 0x0
	.amdhsa_kernel _ZL15flash_attn_tileILi96ELi96ELi2ELi4ELb0EEvPKcS1_S1_S1_S1_PKiPfP15HIP_vector_typeIfLj2EEffffjfiS5_IjLj3EEiiiiiiiiiiiliiliiiiil
		.amdhsa_group_segment_fixed_size 5760
		.amdhsa_private_segment_fixed_size 0
		.amdhsa_kernarg_size 464
		.amdhsa_user_sgpr_count 2
		.amdhsa_user_sgpr_dispatch_ptr 0
		.amdhsa_user_sgpr_queue_ptr 0
		.amdhsa_user_sgpr_kernarg_segment_ptr 1
		.amdhsa_user_sgpr_dispatch_id 0
		.amdhsa_user_sgpr_kernarg_preload_length 0
		.amdhsa_user_sgpr_kernarg_preload_offset 0
		.amdhsa_user_sgpr_private_segment_size 0
		.amdhsa_wavefront_size32 1
		.amdhsa_uses_dynamic_stack 0
		.amdhsa_enable_private_segment 0
		.amdhsa_system_sgpr_workgroup_id_x 1
		.amdhsa_system_sgpr_workgroup_id_y 1
		.amdhsa_system_sgpr_workgroup_id_z 1
		.amdhsa_system_sgpr_workgroup_info 0
		.amdhsa_system_vgpr_workitem_id 1
		.amdhsa_next_free_vgpr 88
		.amdhsa_next_free_sgpr 46
		.amdhsa_named_barrier_count 0
		.amdhsa_reserve_vcc 1
		.amdhsa_float_round_mode_32 0
		.amdhsa_float_round_mode_16_64 0
		.amdhsa_float_denorm_mode_32 3
		.amdhsa_float_denorm_mode_16_64 3
		.amdhsa_fp16_overflow 0
		.amdhsa_memory_ordered 1
		.amdhsa_forward_progress 1
		.amdhsa_inst_pref_size 42
		.amdhsa_round_robin_scheduling 0
		.amdhsa_exception_fp_ieee_invalid_op 0
		.amdhsa_exception_fp_denorm_src 0
		.amdhsa_exception_fp_ieee_div_zero 0
		.amdhsa_exception_fp_ieee_overflow 0
		.amdhsa_exception_fp_ieee_underflow 0
		.amdhsa_exception_fp_ieee_inexact 0
		.amdhsa_exception_int_div_zero 0
	.end_amdhsa_kernel
	.section	.text._ZL15flash_attn_tileILi96ELi96ELi2ELi4ELb0EEvPKcS1_S1_S1_S1_PKiPfP15HIP_vector_typeIfLj2EEffffjfiS5_IjLj3EEiiiiiiiiiiiliiliiiiil,"axG",@progbits,_ZL15flash_attn_tileILi96ELi96ELi2ELi4ELb0EEvPKcS1_S1_S1_S1_PKiPfP15HIP_vector_typeIfLj2EEffffjfiS5_IjLj3EEiiiiiiiiiiiliiliiiiil,comdat
.Lfunc_end27:
	.size	_ZL15flash_attn_tileILi96ELi96ELi2ELi4ELb0EEvPKcS1_S1_S1_S1_PKiPfP15HIP_vector_typeIfLj2EEffffjfiS5_IjLj3EEiiiiiiiiiiiliiliiiiil, .Lfunc_end27-_ZL15flash_attn_tileILi96ELi96ELi2ELi4ELb0EEvPKcS1_S1_S1_S1_PKiPfP15HIP_vector_typeIfLj2EEffffjfiS5_IjLj3EEiiiiiiiiiiiliiliiiiil
                                        ; -- End function
	.set _ZL15flash_attn_tileILi96ELi96ELi2ELi4ELb0EEvPKcS1_S1_S1_S1_PKiPfP15HIP_vector_typeIfLj2EEffffjfiS5_IjLj3EEiiiiiiiiiiiliiliiiiil.num_vgpr, 88
	.set _ZL15flash_attn_tileILi96ELi96ELi2ELi4ELb0EEvPKcS1_S1_S1_S1_PKiPfP15HIP_vector_typeIfLj2EEffffjfiS5_IjLj3EEiiiiiiiiiiiliiliiiiil.num_agpr, 0
	.set _ZL15flash_attn_tileILi96ELi96ELi2ELi4ELb0EEvPKcS1_S1_S1_S1_PKiPfP15HIP_vector_typeIfLj2EEffffjfiS5_IjLj3EEiiiiiiiiiiiliiliiiiil.numbered_sgpr, 46
	.set _ZL15flash_attn_tileILi96ELi96ELi2ELi4ELb0EEvPKcS1_S1_S1_S1_PKiPfP15HIP_vector_typeIfLj2EEffffjfiS5_IjLj3EEiiiiiiiiiiiliiliiiiil.num_named_barrier, 0
	.set _ZL15flash_attn_tileILi96ELi96ELi2ELi4ELb0EEvPKcS1_S1_S1_S1_PKiPfP15HIP_vector_typeIfLj2EEffffjfiS5_IjLj3EEiiiiiiiiiiiliiliiiiil.private_seg_size, 0
	.set _ZL15flash_attn_tileILi96ELi96ELi2ELi4ELb0EEvPKcS1_S1_S1_S1_PKiPfP15HIP_vector_typeIfLj2EEffffjfiS5_IjLj3EEiiiiiiiiiiiliiliiiiil.uses_vcc, 1
	.set _ZL15flash_attn_tileILi96ELi96ELi2ELi4ELb0EEvPKcS1_S1_S1_S1_PKiPfP15HIP_vector_typeIfLj2EEffffjfiS5_IjLj3EEiiiiiiiiiiiliiliiiiil.uses_flat_scratch, 0
	.set _ZL15flash_attn_tileILi96ELi96ELi2ELi4ELb0EEvPKcS1_S1_S1_S1_PKiPfP15HIP_vector_typeIfLj2EEffffjfiS5_IjLj3EEiiiiiiiiiiiliiliiiiil.has_dyn_sized_stack, 0
	.set _ZL15flash_attn_tileILi96ELi96ELi2ELi4ELb0EEvPKcS1_S1_S1_S1_PKiPfP15HIP_vector_typeIfLj2EEffffjfiS5_IjLj3EEiiiiiiiiiiiliiliiiiil.has_recursion, 0
	.set _ZL15flash_attn_tileILi96ELi96ELi2ELi4ELb0EEvPKcS1_S1_S1_S1_PKiPfP15HIP_vector_typeIfLj2EEffffjfiS5_IjLj3EEiiiiiiiiiiiliiliiiiil.has_indirect_call, 0
	.section	.AMDGPU.csdata,"",@progbits
; Kernel info:
; codeLenInByte = 5292
; TotalNumSgprs: 48
; NumVgprs: 88
; ScratchSize: 0
; MemoryBound: 0
; FloatMode: 240
; IeeeMode: 1
; LDSByteSize: 5760 bytes/workgroup (compile time only)
; SGPRBlocks: 0
; VGPRBlocks: 5
; NumSGPRsForWavesPerEU: 48
; NumVGPRsForWavesPerEU: 88
; NamedBarCnt: 0
; Occupancy: 10
; WaveLimiterHint : 1
; COMPUTE_PGM_RSRC2:SCRATCH_EN: 0
; COMPUTE_PGM_RSRC2:USER_SGPR: 2
; COMPUTE_PGM_RSRC2:TRAP_HANDLER: 0
; COMPUTE_PGM_RSRC2:TGID_X_EN: 1
; COMPUTE_PGM_RSRC2:TGID_Y_EN: 1
; COMPUTE_PGM_RSRC2:TGID_Z_EN: 1
; COMPUTE_PGM_RSRC2:TIDIG_COMP_CNT: 1
	.section	.text._ZL33flash_attn_stream_k_fixup_uniformILi96ELi2ELi4EEvPfPK15HIP_vector_typeIfLj2EEiiiiiiS1_IjLj3EES5_S5_,"axG",@progbits,_ZL33flash_attn_stream_k_fixup_uniformILi96ELi2ELi4EEvPfPK15HIP_vector_typeIfLj2EEiiiiiiS1_IjLj3EES5_S5_,comdat
	.globl	_ZL33flash_attn_stream_k_fixup_uniformILi96ELi2ELi4EEvPfPK15HIP_vector_typeIfLj2EEiiiiiiS1_IjLj3EES5_S5_ ; -- Begin function _ZL33flash_attn_stream_k_fixup_uniformILi96ELi2ELi4EEvPfPK15HIP_vector_typeIfLj2EEiiiiiiS1_IjLj3EES5_S5_
	.p2align	8
	.type	_ZL33flash_attn_stream_k_fixup_uniformILi96ELi2ELi4EEvPfPK15HIP_vector_typeIfLj2EEiiiiiiS1_IjLj3EES5_S5_,@function
_ZL33flash_attn_stream_k_fixup_uniformILi96ELi2ELi4EEvPfPK15HIP_vector_typeIfLj2EEiiiiiiS1_IjLj3EES5_S5_: ; @_ZL33flash_attn_stream_k_fixup_uniformILi96ELi2ELi4EEvPfPK15HIP_vector_typeIfLj2EEiiiiiiS1_IjLj3EES5_S5_
; %bb.0:
	s_load_b256 s[4:11], s[0:1], 0x1c
	s_bfe_u32 s2, ttmp6, 0x40014
	s_lshr_b32 s3, ttmp7, 16
	s_add_co_i32 s2, s2, 1
	s_bfe_u32 s13, ttmp6, 0x40010
	s_mul_i32 s2, s3, s2
	s_bfe_u32 s12, ttmp6, 0x40008
	s_and_b32 s15, ttmp7, 0xffff
	s_add_co_i32 s13, s13, 1
	s_bfe_u32 s14, ttmp6, 0x4000c
	s_add_co_i32 s2, s12, s2
	s_mul_i32 s12, s15, s13
	s_bfe_u32 s13, ttmp6, 0x40004
	s_add_co_i32 s14, s14, 1
	s_add_co_i32 s13, s13, s12
	s_and_b32 s12, ttmp6, 15
	s_mul_i32 s14, ttmp9, s14
	s_getreg_b32 s20, hwreg(HW_REG_IB_STS2, 6, 4)
	s_add_co_i32 s12, s12, s14
	s_load_b128 s[16:19], s[0:1], 0x3c
	s_cmp_eq_u32 s20, 0
	s_cselect_b32 s14, ttmp9, s12
	s_cselect_b32 s12, s15, s13
	s_wait_kmcnt 0x0
	s_mul_hi_u32 s7, s7, s14
	s_cselect_b32 s13, s3, s2
	s_add_co_i32 s2, s14, s7
	s_delay_alu instid0(SALU_CYCLE_1) | instskip(NEXT) | instid1(SALU_CYCLE_1)
	s_lshr_b32 s7, s2, s8
	s_mul_i32 s2, s7, s9
	s_delay_alu instid0(SALU_CYCLE_1) | instskip(NEXT) | instid1(SALU_CYCLE_1)
	s_sub_co_i32 s8, s14, s2
	s_mul_hi_u32 s2, s8, s10
	s_delay_alu instid0(SALU_CYCLE_1) | instskip(SKIP_2) | instid1(SALU_CYCLE_1)
	s_add_co_i32 s9, s8, s2
	s_load_b64 s[2:3], s[0:1], 0x10
	s_lshr_b32 s15, s9, s11
	s_mul_i32 s9, s15, s16
	s_delay_alu instid0(SALU_CYCLE_1) | instskip(NEXT) | instid1(SALU_CYCLE_1)
	s_sub_co_i32 s8, s8, s9
	s_mul_hi_u32 s9, s8, s17
	s_delay_alu instid0(SALU_CYCLE_1) | instskip(NEXT) | instid1(SALU_CYCLE_1)
	s_add_co_i32 s9, s8, s9
	s_lshr_b32 s9, s9, s18
	s_delay_alu instid0(SALU_CYCLE_1) | instskip(SKIP_2) | instid1(SALU_CYCLE_1)
	s_mul_i32 s10, s9, s19
	s_lshl_b32 s17, s9, 2
	s_sub_co_i32 s16, s8, s10
	s_lshl_b32 s8, s16, 1
	s_delay_alu instid0(SALU_CYCLE_1) | instskip(SKIP_4) | instid1(SALU_CYCLE_1)
	s_add_co_i32 s8, s8, s12
	s_wait_kmcnt 0x0
	s_cmp_lt_i32 s8, s2
	s_cselect_b32 s8, -1, 0
	s_add_co_i32 s17, s17, s13
	s_cmp_lt_i32 s17, s5
	s_cselect_b32 s9, -1, 0
	s_delay_alu instid0(SALU_CYCLE_1) | instskip(NEXT) | instid1(SALU_CYCLE_1)
	s_and_b32 s8, s8, s9
	s_and_not1_b32 vcc_lo, exec_lo, s8
	s_cbranch_vccnz .LBB28_6
; %bb.1:
	s_load_b128 s[8:11], s[0:1], 0x0
	s_wait_xcnt 0x0
	s_mul_i32 s0, s7, s2
	s_mul_i32 s15, s15, s5
	s_add_co_i32 s0, s0, s12
	s_add_co_i32 s1, s17, s15
	s_mul_i32 s0, s0, s3
	s_mul_i32 s2, s3, s16
	s_add_co_i32 s0, s1, s0
	s_mulk_i32 s2, 0xc0
	s_mulk_i32 s0, 0x60
	s_mul_i32 s7, s6, s14
	v_add3_u32 v4, s0, s2, v0
	s_lshl_b32 s5, s12, 2
	s_add_co_i32 s15, s7, s6
	s_add_co_i32 s0, s5, s13
	s_lshl_b32 s1, s15, 3
	v_ashrrev_i32_e32 v5, 31, v4
	s_add_co_i32 s0, s0, s1
	s_add_co_i32 s2, s15, -2
	s_add_co_i32 s0, s0, -8
	s_wait_kmcnt 0x0
	global_load_b32 v3, v4, s[8:9] scale_offset
	s_ashr_i32 s1, s0, 31
	s_delay_alu instid0(SALU_CYCLE_1)
	s_lshl_b64 s[0:1], s[0:1], 3
	s_cmp_lt_i32 s2, s7
	s_add_nc_u64 s[0:1], s[10:11], s[0:1]
	s_load_b32 s16, s[0:1], 0x4
	s_cbranch_scc1 .LBB28_4
; %bb.2:
	s_wait_xcnt 0x0
	s_load_b32 s0, s[0:1], 0x0
	s_add_co_i32 s14, s14, 1
	s_mulk_i32 s12, 0x180
	s_wait_xcnt 0x0
	s_mul_i32 s1, s6, s14
	s_lshl_b32 s2, s4, 5
	s_lshl_b32 s6, s1, 3
	s_mulk_i32 s1, 0x300
	s_add_co_i32 s6, s13, s6
	s_mulk_i32 s13, 0x60
	s_lshl_b32 s4, s4, 3
	s_add_co_i32 s12, s13, s12
	s_ashr_i32 s3, s2, 31
	s_add_co_i32 s12, s12, s1
	s_add_co_i32 s1, s6, s4
	v_add3_u32 v0, s12, v0, 0xfffffa00
	s_wait_kmcnt 0x0
	v_mov_b32_e32 v2, s16
	s_lshl_b64 s[2:3], s[2:3], 2
	s_add_co_i32 s4, s1, s5
	s_add_nc_u64 s[2:3], s[10:11], s[2:3]
	s_add_co_i32 s1, s15, -1
	s_add_co_i32 s4, s4, -16
.LBB28_3:                               ; =>This Inner Loop Header: Depth=1
	global_load_b32 v7, v0, s[2:3] scale_offset
	s_ashr_i32 s5, s4, 31
	v_max_num_f32_e64 v1, s0, s0
	s_lshl_b64 s[12:13], s[4:5], 3
	s_delay_alu instid0(SALU_CYCLE_1) | instskip(SKIP_1) | instid1(VALU_DEP_1)
	s_add_nc_u64 s[12:13], s[10:11], s[12:13]
	s_load_b64 s[12:13], s[12:13], 0x0
	v_readfirstlane_b32 s5, v1
	v_add_nc_u32_e32 v0, 0xfffffd00, v0
	s_wait_kmcnt 0x0
	v_max_num_f32_e64 v1, s12, s12
	s_delay_alu instid0(VALU_DEP_1) | instskip(SKIP_1) | instid1(SALU_CYCLE_3)
	v_readfirstlane_b32 s6, v1
	s_max_num_f32 s5, s5, s6
	s_sub_f32 s0, s0, s5
	s_sub_f32 s6, s12, s5
	s_delay_alu instid0(SALU_CYCLE_2) | instskip(NEXT) | instid1(SALU_CYCLE_2)
	s_mul_f32 s12, s0, 0x3fb8aa3b
	s_mul_f32 s14, s6, 0x3fb8aa3b
	s_delay_alu instid0(SALU_CYCLE_2)
	s_xor_b32 s15, s12, 0x80000000
	s_rndne_f32 s16, s12
	s_fmamk_f32 s15, s0, 0x3fb8aa3b, s15
	s_cmp_nlt_f32 s0, 0xc2ce8ed0
	s_rndne_f32 s17, s14
	s_sub_f32 s12, s12, s16
	s_fmamk_f32 s15, s0, 0x32a5705f, s15
	s_cselect_b32 vcc_lo, -1, 0
	s_cmp_ngt_f32 s0, 0x42b17218
	s_delay_alu instid0(SALU_CYCLE_1) | instskip(SKIP_2) | instid1(SALU_CYCLE_1)
	s_add_f32 s12, s12, s15
	s_cvt_i32_f32 s15, s16
	s_sub_f32 s16, s14, s17
	v_s_exp_f32 s12, s12
	v_nop
	s_delay_alu instid0(TRANS32_DEP_1) | instskip(SKIP_1) | instid1(VALU_DEP_1)
	v_ldexp_f32 v1, s12, s15
	s_cvt_i32_f32 s12, s17
	v_cndmask_b32_e32 v1, 0, v1, vcc_lo
	s_cselect_b32 vcc_lo, -1, 0
	s_cmp_ge_f32 s0, 0xc1a00000
	s_delay_alu instid0(VALU_DEP_1)
	v_cndmask_b32_e32 v1, 0x7f800000, v1, vcc_lo
	s_cselect_b32 vcc_lo, -1, 0
	s_xor_b32 s0, s14, 0x80000000
	s_cmp_nlt_f32 s6, 0xc2ce8ed0
	s_fmamk_f32 s0, s6, 0x3fb8aa3b, s0
	v_cndmask_b32_e32 v10, 0, v1, vcc_lo
	s_delay_alu instid0(SALU_CYCLE_2) | instskip(NEXT) | instid1(SALU_CYCLE_3)
	s_fmamk_f32 s0, s6, 0x32a5705f, s0
	s_add_f32 s0, s16, s0
	s_delay_alu instid0(SALU_CYCLE_3) | instskip(SKIP_1) | instid1(TRANS32_DEP_1)
	v_s_exp_f32 s0, s0
	v_nop
	v_ldexp_f32 v6, s0, s12
	s_cselect_b32 s0, -1, 0
	s_cmp_ngt_f32 s6, 0x42b17218
	s_delay_alu instid0(VALU_DEP_1) | instskip(SKIP_2) | instid1(VALU_DEP_1)
	v_cndmask_b32_e64 v6, 0, v6, s0
	s_cselect_b32 s0, -1, 0
	s_cmp_ge_f32 s6, 0xc1a00000
	v_cndmask_b32_e64 v8, 0x7f800000, v6, s0
	s_cselect_b32 s0, -1, 0
	v_mov_b32_e32 v6, s13
	s_add_co_i32 s1, s1, -1
	s_add_co_i32 s4, s4, -8
	v_cndmask_b32_e64 v8, 0, v8, s0
	s_cmp_le_i32 s1, s7
	s_mov_b32 s0, s5
	s_wait_loadcnt 0x0
	s_delay_alu instid0(VALU_DEP_1) | instskip(NEXT) | instid1(VALU_DEP_1)
	v_pk_mul_f32 v[6:7], v[6:7], v[8:9] op_sel_hi:[1,0]
	v_pk_fma_f32 v[2:3], v[2:3], v[10:11], v[6:7] op_sel_hi:[1,0,1]
	s_cbranch_scc0 .LBB28_3
	s_branch .LBB28_5
.LBB28_4:
	s_wait_kmcnt 0x0
	v_mov_b32_e32 v2, s16
.LBB28_5:
	v_lshl_add_u64 v[0:1], v[4:5], 2, s[8:9]
	s_wait_loadcnt 0x0
	s_delay_alu instid0(VALU_DEP_2) | instskip(NEXT) | instid1(VALU_DEP_1)
	v_div_scale_f32 v4, null, v2, v2, v3
	v_rcp_f32_e32 v5, v4
	v_nop
	s_delay_alu instid0(TRANS32_DEP_1) | instskip(NEXT) | instid1(VALU_DEP_1)
	v_fma_f32 v6, -v4, v5, 1.0
	v_fmac_f32_e32 v5, v6, v5
	v_div_scale_f32 v6, vcc_lo, v3, v2, v3
	s_delay_alu instid0(VALU_DEP_1) | instskip(NEXT) | instid1(VALU_DEP_1)
	v_mul_f32_e32 v7, v6, v5
	v_fma_f32 v8, -v4, v7, v6
	s_delay_alu instid0(VALU_DEP_1) | instskip(NEXT) | instid1(VALU_DEP_1)
	v_fmac_f32_e32 v7, v8, v5
	v_fma_f32 v4, -v4, v7, v6
	s_delay_alu instid0(VALU_DEP_1) | instskip(NEXT) | instid1(VALU_DEP_1)
	v_div_fmas_f32 v4, v4, v5, v7
	v_div_fixup_f32 v2, v4, v2, v3
	global_store_b32 v[0:1], v2, off
.LBB28_6:
	s_endpgm
	.section	.rodata,"a",@progbits
	.p2align	6, 0x0
	.amdhsa_kernel _ZL33flash_attn_stream_k_fixup_uniformILi96ELi2ELi4EEvPfPK15HIP_vector_typeIfLj2EEiiiiiiS1_IjLj3EES5_S5_
		.amdhsa_group_segment_fixed_size 0
		.amdhsa_private_segment_fixed_size 0
		.amdhsa_kernarg_size 76
		.amdhsa_user_sgpr_count 2
		.amdhsa_user_sgpr_dispatch_ptr 0
		.amdhsa_user_sgpr_queue_ptr 0
		.amdhsa_user_sgpr_kernarg_segment_ptr 1
		.amdhsa_user_sgpr_dispatch_id 0
		.amdhsa_user_sgpr_kernarg_preload_length 0
		.amdhsa_user_sgpr_kernarg_preload_offset 0
		.amdhsa_user_sgpr_private_segment_size 0
		.amdhsa_wavefront_size32 1
		.amdhsa_uses_dynamic_stack 0
		.amdhsa_enable_private_segment 0
		.amdhsa_system_sgpr_workgroup_id_x 1
		.amdhsa_system_sgpr_workgroup_id_y 1
		.amdhsa_system_sgpr_workgroup_id_z 1
		.amdhsa_system_sgpr_workgroup_info 0
		.amdhsa_system_vgpr_workitem_id 0
		.amdhsa_next_free_vgpr 12
		.amdhsa_next_free_sgpr 21
		.amdhsa_named_barrier_count 0
		.amdhsa_reserve_vcc 1
		.amdhsa_float_round_mode_32 0
		.amdhsa_float_round_mode_16_64 0
		.amdhsa_float_denorm_mode_32 3
		.amdhsa_float_denorm_mode_16_64 3
		.amdhsa_fp16_overflow 0
		.amdhsa_memory_ordered 1
		.amdhsa_forward_progress 1
		.amdhsa_inst_pref_size 9
		.amdhsa_round_robin_scheduling 0
		.amdhsa_exception_fp_ieee_invalid_op 0
		.amdhsa_exception_fp_denorm_src 0
		.amdhsa_exception_fp_ieee_div_zero 0
		.amdhsa_exception_fp_ieee_overflow 0
		.amdhsa_exception_fp_ieee_underflow 0
		.amdhsa_exception_fp_ieee_inexact 0
		.amdhsa_exception_int_div_zero 0
	.end_amdhsa_kernel
	.section	.text._ZL33flash_attn_stream_k_fixup_uniformILi96ELi2ELi4EEvPfPK15HIP_vector_typeIfLj2EEiiiiiiS1_IjLj3EES5_S5_,"axG",@progbits,_ZL33flash_attn_stream_k_fixup_uniformILi96ELi2ELi4EEvPfPK15HIP_vector_typeIfLj2EEiiiiiiS1_IjLj3EES5_S5_,comdat
.Lfunc_end28:
	.size	_ZL33flash_attn_stream_k_fixup_uniformILi96ELi2ELi4EEvPfPK15HIP_vector_typeIfLj2EEiiiiiiS1_IjLj3EES5_S5_, .Lfunc_end28-_ZL33flash_attn_stream_k_fixup_uniformILi96ELi2ELi4EEvPfPK15HIP_vector_typeIfLj2EEiiiiiiS1_IjLj3EES5_S5_
                                        ; -- End function
	.set _ZL33flash_attn_stream_k_fixup_uniformILi96ELi2ELi4EEvPfPK15HIP_vector_typeIfLj2EEiiiiiiS1_IjLj3EES5_S5_.num_vgpr, 12
	.set _ZL33flash_attn_stream_k_fixup_uniformILi96ELi2ELi4EEvPfPK15HIP_vector_typeIfLj2EEiiiiiiS1_IjLj3EES5_S5_.num_agpr, 0
	.set _ZL33flash_attn_stream_k_fixup_uniformILi96ELi2ELi4EEvPfPK15HIP_vector_typeIfLj2EEiiiiiiS1_IjLj3EES5_S5_.numbered_sgpr, 21
	.set _ZL33flash_attn_stream_k_fixup_uniformILi96ELi2ELi4EEvPfPK15HIP_vector_typeIfLj2EEiiiiiiS1_IjLj3EES5_S5_.num_named_barrier, 0
	.set _ZL33flash_attn_stream_k_fixup_uniformILi96ELi2ELi4EEvPfPK15HIP_vector_typeIfLj2EEiiiiiiS1_IjLj3EES5_S5_.private_seg_size, 0
	.set _ZL33flash_attn_stream_k_fixup_uniformILi96ELi2ELi4EEvPfPK15HIP_vector_typeIfLj2EEiiiiiiS1_IjLj3EES5_S5_.uses_vcc, 1
	.set _ZL33flash_attn_stream_k_fixup_uniformILi96ELi2ELi4EEvPfPK15HIP_vector_typeIfLj2EEiiiiiiS1_IjLj3EES5_S5_.uses_flat_scratch, 0
	.set _ZL33flash_attn_stream_k_fixup_uniformILi96ELi2ELi4EEvPfPK15HIP_vector_typeIfLj2EEiiiiiiS1_IjLj3EES5_S5_.has_dyn_sized_stack, 0
	.set _ZL33flash_attn_stream_k_fixup_uniformILi96ELi2ELi4EEvPfPK15HIP_vector_typeIfLj2EEiiiiiiS1_IjLj3EES5_S5_.has_recursion, 0
	.set _ZL33flash_attn_stream_k_fixup_uniformILi96ELi2ELi4EEvPfPK15HIP_vector_typeIfLj2EEiiiiiiS1_IjLj3EES5_S5_.has_indirect_call, 0
	.section	.AMDGPU.csdata,"",@progbits
; Kernel info:
; codeLenInByte = 1084
; TotalNumSgprs: 23
; NumVgprs: 12
; ScratchSize: 0
; MemoryBound: 0
; FloatMode: 240
; IeeeMode: 1
; LDSByteSize: 0 bytes/workgroup (compile time only)
; SGPRBlocks: 0
; VGPRBlocks: 0
; NumSGPRsForWavesPerEU: 23
; NumVGPRsForWavesPerEU: 12
; NamedBarCnt: 0
; Occupancy: 16
; WaveLimiterHint : 0
; COMPUTE_PGM_RSRC2:SCRATCH_EN: 0
; COMPUTE_PGM_RSRC2:USER_SGPR: 2
; COMPUTE_PGM_RSRC2:TRAP_HANDLER: 0
; COMPUTE_PGM_RSRC2:TGID_X_EN: 1
; COMPUTE_PGM_RSRC2:TGID_Y_EN: 1
; COMPUTE_PGM_RSRC2:TGID_Z_EN: 1
; COMPUTE_PGM_RSRC2:TIDIG_COMP_CNT: 0
	.section	.text._ZL33flash_attn_stream_k_fixup_generalILi96ELi2ELi4EEvPfPK15HIP_vector_typeIfLj2EEiiiiS1_IjLj3EES5_S5_S5_,"axG",@progbits,_ZL33flash_attn_stream_k_fixup_generalILi96ELi2ELi4EEvPfPK15HIP_vector_typeIfLj2EEiiiiS1_IjLj3EES5_S5_S5_,comdat
	.globl	_ZL33flash_attn_stream_k_fixup_generalILi96ELi2ELi4EEvPfPK15HIP_vector_typeIfLj2EEiiiiS1_IjLj3EES5_S5_S5_ ; -- Begin function _ZL33flash_attn_stream_k_fixup_generalILi96ELi2ELi4EEvPfPK15HIP_vector_typeIfLj2EEiiiiS1_IjLj3EES5_S5_S5_
	.p2align	8
	.type	_ZL33flash_attn_stream_k_fixup_generalILi96ELi2ELi4EEvPfPK15HIP_vector_typeIfLj2EEiiiiS1_IjLj3EES5_S5_S5_,@function
_ZL33flash_attn_stream_k_fixup_generalILi96ELi2ELi4EEvPfPK15HIP_vector_typeIfLj2EEiiiiS1_IjLj3EES5_S5_S5_: ; @_ZL33flash_attn_stream_k_fixup_generalILi96ELi2ELi4EEvPfPK15HIP_vector_typeIfLj2EEiiiiS1_IjLj3EES5_S5_S5_
; %bb.0:
	s_clause 0x1
	s_load_b128 s[4:7], s[0:1], 0x10
	s_load_b32 s16, s[0:1], 0x50
	s_bfe_u32 s2, ttmp6, 0x4000c
	s_and_b32 s3, ttmp6, 15
	s_add_co_i32 s2, s2, 1
	s_getreg_b32 s15, hwreg(HW_REG_IB_STS2, 6, 4)
	s_mul_i32 s2, ttmp9, s2
	s_mov_b32 s17, 0
	s_add_co_i32 s3, s3, s2
	s_cmp_eq_u32 s15, 0
	s_cselect_b32 s2, ttmp9, s3
	s_delay_alu instid0(SALU_CYCLE_1) | instskip(SKIP_3) | instid1(SALU_CYCLE_1)
	s_ashr_i32 s3, s2, 31
	s_wait_kmcnt 0x0
	s_ashr_i32 s19, s7, 31
	s_mov_b32 s18, s7
	s_mul_u64 s[8:9], s[18:19], s[2:3]
	s_delay_alu instid0(SALU_CYCLE_1) | instskip(NEXT) | instid1(SALU_CYCLE_1)
	s_and_b64 s[10:11], s[8:9], 0xffffffff00000000
	s_cmp_lg_u64 s[10:11], 0
	s_cbranch_scc0 .LBB29_21
; %bb.1:
	s_add_nc_u64 s[10:11], s[16:17], 0
	s_mov_b32 s23, s17
	s_xor_b64 s[10:11], s[10:11], 0
	s_mov_b32 s27, s17
	s_cvt_f32_u32 s3, s10
	s_cvt_f32_u32 s7, s11
	s_sub_nc_u64 s[20:21], 0, s[10:11]
	s_delay_alu instid0(SALU_CYCLE_2) | instskip(NEXT) | instid1(SALU_CYCLE_3)
	s_fmamk_f32 s3, s7, 0x4f800000, s3
	v_s_rcp_f32 s3, s3
	s_delay_alu instid0(TRANS32_DEP_1) | instskip(NEXT) | instid1(SALU_CYCLE_3)
	s_mul_f32 s3, s3, 0x5f7ffffc
	s_mul_f32 s7, s3, 0x2f800000
	s_delay_alu instid0(SALU_CYCLE_3) | instskip(NEXT) | instid1(SALU_CYCLE_3)
	s_trunc_f32 s7, s7
	s_fmamk_f32 s3, s7, 0xcf800000, s3
	s_cvt_u32_f32 s13, s7
	s_delay_alu instid0(SALU_CYCLE_2) | instskip(NEXT) | instid1(SALU_CYCLE_3)
	s_cvt_u32_f32 s12, s3
	s_mul_u64 s[24:25], s[20:21], s[12:13]
	s_delay_alu instid0(SALU_CYCLE_1)
	s_mul_hi_u32 s29, s12, s25
	s_mul_i32 s28, s12, s25
	s_mul_hi_u32 s22, s12, s24
	s_mul_i32 s7, s13, s24
	s_add_nc_u64 s[22:23], s[22:23], s[28:29]
	s_mul_hi_u32 s3, s13, s24
	s_mul_hi_u32 s14, s13, s25
	s_add_co_u32 s7, s22, s7
	s_add_co_ci_u32 s26, s23, s3
	s_mul_i32 s24, s13, s25
	s_add_co_ci_u32 s25, s14, 0
	s_delay_alu instid0(SALU_CYCLE_1) | instskip(SKIP_3) | instid1(SALU_CYCLE_1)
	s_add_nc_u64 s[22:23], s[26:27], s[24:25]
	s_mov_b32 s25, s17
	s_add_co_u32 s12, s12, s22
	s_cselect_b32 s3, -1, 0
	s_cmp_lg_u32 s3, 0
	s_add_co_ci_u32 s13, s13, s23
	s_mov_b32 s23, s17
	s_mul_u64 s[20:21], s[20:21], s[12:13]
	s_delay_alu instid0(SALU_CYCLE_1)
	s_mul_hi_u32 s27, s12, s21
	s_mul_i32 s26, s12, s21
	s_mul_hi_u32 s22, s12, s20
	s_mul_i32 s7, s13, s20
	s_add_nc_u64 s[22:23], s[22:23], s[26:27]
	s_mul_hi_u32 s3, s13, s20
	s_mul_hi_u32 s14, s13, s21
	s_add_co_u32 s7, s22, s7
	s_add_co_ci_u32 s24, s23, s3
	s_mul_i32 s20, s13, s21
	s_add_co_ci_u32 s21, s14, 0
	s_mov_b32 s23, s17
	s_add_nc_u64 s[20:21], s[24:25], s[20:21]
	s_delay_alu instid0(SALU_CYCLE_1) | instskip(SKIP_1) | instid1(SALU_CYCLE_1)
	s_add_co_u32 s3, s12, s20
	s_cselect_b32 s7, -1, 0
	s_cmp_lg_u32 s7, 0
	s_add_co_ci_u32 s7, s13, s21
	s_ashr_i32 s12, s9, 31
	s_delay_alu instid0(SALU_CYCLE_1) | instskip(NEXT) | instid1(SALU_CYCLE_1)
	s_mov_b32 s13, s12
	s_add_nc_u64 s[20:21], s[8:9], s[12:13]
	s_delay_alu instid0(SALU_CYCLE_1) | instskip(NEXT) | instid1(SALU_CYCLE_1)
	s_xor_b64 s[20:21], s[20:21], s[12:13]
	s_mul_hi_u32 s27, s20, s7
	s_mul_i32 s26, s20, s7
	s_mul_hi_u32 s22, s20, s3
	s_mul_hi_u32 s14, s21, s3
	s_mul_i32 s3, s21, s3
	s_add_nc_u64 s[22:23], s[22:23], s[26:27]
	s_mul_hi_u32 s9, s21, s7
	s_add_co_u32 s3, s22, s3
	s_add_co_ci_u32 s24, s23, s14
	s_mul_i32 s26, s21, s7
	s_add_co_ci_u32 s27, s9, 0
	s_delay_alu instid0(SALU_CYCLE_1) | instskip(NEXT) | instid1(SALU_CYCLE_1)
	s_add_nc_u64 s[22:23], s[24:25], s[26:27]
	s_and_b64 s[24:25], s[22:23], 0xffffffff00000000
	s_delay_alu instid0(SALU_CYCLE_1) | instskip(NEXT) | instid1(SALU_CYCLE_1)
	s_or_b32 s24, s24, s22
	s_mul_u64 s[22:23], s[10:11], s[24:25]
	s_add_nc_u64 s[26:27], s[24:25], 1
	s_sub_co_u32 s3, s20, s22
	s_cselect_b32 s7, -1, 0
	s_sub_co_i32 s9, s21, s23
	s_cmp_lg_u32 s7, 0
	s_add_nc_u64 s[28:29], s[24:25], 2
	s_sub_co_ci_u32 s9, s9, s11
	s_sub_co_u32 s14, s3, s10
	s_cselect_b32 s20, -1, 0
	s_delay_alu instid0(SALU_CYCLE_1) | instskip(SKIP_1) | instid1(SALU_CYCLE_1)
	s_cmp_lg_u32 s20, 0
	s_sub_co_ci_u32 s9, s9, 0
	s_cmp_ge_u32 s9, s11
	s_cselect_b32 s20, -1, 0
	s_cmp_ge_u32 s14, s10
	s_cselect_b32 s14, -1, 0
	s_cmp_eq_u32 s9, s11
	s_cselect_b32 s9, s14, s20
	s_delay_alu instid0(SALU_CYCLE_1) | instskip(SKIP_4) | instid1(SALU_CYCLE_1)
	s_cmp_lg_u32 s9, 0
	s_cselect_b32 s9, s28, s26
	s_cselect_b32 s14, s29, s27
	s_cmp_lg_u32 s7, 0
	s_sub_co_ci_u32 s7, s21, s23
	s_cmp_ge_u32 s7, s11
	s_cselect_b32 s20, -1, 0
	s_cmp_ge_u32 s3, s10
	s_cselect_b32 s3, -1, 0
	s_cmp_eq_u32 s7, s11
	s_cselect_b32 s3, s3, s20
	s_delay_alu instid0(SALU_CYCLE_1) | instskip(SKIP_4) | instid1(SALU_CYCLE_1)
	s_cmp_lg_u32 s3, 0
	s_mov_b32 s3, s17
	s_cselect_b32 s11, s14, s25
	s_cselect_b32 s10, s9, s24
	s_xor_b64 s[12:13], s[12:13], 0
	s_xor_b64 s[10:11], s[10:11], s[12:13]
	s_delay_alu instid0(SALU_CYCLE_1)
	s_sub_nc_u64 s[20:21], s[10:11], s[12:13]
	s_and_not1_b32 vcc_lo, exec_lo, s3
	s_cbranch_vccnz .LBB29_3
.LBB29_2:
	v_cvt_f32_u32_e32 v1, s16
	s_sub_co_i32 s7, 0, s16
	s_mov_b32 s21, 0
	s_delay_alu instid0(VALU_DEP_1) | instskip(SKIP_1) | instid1(TRANS32_DEP_1)
	v_rcp_iflag_f32_e32 v1, v1
	v_nop
	v_mul_f32_e32 v1, 0x4f7ffffe, v1
	s_delay_alu instid0(VALU_DEP_1) | instskip(NEXT) | instid1(VALU_DEP_1)
	v_cvt_u32_f32_e32 v1, v1
	v_readfirstlane_b32 s3, v1
	s_mul_i32 s7, s7, s3
	s_delay_alu instid0(SALU_CYCLE_1) | instskip(NEXT) | instid1(SALU_CYCLE_1)
	s_mul_hi_u32 s7, s3, s7
	s_add_co_i32 s3, s3, s7
	s_delay_alu instid0(SALU_CYCLE_1) | instskip(NEXT) | instid1(SALU_CYCLE_1)
	s_mul_hi_u32 s3, s8, s3
	s_mul_i32 s7, s3, s16
	s_delay_alu instid0(SALU_CYCLE_1)
	s_sub_co_i32 s7, s8, s7
	s_add_co_i32 s8, s3, 1
	s_sub_co_i32 s9, s7, s16
	s_cmp_ge_u32 s7, s16
	s_cselect_b32 s3, s8, s3
	s_cselect_b32 s7, s9, s7
	s_add_co_i32 s8, s3, 1
	s_cmp_ge_u32 s7, s16
	s_cselect_b32 s20, s8, s3
.LBB29_3:
	s_add_co_i32 s8, s2, 1
	s_delay_alu instid0(SALU_CYCLE_1) | instskip(NEXT) | instid1(SALU_CYCLE_1)
	s_ashr_i32 s9, s8, 31
	s_mul_u64 s[8:9], s[18:19], s[8:9]
	s_delay_alu instid0(SALU_CYCLE_1) | instskip(NEXT) | instid1(SALU_CYCLE_1)
	s_and_b64 s[10:11], s[8:9], 0xffffffff00000000
	s_cmp_lg_u64 s[10:11], 0
	s_cbranch_scc0 .LBB29_22
; %bb.4:
	s_add_nc_u64 s[10:11], s[16:17], 0
	s_delay_alu instid0(SALU_CYCLE_1) | instskip(SKIP_4) | instid1(SALU_CYCLE_2)
	s_xor_b64 s[12:13], s[10:11], 0
	s_mov_b32 s11, 0
	s_cvt_f32_u32 s3, s12
	s_cvt_f32_u32 s7, s13
	s_sub_nc_u64 s[24:25], 0, s[12:13]
	s_fmamk_f32 s3, s7, 0x4f800000, s3
	s_delay_alu instid0(SALU_CYCLE_3) | instskip(NEXT) | instid1(TRANS32_DEP_1)
	v_s_rcp_f32 s3, s3
	s_mul_f32 s3, s3, 0x5f7ffffc
	s_delay_alu instid0(SALU_CYCLE_3) | instskip(NEXT) | instid1(SALU_CYCLE_3)
	s_mul_f32 s7, s3, 0x2f800000
	s_trunc_f32 s7, s7
	s_delay_alu instid0(SALU_CYCLE_3) | instskip(SKIP_1) | instid1(SALU_CYCLE_2)
	s_fmamk_f32 s3, s7, 0xcf800000, s3
	s_cvt_u32_f32 s23, s7
	s_cvt_u32_f32 s22, s3
	s_delay_alu instid0(SALU_CYCLE_3) | instskip(NEXT) | instid1(SALU_CYCLE_1)
	s_mul_u64 s[26:27], s[24:25], s[22:23]
	s_mul_hi_u32 s29, s22, s27
	s_mul_i32 s28, s22, s27
	s_mul_hi_u32 s10, s22, s26
	s_mul_i32 s7, s23, s26
	s_add_nc_u64 s[28:29], s[10:11], s[28:29]
	s_mul_hi_u32 s3, s23, s26
	s_mul_hi_u32 s14, s23, s27
	s_add_co_u32 s7, s28, s7
	s_add_co_ci_u32 s10, s29, s3
	s_mul_i32 s26, s23, s27
	s_add_co_ci_u32 s27, s14, 0
	s_delay_alu instid0(SALU_CYCLE_1) | instskip(NEXT) | instid1(SALU_CYCLE_1)
	s_add_nc_u64 s[26:27], s[10:11], s[26:27]
	s_add_co_u32 s22, s22, s26
	s_cselect_b32 s3, -1, 0
	s_delay_alu instid0(SALU_CYCLE_1) | instskip(SKIP_1) | instid1(SALU_CYCLE_1)
	s_cmp_lg_u32 s3, 0
	s_add_co_ci_u32 s23, s23, s27
	s_mul_u64 s[24:25], s[24:25], s[22:23]
	s_delay_alu instid0(SALU_CYCLE_1)
	s_mul_hi_u32 s27, s22, s25
	s_mul_i32 s26, s22, s25
	s_mul_hi_u32 s10, s22, s24
	s_mul_i32 s7, s23, s24
	s_add_nc_u64 s[26:27], s[10:11], s[26:27]
	s_mul_hi_u32 s3, s23, s24
	s_mul_hi_u32 s14, s23, s25
	s_add_co_u32 s7, s26, s7
	s_add_co_ci_u32 s10, s27, s3
	s_mul_i32 s24, s23, s25
	s_add_co_ci_u32 s25, s14, 0
	s_delay_alu instid0(SALU_CYCLE_1) | instskip(NEXT) | instid1(SALU_CYCLE_1)
	s_add_nc_u64 s[24:25], s[10:11], s[24:25]
	s_add_co_u32 s3, s22, s24
	s_cselect_b32 s7, -1, 0
	s_delay_alu instid0(SALU_CYCLE_1) | instskip(SKIP_2) | instid1(SALU_CYCLE_1)
	s_cmp_lg_u32 s7, 0
	s_add_co_ci_u32 s7, s23, s25
	s_ashr_i32 s22, s9, 31
	s_mov_b32 s23, s22
	s_delay_alu instid0(SALU_CYCLE_1) | instskip(NEXT) | instid1(SALU_CYCLE_1)
	s_add_nc_u64 s[24:25], s[8:9], s[22:23]
	s_xor_b64 s[24:25], s[24:25], s[22:23]
	s_delay_alu instid0(SALU_CYCLE_1)
	s_mul_hi_u32 s27, s24, s7
	s_mul_i32 s26, s24, s7
	s_mul_hi_u32 s10, s24, s3
	s_mul_hi_u32 s14, s25, s3
	s_mul_i32 s3, s25, s3
	s_add_nc_u64 s[26:27], s[10:11], s[26:27]
	s_mul_hi_u32 s9, s25, s7
	s_add_co_u32 s3, s26, s3
	s_add_co_ci_u32 s10, s27, s14
	s_mul_i32 s28, s25, s7
	s_add_co_ci_u32 s29, s9, 0
	s_delay_alu instid0(SALU_CYCLE_1) | instskip(NEXT) | instid1(SALU_CYCLE_1)
	s_add_nc_u64 s[26:27], s[10:11], s[28:29]
	s_and_b64 s[28:29], s[26:27], 0xffffffff00000000
	s_delay_alu instid0(SALU_CYCLE_1) | instskip(NEXT) | instid1(SALU_CYCLE_1)
	s_or_b32 s28, s28, s26
	s_mul_u64 s[26:27], s[12:13], s[28:29]
	s_add_nc_u64 s[30:31], s[28:29], 1
	s_sub_co_u32 s3, s24, s26
	s_cselect_b32 s7, -1, 0
	s_sub_co_i32 s9, s25, s27
	s_cmp_lg_u32 s7, 0
	s_add_nc_u64 s[34:35], s[28:29], 2
	s_sub_co_ci_u32 s9, s9, s13
	s_sub_co_u32 s10, s3, s12
	s_cselect_b32 s14, -1, 0
	s_delay_alu instid0(SALU_CYCLE_1) | instskip(SKIP_1) | instid1(SALU_CYCLE_1)
	s_cmp_lg_u32 s14, 0
	s_sub_co_ci_u32 s9, s9, 0
	s_cmp_ge_u32 s9, s13
	s_cselect_b32 s14, -1, 0
	s_cmp_ge_u32 s10, s12
	s_cselect_b32 s10, -1, 0
	s_cmp_eq_u32 s9, s13
	s_cselect_b32 s9, s10, s14
	s_delay_alu instid0(SALU_CYCLE_1) | instskip(SKIP_4) | instid1(SALU_CYCLE_1)
	s_cmp_lg_u32 s9, 0
	s_cselect_b32 s9, s34, s30
	s_cselect_b32 s10, s35, s31
	s_cmp_lg_u32 s7, 0
	s_sub_co_ci_u32 s7, s25, s27
	s_cmp_ge_u32 s7, s13
	s_cselect_b32 s14, -1, 0
	s_cmp_ge_u32 s3, s12
	s_cselect_b32 s3, -1, 0
	s_cmp_eq_u32 s7, s13
	s_cselect_b32 s3, s3, s14
	s_delay_alu instid0(SALU_CYCLE_1) | instskip(SKIP_3) | instid1(SALU_CYCLE_1)
	s_cmp_lg_u32 s3, 0
	s_cselect_b32 s13, s10, s29
	s_cselect_b32 s12, s9, s28
	s_xor_b64 s[22:23], s[22:23], 0
	s_xor_b64 s[12:13], s[12:13], s[22:23]
	s_delay_alu instid0(SALU_CYCLE_1)
	s_sub_nc_u64 s[24:25], s[12:13], s[22:23]
	s_load_b96 s[12:14], s[0:1], 0x44
	s_cbranch_execnz .LBB29_6
.LBB29_5:
	v_cvt_f32_u32_e32 v1, s16
	s_sub_co_i32 s7, 0, s16
	s_delay_alu instid0(VALU_DEP_1) | instskip(SKIP_1) | instid1(TRANS32_DEP_1)
	v_rcp_iflag_f32_e32 v1, v1
	v_nop
	v_mul_f32_e32 v1, 0x4f7ffffe, v1
	s_delay_alu instid0(VALU_DEP_1) | instskip(NEXT) | instid1(VALU_DEP_1)
	v_cvt_u32_f32_e32 v1, v1
	v_readfirstlane_b32 s3, v1
	s_mul_i32 s7, s7, s3
	s_delay_alu instid0(SALU_CYCLE_1) | instskip(NEXT) | instid1(SALU_CYCLE_1)
	s_mul_hi_u32 s7, s3, s7
	s_add_co_i32 s3, s3, s7
	s_delay_alu instid0(SALU_CYCLE_1) | instskip(NEXT) | instid1(SALU_CYCLE_1)
	s_mul_hi_u32 s3, s8, s3
	s_mul_i32 s7, s3, s16
	s_delay_alu instid0(SALU_CYCLE_1)
	s_sub_co_i32 s7, s8, s7
	s_add_co_i32 s8, s3, 1
	s_sub_co_i32 s9, s7, s16
	s_cmp_ge_u32 s7, s16
	s_cselect_b32 s3, s8, s3
	s_cselect_b32 s7, s9, s7
	s_add_co_i32 s8, s3, 1
	s_cmp_ge_u32 s7, s16
	s_cselect_b32 s24, s8, s3
.LBB29_6:
	s_delay_alu instid0(SALU_CYCLE_1)
	s_cmp_eq_u32 s20, s24
	s_mov_b64 s[8:9], 0xffffffff
	s_cselect_b32 s3, -1, 0
	s_and_b64 s[8:9], s[20:21], s[8:9]
	s_mov_b32 s23, 0
	s_wait_kmcnt 0x0
	s_mov_b32 s22, s12
	s_mov_b32 s25, s23
	s_mul_u64 s[10:11], s[8:9], s[22:23]
	s_delay_alu instid0(SALU_CYCLE_1) | instskip(SKIP_2) | instid1(SALU_CYCLE_1)
	s_add_co_i32 s7, s11, s20
	s_mul_u64 s[10:11], s[24:25], s[22:23]
	s_lshr_b32 s12, s7, s13
	s_mul_i32 s7, s12, s14
	s_delay_alu instid0(SALU_CYCLE_1) | instskip(SKIP_2) | instid1(SALU_CYCLE_1)
	s_cmp_eq_u32 s7, s20
	s_cselect_b32 s7, -1, 0
	s_add_co_i32 s10, s11, s24
	s_lshr_b32 s10, s10, s13
	s_delay_alu instid0(SALU_CYCLE_1)
	s_cmp_eq_u32 s12, s10
	s_mul_i32 s10, s10, s14
	s_cselect_b32 s11, -1, 0
	s_cmp_lg_u32 s10, s24
	s_cselect_b32 s10, -1, 0
	s_or_b32 s3, s3, s7
	s_and_b32 s10, s11, s10
	s_delay_alu instid0(SALU_CYCLE_1) | instskip(NEXT) | instid1(SALU_CYCLE_1)
	s_or_b32 s3, s3, s10
	s_and_b32 vcc_lo, exec_lo, s3
	s_cbranch_vccnz .LBB29_24
; %bb.7:
	s_load_b256 s[24:31], s[0:1], 0x20
	s_bfe_u32 s7, ttmp6, 0x40014
	s_bfe_u32 s33, ttmp6, 0x40010
	s_lshr_b32 s3, ttmp7, 16
	s_add_co_i32 s7, s7, 1
	s_and_b32 s21, ttmp7, 0xffff
	s_add_co_i32 s33, s33, 1
	s_bfe_u32 s10, ttmp6, 0x40008
	s_mul_i32 s7, s3, s7
	s_bfe_u32 s34, ttmp6, 0x40004
	s_mul_i32 s33, s21, s33
	s_mov_b32 s11, s23
	s_add_co_i32 s35, s10, s7
	s_add_co_i32 s34, s34, s33
	s_cmp_eq_u32 s15, 0
	s_cselect_b32 s7, s21, s34
	s_cselect_b32 s3, s3, s35
	s_wait_kmcnt 0x0
	s_mov_b32 s10, s24
	s_delay_alu instid0(SALU_CYCLE_1) | instskip(NEXT) | instid1(SALU_CYCLE_1)
	s_mul_u64 s[8:9], s[8:9], s[10:11]
	s_add_co_i32 s8, s9, s20
	s_delay_alu instid0(SALU_CYCLE_1) | instskip(SKIP_2) | instid1(SALU_CYCLE_1)
	s_lshr_b32 s15, s8, s25
	s_load_b32 s8, s[0:1], 0x40
	s_mul_i32 s9, s15, s26
	s_sub_co_i32 s9, s20, s9
	s_delay_alu instid0(SALU_CYCLE_1) | instskip(NEXT) | instid1(SALU_CYCLE_1)
	s_mul_hi_u32 s10, s9, s27
	s_add_co_i32 s10, s9, s10
	s_delay_alu instid0(SALU_CYCLE_1) | instskip(NEXT) | instid1(SALU_CYCLE_1)
	s_lshr_b32 s21, s10, s28
	s_mul_i32 s10, s21, s29
	s_delay_alu instid0(SALU_CYCLE_1) | instskip(NEXT) | instid1(SALU_CYCLE_1)
	s_sub_co_i32 s10, s9, s10
	s_mul_hi_u32 s9, s10, s30
	s_delay_alu instid0(SALU_CYCLE_1) | instskip(NEXT) | instid1(SALU_CYCLE_1)
	s_add_co_i32 s9, s10, s9
	s_lshr_b32 s25, s9, s31
	s_mov_b32 s9, s23
	s_wait_kmcnt 0x0
	s_mul_i32 s8, s25, s8
	s_lshl_b32 s25, s25, 2
	s_sub_co_i32 s8, s10, s8
	s_delay_alu instid0(SALU_CYCLE_1) | instskip(NEXT) | instid1(SALU_CYCLE_1)
	s_mul_u64 s[10:11], s[8:9], s[22:23]
	s_add_co_i32 s8, s8, s11
	s_delay_alu instid0(SALU_CYCLE_1) | instskip(NEXT) | instid1(SALU_CYCLE_1)
	s_lshr_b32 s24, s8, s13
	s_lshl_b32 s8, s24, 1
	s_delay_alu instid0(SALU_CYCLE_1) | instskip(NEXT) | instid1(SALU_CYCLE_1)
	s_add_co_i32 s8, s8, s7
	s_cmp_lt_i32 s8, s4
	s_cselect_b32 s8, -1, 0
	s_add_co_i32 s25, s25, s3
	s_delay_alu instid0(SALU_CYCLE_1) | instskip(SKIP_1) | instid1(SALU_CYCLE_1)
	s_cmp_lt_i32 s25, s6
	s_cselect_b32 s9, -1, 0
	s_and_b32 s8, s8, s9
	s_delay_alu instid0(SALU_CYCLE_1)
	s_and_not1_b32 vcc_lo, exec_lo, s8
	s_cbranch_vccnz .LBB29_24
; %bb.8:
	s_load_b128 s[8:11], s[0:1], 0x0
	s_wait_xcnt 0x0
	s_mul_i32 s0, s15, s4
	s_mul_i32 s21, s21, s6
	s_add_co_i32 s0, s0, s7
	s_add_co_i32 s1, s25, s21
	s_mul_i32 s0, s0, s5
	s_mul_i32 s4, s5, s24
	s_add_co_i32 s0, s1, s0
	s_mulk_i32 s4, 0xc0
	s_mulk_i32 s0, 0x60
	s_lshl_b32 s15, s7, 2
	v_add3_u32 v2, s4, s0, v0
	s_add_nc_u64 s[0:1], s[16:17], 0
	s_add_co_i32 s15, s15, s3
	s_xor_b64 s[6:7], s[0:1], 0
	s_lshl_b32 s0, s2, 3
	s_cvt_f32_u32 s3, s6
	s_cvt_f32_u32 s4, s7
	s_add_co_i32 s0, s15, s0
	v_cvt_f32_u32_e32 v4, s16
	s_wait_kmcnt 0x0
	global_load_b32 v1, v2, s[8:9] scale_offset
	s_fmamk_f32 s3, s4, 0x4f800000, s3
	s_ashr_i32 s1, s0, 31
	s_lshl_b32 s24, s16, 5
	s_lshl_b64 s[0:1], s[0:1], 3
	v_s_rcp_f32 s3, s3
	s_add_nc_u64 s[0:1], s[10:11], s[0:1]
	v_rcp_iflag_f32_e32 v4, v4
	s_load_b64 s[28:29], s[0:1], 0x0
	s_mov_b32 s25, 0
	v_mad_u32 v6, 0x60, s15, v0
	v_ashrrev_i32_e32 v3, 31, v2
	s_wait_xcnt 0x0
	s_lshl_b64 s[0:1], s[24:25], 2
	s_mul_f32 s3, s3, 0x5f7ffffc
	v_mul_f32_e32 v4, 0x4f7ffffe, v4
	s_add_nc_u64 s[26:27], s[10:11], s[0:1]
	v_lshl_add_u64 v[2:3], v[2:3], 2, s[8:9]
	s_mul_f32 s4, s3, 0x2f800000
	s_mov_b64 s[8:9], 0xffffffff
	v_cvt_u32_f32_e32 v7, v4
	s_add_co_i32 s36, s2, -1
	s_trunc_f32 s4, s4
	s_sub_nc_u64 s[34:35], 0, s[6:7]
	s_delay_alu instid0(SALU_CYCLE_2)
	s_fmamk_f32 s0, s4, 0xcf800000, s3
	s_cvt_u32_f32 s31, s4
	s_wait_kmcnt 0x0
	v_mov_b32_e32 v0, s29
	s_cvt_u32_f32 s30, s0
.LBB29_9:                               ; =>This Inner Loop Header: Depth=1
	s_ashr_i32 s37, s36, 31
                                        ; implicit-def: $sgpr40_sgpr41
	s_delay_alu instid0(SALU_CYCLE_1) | instskip(NEXT) | instid1(SALU_CYCLE_1)
	s_mul_u64 s[0:1], s[36:37], s[18:19]
	s_and_b64 s[2:3], s[0:1], 0xffffffff00000000
	s_delay_alu instid0(SALU_CYCLE_1)
	s_cmp_lg_u64 s[2:3], 0
	s_mov_b32 s2, -1
	s_cbranch_scc0 .LBB29_11
; %bb.10:                               ;   in Loop: Header=BB29_9 Depth=1
	s_mul_u64 s[2:3], s[34:35], s[30:31]
	s_delay_alu instid0(SALU_CYCLE_1)
	s_mul_hi_u32 s5, s30, s3
	s_mul_i32 s4, s30, s3
	s_mul_hi_u32 s24, s30, s2
	s_mul_hi_u32 s17, s31, s2
	s_add_nc_u64 s[4:5], s[24:25], s[4:5]
	s_mul_i32 s2, s31, s2
	s_mul_hi_u32 s21, s31, s3
	s_add_co_u32 s2, s4, s2
	s_add_co_ci_u32 s24, s5, s17
	s_add_co_ci_u32 s5, s21, 0
	s_mul_i32 s4, s31, s3
	s_delay_alu instid0(SALU_CYCLE_1) | instskip(NEXT) | instid1(SALU_CYCLE_1)
	s_add_nc_u64 s[2:3], s[24:25], s[4:5]
	s_add_co_u32 s2, s30, s2
	s_cselect_b32 s4, -1, 0
	s_delay_alu instid0(SALU_CYCLE_1) | instskip(SKIP_1) | instid1(SALU_CYCLE_1)
	s_cmp_lg_u32 s4, 0
	s_add_co_ci_u32 s3, s31, s3
	s_mul_u64 s[4:5], s[34:35], s[2:3]
	s_delay_alu instid0(SALU_CYCLE_1)
	s_mul_hi_u32 s39, s2, s5
	s_mul_i32 s38, s2, s5
	s_mul_hi_u32 s24, s2, s4
	s_mul_hi_u32 s17, s3, s4
	s_mul_i32 s4, s3, s4
	s_add_nc_u64 s[38:39], s[24:25], s[38:39]
	s_mul_hi_u32 s21, s3, s5
	s_add_co_u32 s4, s38, s4
	s_add_co_ci_u32 s24, s39, s17
	s_mul_i32 s4, s3, s5
	s_add_co_ci_u32 s5, s21, 0
	s_delay_alu instid0(SALU_CYCLE_1) | instskip(NEXT) | instid1(SALU_CYCLE_1)
	s_add_nc_u64 s[4:5], s[24:25], s[4:5]
	s_add_co_u32 s17, s2, s4
	s_cselect_b32 s2, -1, 0
	s_delay_alu instid0(SALU_CYCLE_1) | instskip(SKIP_2) | instid1(SALU_CYCLE_1)
	s_cmp_lg_u32 s2, 0
	s_add_co_ci_u32 s21, s3, s5
	s_ashr_i32 s2, s1, 31
	s_mov_b32 s3, s2
	s_delay_alu instid0(SALU_CYCLE_1) | instskip(NEXT) | instid1(SALU_CYCLE_1)
	s_add_nc_u64 s[4:5], s[0:1], s[2:3]
	s_xor_b64 s[4:5], s[4:5], s[2:3]
	s_delay_alu instid0(SALU_CYCLE_1)
	s_mul_hi_u32 s39, s4, s21
	s_mul_i32 s38, s4, s21
	s_mul_hi_u32 s24, s4, s17
	s_mul_hi_u32 s29, s5, s17
	s_mul_i32 s17, s5, s17
	s_add_nc_u64 s[38:39], s[24:25], s[38:39]
	s_mul_hi_u32 s1, s5, s21
	s_add_co_u32 s17, s38, s17
	s_add_co_ci_u32 s24, s39, s29
	s_mul_i32 s40, s5, s21
	s_add_co_ci_u32 s41, s1, 0
	s_delay_alu instid0(SALU_CYCLE_1) | instskip(NEXT) | instid1(SALU_CYCLE_1)
	s_add_nc_u64 s[38:39], s[24:25], s[40:41]
	s_and_b64 s[40:41], s[38:39], 0xffffffff00000000
	s_delay_alu instid0(SALU_CYCLE_1) | instskip(NEXT) | instid1(SALU_CYCLE_1)
	s_or_b32 s40, s40, s38
	s_mul_u64 s[38:39], s[6:7], s[40:41]
	s_add_nc_u64 s[42:43], s[40:41], 1
	s_sub_co_u32 s1, s4, s38
	s_cselect_b32 s4, -1, 0
	s_sub_co_i32 s17, s5, s39
	s_cmp_lg_u32 s4, 0
	s_add_nc_u64 s[44:45], s[40:41], 2
	s_sub_co_ci_u32 s17, s17, s7
	s_sub_co_u32 s21, s1, s6
	s_cselect_b32 s24, -1, 0
	s_delay_alu instid0(SALU_CYCLE_1) | instskip(SKIP_1) | instid1(SALU_CYCLE_1)
	s_cmp_lg_u32 s24, 0
	s_sub_co_ci_u32 s17, s17, 0
	s_cmp_ge_u32 s17, s7
	s_cselect_b32 s24, -1, 0
	s_cmp_ge_u32 s21, s6
	s_cselect_b32 s21, -1, 0
	s_cmp_eq_u32 s17, s7
	s_cselect_b32 s17, s21, s24
	s_delay_alu instid0(SALU_CYCLE_1) | instskip(SKIP_4) | instid1(SALU_CYCLE_1)
	s_cmp_lg_u32 s17, 0
	s_cselect_b32 s17, s44, s42
	s_cselect_b32 s21, s45, s43
	s_cmp_lg_u32 s4, 0
	s_sub_co_ci_u32 s4, s5, s39
	s_cmp_ge_u32 s4, s7
	s_cselect_b32 s5, -1, 0
	s_cmp_ge_u32 s1, s6
	s_cselect_b32 s1, -1, 0
	s_cmp_eq_u32 s4, s7
	s_cselect_b32 s1, s1, s5
	s_delay_alu instid0(SALU_CYCLE_1) | instskip(SKIP_3) | instid1(SALU_CYCLE_1)
	s_cmp_lg_u32 s1, 0
	s_cselect_b32 s5, s21, s41
	s_cselect_b32 s4, s17, s40
	s_xor_b64 s[2:3], s[2:3], 0
	s_xor_b64 s[4:5], s[4:5], s[2:3]
	s_delay_alu instid0(SALU_CYCLE_1)
	s_sub_nc_u64 s[40:41], s[4:5], s[2:3]
	s_mov_b32 s2, 0
.LBB29_11:                              ;   in Loop: Header=BB29_9 Depth=1
	s_delay_alu instid0(SALU_CYCLE_1)
	s_and_not1_b32 vcc_lo, exec_lo, s2
	s_cbranch_vccnz .LBB29_13
; %bb.12:                               ;   in Loop: Header=BB29_9 Depth=1
	v_readfirstlane_b32 s1, v7
	s_sub_co_i32 s2, 0, s16
	s_delay_alu instid0(SALU_CYCLE_1) | instskip(NEXT) | instid1(SALU_CYCLE_1)
	s_mul_i32 s2, s2, s1
	s_mul_hi_u32 s2, s1, s2
	s_delay_alu instid0(SALU_CYCLE_1) | instskip(NEXT) | instid1(SALU_CYCLE_1)
	s_add_co_i32 s1, s1, s2
	s_mul_hi_u32 s1, s0, s1
	s_delay_alu instid0(SALU_CYCLE_1) | instskip(NEXT) | instid1(SALU_CYCLE_1)
	s_mul_i32 s2, s1, s16
	s_sub_co_i32 s0, s0, s2
	s_add_co_i32 s2, s1, 1
	s_sub_co_i32 s3, s0, s16
	s_cmp_ge_u32 s0, s16
	s_cselect_b32 s1, s2, s1
	s_cselect_b32 s0, s3, s0
	s_add_co_i32 s2, s1, 1
	s_cmp_ge_u32 s0, s16
	s_cselect_b32 s24, s2, s1
	s_delay_alu instid0(SALU_CYCLE_1)
	s_mov_b64 s[40:41], s[24:25]
.LBB29_13:                              ;   in Loop: Header=BB29_9 Depth=1
	s_delay_alu instid0(SALU_CYCLE_1)
	s_cmp_lg_u32 s20, s40
	s_mov_b32 s0, -1
                                        ; implicit-def: $vgpr4_vgpr5
                                        ; implicit-def: $sgpr24
                                        ; implicit-def: $sgpr17
                                        ; implicit-def: $sgpr21
                                        ; implicit-def: $sgpr29
	s_cbranch_scc0 .LBB29_18
; %bb.14:                               ;   in Loop: Header=BB29_9 Depth=1
	s_add_co_i32 s0, s36, s16
	v_max_num_f32_e64 v4, s28, s28
	s_lshl_b32 s0, s0, 3
	s_mov_b32 s29, s20
	s_add_co_i32 s0, s0, s15
	s_load_b64 s[38:39], s[10:11], s0 offset:0x0 scale_offset
	s_wait_xcnt 0x0
	v_readfirstlane_b32 s0, v4
	s_wait_kmcnt 0x0
	v_max_num_f32_e64 v5, s38, s38
	s_delay_alu instid0(VALU_DEP_1) | instskip(SKIP_1) | instid1(SALU_CYCLE_3)
	v_readfirstlane_b32 s1, v5
	s_max_num_f32 s17, s0, s1
	s_sub_f32 s33, s28, s17
	s_sub_f32 s37, s38, s17
	s_delay_alu instid0(SALU_CYCLE_2)
	s_cmp_nlt_f32 s33, 0xc2ce8ed0
	s_cselect_b32 s1, -1, 0
	s_cmp_ngt_f32 s33, 0x42b17218
	s_cselect_b32 s2, -1, 0
	s_cmp_ge_f32 s33, 0xc1a00000
	s_cselect_b32 s0, -1, 0
	s_cmp_nlt_f32 s37, 0xc2ce8ed0
	s_cselect_b32 s3, -1, 0
	s_cmp_ngt_f32 s37, 0x42b17218
	s_cselect_b32 s4, -1, 0
	s_cmp_ge_f32 s37, 0xc1a00000
	s_cselect_b32 s5, -1, 0
	s_and_b64 s[42:43], s[40:41], s[8:9]
	s_delay_alu instid0(SALU_CYCLE_1) | instskip(NEXT) | instid1(SALU_CYCLE_1)
	s_mul_u64 s[42:43], s[42:43], s[22:23]
	s_add_co_i32 s21, s43, s40
	s_delay_alu instid0(SALU_CYCLE_1) | instskip(NEXT) | instid1(SALU_CYCLE_1)
	s_lshr_b32 s21, s21, s13
	s_mul_i32 s24, s21, s14
	s_delay_alu instid0(SALU_CYCLE_1) | instskip(SKIP_3) | instid1(SALU_CYCLE_1)
	s_cmp_eq_u32 s24, s40
	s_cselect_b32 s24, -1, 0
	s_cmp_lt_u32 s21, s12
	s_cselect_b32 s21, -1, 0
	s_or_b32 s21, s21, s24
	s_mov_b32 s24, -1
	s_and_b32 vcc_lo, exec_lo, s21
	s_mov_b32 s21, s36
	s_cbranch_vccnz .LBB29_16
; %bb.15:                               ;   in Loop: Header=BB29_9 Depth=1
	s_add_co_i32 s21, s36, -1
	s_mov_b32 s24, 0
	s_mov_b32 s29, s40
.LBB29_16:                              ;   in Loop: Header=BB29_9 Depth=1
	v_mad_u32 v4, 0x300, s36, v6
	s_mul_f32 s40, s33, 0x3fb8aa3b
	s_mul_f32 s38, s37, 0x3fb8aa3b
	s_delay_alu instid0(SALU_CYCLE_2)
	s_xor_b32 s42, s40, 0x80000000
	s_rndne_f32 s44, s40
	s_fmamk_f32 s42, s33, 0x3fb8aa3b, s42
	s_xor_b32 s41, s38, 0x80000000
	s_rndne_f32 s43, s38
	s_sub_f32 s40, s40, s44
	global_load_b32 v5, v4, s[26:27] scale_offset
	s_fmamk_f32 s33, s33, 0x32a5705f, s42
	s_fmamk_f32 s41, s37, 0x3fb8aa3b, s41
	s_sub_f32 s38, s38, s43
	s_delay_alu instid0(SALU_CYCLE_1) | instskip(NEXT) | instid1(SALU_CYCLE_1)
	s_add_f32 s33, s40, s33
	s_fmamk_f32 s37, s37, 0x32a5705f, s41
	s_cvt_i32_f32 s40, s44
	s_delay_alu instid0(SALU_CYCLE_1) | instskip(NEXT) | instid1(SALU_CYCLE_1)
	v_s_exp_f32 s33, s33
	s_add_f32 s37, s38, s37
	s_cvt_i32_f32 s38, s43
	s_delay_alu instid0(SALU_CYCLE_2) | instskip(NEXT) | instid1(TRANS32_DEP_2)
	v_s_exp_f32 s37, s37
	v_ldexp_f32 v8, s33, s40
	s_wait_xcnt 0x0
	s_delay_alu instid0(TRANS32_DEP_1) | instskip(NEXT) | instid1(VALU_DEP_2)
	v_ldexp_f32 v4, s37, s38
	v_cndmask_b32_e64 v8, 0, v8, s1
	s_delay_alu instid0(VALU_DEP_1) | instskip(NEXT) | instid1(VALU_DEP_1)
	v_cndmask_b32_e64 v9, 0x7f800000, v8, s2
	v_dual_cndmask_b32 v4, 0, v4, s3 :: v_dual_cndmask_b32 v10, 0, v9, s0
	s_delay_alu instid0(VALU_DEP_1) | instskip(NEXT) | instid1(VALU_DEP_1)
	v_cndmask_b32_e64 v4, 0x7f800000, v4, s4
	v_dual_cndmask_b32 v8, 0, v4, s5 :: v_dual_mov_b32 v4, s39
	s_wait_loadcnt 0x0
	s_delay_alu instid0(VALU_DEP_1) | instskip(NEXT) | instid1(VALU_DEP_1)
	v_pk_mul_f32 v[4:5], v[4:5], v[8:9] op_sel_hi:[1,0]
	v_pk_fma_f32 v[4:5], v[0:1], v[10:11], v[4:5] op_sel_hi:[1,0,1]
	s_cbranch_execz .LBB29_19
.LBB29_17:                              ;   in Loop: Header=BB29_9 Depth=1
	s_and_not1_b32 vcc_lo, exec_lo, s24
	s_cbranch_vccnz .LBB29_20
	s_branch .LBB29_23
.LBB29_18:                              ;   in Loop: Header=BB29_9 Depth=1
	s_and_not1_b32 vcc_lo, exec_lo, s0
	s_cbranch_vccnz .LBB29_17
.LBB29_19:                              ;   in Loop: Header=BB29_9 Depth=1
	s_wait_loadcnt 0x0
	v_mov_b64_e32 v[4:5], v[0:1]
	s_add_co_i32 s21, s36, -1
	s_mov_b32 s29, s20
	s_mov_b32 s17, s28
	s_cbranch_execz .LBB29_23
.LBB29_20:                              ;   in Loop: Header=BB29_9 Depth=1
	s_wait_loadcnt 0x0
	s_delay_alu instid0(VALU_DEP_1)
	v_mov_b64_e32 v[0:1], v[4:5]
	s_mov_b32 s20, s29
	s_mov_b32 s36, s21
	s_mov_b32 s28, s17
	s_branch .LBB29_9
.LBB29_21:
                                        ; implicit-def: $sgpr20_sgpr21
	s_branch .LBB29_2
.LBB29_22:
                                        ; implicit-def: $sgpr24_sgpr25
	s_load_b96 s[12:14], s[0:1], 0x44
	s_branch .LBB29_5
.LBB29_23:
	s_delay_alu instid0(VALU_DEP_1) | instskip(SKIP_1) | instid1(VALU_DEP_1)
	v_div_scale_f32 v0, null, v4, v4, v5
	s_wait_loadcnt 0x0
	v_rcp_f32_e32 v1, v0
	v_nop
	s_delay_alu instid0(TRANS32_DEP_1) | instskip(NEXT) | instid1(VALU_DEP_1)
	v_fma_f32 v6, -v0, v1, 1.0
	v_fmac_f32_e32 v1, v6, v1
	v_div_scale_f32 v6, vcc_lo, v5, v4, v5
	s_delay_alu instid0(VALU_DEP_1) | instskip(NEXT) | instid1(VALU_DEP_1)
	v_mul_f32_e32 v7, v6, v1
	v_fma_f32 v8, -v0, v7, v6
	s_delay_alu instid0(VALU_DEP_1) | instskip(NEXT) | instid1(VALU_DEP_1)
	v_fmac_f32_e32 v7, v8, v1
	v_fma_f32 v0, -v0, v7, v6
	s_delay_alu instid0(VALU_DEP_1) | instskip(NEXT) | instid1(VALU_DEP_1)
	v_div_fmas_f32 v0, v0, v1, v7
	v_div_fixup_f32 v0, v0, v4, v5
	global_store_b32 v[2:3], v0, off
.LBB29_24:
	s_endpgm
	.section	.rodata,"a",@progbits
	.p2align	6, 0x0
	.amdhsa_kernel _ZL33flash_attn_stream_k_fixup_generalILi96ELi2ELi4EEvPfPK15HIP_vector_typeIfLj2EEiiiiS1_IjLj3EES5_S5_S5_
		.amdhsa_group_segment_fixed_size 0
		.amdhsa_private_segment_fixed_size 0
		.amdhsa_kernarg_size 336
		.amdhsa_user_sgpr_count 2
		.amdhsa_user_sgpr_dispatch_ptr 0
		.amdhsa_user_sgpr_queue_ptr 0
		.amdhsa_user_sgpr_kernarg_segment_ptr 1
		.amdhsa_user_sgpr_dispatch_id 0
		.amdhsa_user_sgpr_kernarg_preload_length 0
		.amdhsa_user_sgpr_kernarg_preload_offset 0
		.amdhsa_user_sgpr_private_segment_size 0
		.amdhsa_wavefront_size32 1
		.amdhsa_uses_dynamic_stack 0
		.amdhsa_enable_private_segment 0
		.amdhsa_system_sgpr_workgroup_id_x 1
		.amdhsa_system_sgpr_workgroup_id_y 1
		.amdhsa_system_sgpr_workgroup_id_z 1
		.amdhsa_system_sgpr_workgroup_info 0
		.amdhsa_system_vgpr_workitem_id 0
		.amdhsa_next_free_vgpr 12
		.amdhsa_next_free_sgpr 46
		.amdhsa_named_barrier_count 0
		.amdhsa_reserve_vcc 1
		.amdhsa_float_round_mode_32 0
		.amdhsa_float_round_mode_16_64 0
		.amdhsa_float_denorm_mode_32 3
		.amdhsa_float_denorm_mode_16_64 3
		.amdhsa_fp16_overflow 0
		.amdhsa_memory_ordered 1
		.amdhsa_forward_progress 1
		.amdhsa_inst_pref_size 27
		.amdhsa_round_robin_scheduling 0
		.amdhsa_exception_fp_ieee_invalid_op 0
		.amdhsa_exception_fp_denorm_src 0
		.amdhsa_exception_fp_ieee_div_zero 0
		.amdhsa_exception_fp_ieee_overflow 0
		.amdhsa_exception_fp_ieee_underflow 0
		.amdhsa_exception_fp_ieee_inexact 0
		.amdhsa_exception_int_div_zero 0
	.end_amdhsa_kernel
	.section	.text._ZL33flash_attn_stream_k_fixup_generalILi96ELi2ELi4EEvPfPK15HIP_vector_typeIfLj2EEiiiiS1_IjLj3EES5_S5_S5_,"axG",@progbits,_ZL33flash_attn_stream_k_fixup_generalILi96ELi2ELi4EEvPfPK15HIP_vector_typeIfLj2EEiiiiS1_IjLj3EES5_S5_S5_,comdat
.Lfunc_end29:
	.size	_ZL33flash_attn_stream_k_fixup_generalILi96ELi2ELi4EEvPfPK15HIP_vector_typeIfLj2EEiiiiS1_IjLj3EES5_S5_S5_, .Lfunc_end29-_ZL33flash_attn_stream_k_fixup_generalILi96ELi2ELi4EEvPfPK15HIP_vector_typeIfLj2EEiiiiS1_IjLj3EES5_S5_S5_
                                        ; -- End function
	.set _ZL33flash_attn_stream_k_fixup_generalILi96ELi2ELi4EEvPfPK15HIP_vector_typeIfLj2EEiiiiS1_IjLj3EES5_S5_S5_.num_vgpr, 12
	.set _ZL33flash_attn_stream_k_fixup_generalILi96ELi2ELi4EEvPfPK15HIP_vector_typeIfLj2EEiiiiS1_IjLj3EES5_S5_S5_.num_agpr, 0
	.set _ZL33flash_attn_stream_k_fixup_generalILi96ELi2ELi4EEvPfPK15HIP_vector_typeIfLj2EEiiiiS1_IjLj3EES5_S5_S5_.numbered_sgpr, 46
	.set _ZL33flash_attn_stream_k_fixup_generalILi96ELi2ELi4EEvPfPK15HIP_vector_typeIfLj2EEiiiiS1_IjLj3EES5_S5_S5_.num_named_barrier, 0
	.set _ZL33flash_attn_stream_k_fixup_generalILi96ELi2ELi4EEvPfPK15HIP_vector_typeIfLj2EEiiiiS1_IjLj3EES5_S5_S5_.private_seg_size, 0
	.set _ZL33flash_attn_stream_k_fixup_generalILi96ELi2ELi4EEvPfPK15HIP_vector_typeIfLj2EEiiiiS1_IjLj3EES5_S5_S5_.uses_vcc, 1
	.set _ZL33flash_attn_stream_k_fixup_generalILi96ELi2ELi4EEvPfPK15HIP_vector_typeIfLj2EEiiiiS1_IjLj3EES5_S5_S5_.uses_flat_scratch, 0
	.set _ZL33flash_attn_stream_k_fixup_generalILi96ELi2ELi4EEvPfPK15HIP_vector_typeIfLj2EEiiiiS1_IjLj3EES5_S5_S5_.has_dyn_sized_stack, 0
	.set _ZL33flash_attn_stream_k_fixup_generalILi96ELi2ELi4EEvPfPK15HIP_vector_typeIfLj2EEiiiiS1_IjLj3EES5_S5_S5_.has_recursion, 0
	.set _ZL33flash_attn_stream_k_fixup_generalILi96ELi2ELi4EEvPfPK15HIP_vector_typeIfLj2EEiiiiS1_IjLj3EES5_S5_S5_.has_indirect_call, 0
	.section	.AMDGPU.csdata,"",@progbits
; Kernel info:
; codeLenInByte = 3352
; TotalNumSgprs: 48
; NumVgprs: 12
; ScratchSize: 0
; MemoryBound: 0
; FloatMode: 240
; IeeeMode: 1
; LDSByteSize: 0 bytes/workgroup (compile time only)
; SGPRBlocks: 0
; VGPRBlocks: 0
; NumSGPRsForWavesPerEU: 48
; NumVGPRsForWavesPerEU: 12
; NamedBarCnt: 0
; Occupancy: 16
; WaveLimiterHint : 0
; COMPUTE_PGM_RSRC2:SCRATCH_EN: 0
; COMPUTE_PGM_RSRC2:USER_SGPR: 2
; COMPUTE_PGM_RSRC2:TRAP_HANDLER: 0
; COMPUTE_PGM_RSRC2:TGID_X_EN: 1
; COMPUTE_PGM_RSRC2:TGID_Y_EN: 1
; COMPUTE_PGM_RSRC2:TGID_Z_EN: 1
; COMPUTE_PGM_RSRC2:TIDIG_COMP_CNT: 0
	.section	.text._ZL15flash_attn_tileILi96ELi96ELi1ELi4ELb0EEvPKcS1_S1_S1_S1_PKiPfP15HIP_vector_typeIfLj2EEffffjfiS5_IjLj3EEiiiiiiiiiiiliiliiiiil,"axG",@progbits,_ZL15flash_attn_tileILi96ELi96ELi1ELi4ELb0EEvPKcS1_S1_S1_S1_PKiPfP15HIP_vector_typeIfLj2EEffffjfiS5_IjLj3EEiiiiiiiiiiiliiliiiiil,comdat
	.globl	_ZL15flash_attn_tileILi96ELi96ELi1ELi4ELb0EEvPKcS1_S1_S1_S1_PKiPfP15HIP_vector_typeIfLj2EEffffjfiS5_IjLj3EEiiiiiiiiiiiliiliiiiil ; -- Begin function _ZL15flash_attn_tileILi96ELi96ELi1ELi4ELb0EEvPKcS1_S1_S1_S1_PKiPfP15HIP_vector_typeIfLj2EEffffjfiS5_IjLj3EEiiiiiiiiiiiliiliiiiil
	.p2align	8
	.type	_ZL15flash_attn_tileILi96ELi96ELi1ELi4ELb0EEvPKcS1_S1_S1_S1_PKiPfP15HIP_vector_typeIfLj2EEffffjfiS5_IjLj3EEiiiiiiiiiiiliiliiiiil,@function
_ZL15flash_attn_tileILi96ELi96ELi1ELi4ELb0EEvPKcS1_S1_S1_S1_PKiPfP15HIP_vector_typeIfLj2EEffffjfiS5_IjLj3EEiiiiiiiiiiiliiliiiiil: ; @_ZL15flash_attn_tileILi96ELi96ELi1ELi4ELb0EEvPKcS1_S1_S1_S1_PKiPfP15HIP_vector_typeIfLj2EEffffjfiS5_IjLj3EEiiiiiiiiiiiliiliiiiil
; %bb.0:
	s_clause 0x1
	s_load_b128 s[20:23], s[0:1], 0x5c
	s_load_b64 s[30:31], s[0:1], 0x80
	s_bfe_u32 s5, ttmp6, 0x40014
	s_lshr_b32 s4, ttmp7, 16
	s_add_co_i32 s5, s5, 1
	s_bfe_u32 s6, ttmp6, 0x40008
	s_mul_i32 s5, s4, s5
	s_getreg_b32 s24, hwreg(HW_REG_IB_STS2, 6, 4)
	s_add_co_i32 s6, s6, s5
	s_mov_b32 s37, 0
	s_mov_b64 s[34:35], 0
	s_wait_kmcnt 0x0
	s_ashr_i32 s2, s23, 31
	s_delay_alu instid0(SALU_CYCLE_1) | instskip(NEXT) | instid1(SALU_CYCLE_1)
	s_lshr_b32 s2, s2, 30
	s_add_co_i32 s2, s23, s2
	s_delay_alu instid0(SALU_CYCLE_1) | instskip(NEXT) | instid1(SALU_CYCLE_1)
	s_ashr_i32 s2, s2, 2
	s_cvt_f32_u32 s3, s2
	s_sub_co_i32 s7, 0, s2
	s_delay_alu instid0(SALU_CYCLE_2) | instskip(SKIP_1) | instid1(TRANS32_DEP_1)
	v_rcp_iflag_f32_e32 v1, s3
	v_nop
	v_readfirstlane_b32 s3, v1
	s_mul_f32 s3, s3, 0x4f7ffffe
	s_delay_alu instid0(SALU_CYCLE_3) | instskip(NEXT) | instid1(SALU_CYCLE_3)
	s_cvt_u32_f32 s3, s3
	s_mul_i32 s7, s7, s3
	s_delay_alu instid0(SALU_CYCLE_1) | instskip(NEXT) | instid1(SALU_CYCLE_1)
	s_mul_hi_u32 s7, s3, s7
	s_add_co_i32 s3, s3, s7
	s_cmp_eq_u32 s24, 0
	s_cselect_b32 s4, s4, s6
	s_delay_alu instid0(SALU_CYCLE_1) | instskip(NEXT) | instid1(SALU_CYCLE_1)
	s_mul_hi_u32 s3, s4, s3
	s_mul_i32 s5, s3, s2
	s_add_co_i32 s6, s3, 1
	s_sub_co_i32 s5, s4, s5
	s_delay_alu instid0(SALU_CYCLE_1)
	s_sub_co_i32 s7, s5, s2
	s_cmp_ge_u32 s5, s2
	s_cselect_b32 s3, s6, s3
	s_cselect_b32 s5, s7, s5
	s_add_co_i32 s6, s3, 1
	s_cmp_ge_u32 s5, s2
	s_cselect_b32 s28, s6, s3
	s_abs_i32 s2, s31
	s_abs_i32 s6, s23
	s_cvt_f32_u32 s3, s2
	s_sub_co_i32 s5, 0, s2
	s_lshl_b32 s25, s4, 2
	s_xor_b32 s4, s23, s31
	v_rcp_iflag_f32_e32 v1, s3
	s_ashr_i32 s26, s4, 31
	v_nop
	s_delay_alu instid0(TRANS32_DEP_1) | instskip(SKIP_1) | instid1(SALU_CYCLE_3)
	v_readfirstlane_b32 s3, v1
	s_mul_f32 s3, s3, 0x4f7ffffe
	s_cvt_u32_f32 s3, s3
	s_delay_alu instid0(SALU_CYCLE_3) | instskip(NEXT) | instid1(SALU_CYCLE_1)
	s_mul_i32 s5, s5, s3
	s_mul_hi_u32 s5, s3, s5
	s_delay_alu instid0(SALU_CYCLE_1) | instskip(NEXT) | instid1(SALU_CYCLE_1)
	s_add_co_i32 s3, s3, s5
	s_mul_hi_u32 s3, s6, s3
	s_delay_alu instid0(SALU_CYCLE_1) | instskip(NEXT) | instid1(SALU_CYCLE_1)
	s_mul_i32 s5, s3, s2
	s_sub_co_i32 s4, s6, s5
	s_add_co_i32 s5, s3, 1
	s_sub_co_i32 s6, s4, s2
	s_cmp_ge_u32 s4, s2
	s_cselect_b32 s3, s5, s3
	s_cselect_b32 s4, s6, s4
	s_add_co_i32 s5, s3, 1
	s_cmp_ge_u32 s4, s2
	s_cselect_b32 s2, s5, s3
	s_load_b512 s[4:19], s[0:1], 0x0
	s_xor_b32 s27, s2, s26
	s_load_b64 s[2:3], s[0:1], 0xb8
	s_sub_co_i32 s29, s27, s26
	s_delay_alu instid0(SALU_CYCLE_1) | instskip(NEXT) | instid1(SALU_CYCLE_1)
	s_abs_i32 s39, s29
	s_cvt_f32_u32 s26, s39
	s_delay_alu instid0(SALU_CYCLE_3) | instskip(SKIP_2) | instid1(TRANS32_DEP_1)
	v_rcp_iflag_f32_e32 v1, s26
	s_mul_i32 s26, s28, s23
	v_nop
	v_readfirstlane_b32 s36, v1
	s_wait_kmcnt 0x0
	s_cmp_eq_u64 s[10:11], 0
	s_cbranch_scc1 .LBB30_2
; %bb.1:
	s_abs_i32 s2, s2
	s_abs_i32 s33, s28
	s_cvt_f32_u32 s27, s2
	s_sub_co_i32 s31, 0, s2
	s_load_b64 s[34:35], s[0:1], 0xc8
	s_delay_alu instid0(SALU_CYCLE_1) | instskip(SKIP_1) | instid1(TRANS32_DEP_1)
	v_rcp_iflag_f32_e32 v1, s27
	v_nop
	v_readfirstlane_b32 s27, v1
	s_mul_f32 s27, s27, 0x4f7ffffe
	s_delay_alu instid0(SALU_CYCLE_3) | instskip(NEXT) | instid1(SALU_CYCLE_3)
	s_cvt_u32_f32 s27, s27
	s_mul_i32 s31, s31, s27
	s_delay_alu instid0(SALU_CYCLE_1) | instskip(NEXT) | instid1(SALU_CYCLE_1)
	s_mul_hi_u32 s31, s27, s31
	s_add_co_i32 s27, s27, s31
	s_ashr_i32 s31, s28, 31
	s_mul_hi_u32 s27, s33, s27
	s_delay_alu instid0(SALU_CYCLE_1) | instskip(NEXT) | instid1(SALU_CYCLE_1)
	s_mul_i32 s27, s27, s2
	s_sub_co_i32 s27, s33, s27
	s_delay_alu instid0(SALU_CYCLE_1) | instskip(SKIP_2) | instid1(SALU_CYCLE_1)
	s_sub_co_i32 s33, s27, s2
	s_cmp_ge_u32 s27, s2
	s_cselect_b32 s27, s33, s27
	s_sub_co_i32 s33, s27, s2
	s_cmp_ge_u32 s27, s2
	s_cselect_b32 s2, s33, s27
	s_delay_alu instid0(SALU_CYCLE_1) | instskip(NEXT) | instid1(SALU_CYCLE_1)
	s_xor_b32 s2, s2, s31
	s_sub_co_i32 s40, s2, s31
	s_delay_alu instid0(SALU_CYCLE_1) | instskip(SKIP_2) | instid1(SALU_CYCLE_1)
	s_ashr_i32 s41, s40, 31
	s_wait_kmcnt 0x0
	s_mul_u64 s[34:35], s[34:35], s[40:41]
	s_add_nc_u64 s[34:35], s[10:11], s[34:35]
.LBB30_2:
	s_bfe_u32 s2, ttmp6, 0x4000c
	v_and_b32_e32 v60, 0x3ff, v0
	v_bfe_u32 v0, v0, 10, 10
	s_add_co_i32 s2, s2, 1
	s_and_b32 s10, ttmp6, 15
	s_mul_i32 s2, ttmp9, s2
	s_movk_i32 s11, 0xc0
	s_sub_co_i32 s33, s25, s26
	s_add_co_i32 s10, s10, s2
	v_cmp_gt_u32_e64 s2, 24, v60
	v_mad_u32_u24 v59, v0, s11, 0xe80
	v_lshlrev_b32_e32 v62, 3, v60
	v_dual_lshrrev_b32 v61, 2, v0 :: v_dual_bitop2_b32 v40, 3, v0 bitop3:0x40
	s_cmp_eq_u32 s24, 0
	s_cselect_b32 s31, ttmp9, s10
	s_and_saveexec_b32 s10, s2
	s_cbranch_execz .LBB30_4
; %bb.3:
	v_add_nc_u32_e32 v1, s31, v61
	s_load_b96 s[40:42], s[0:1], 0x70
	v_dual_mov_b32 v41, 0 :: v_dual_lshlrev_b32 v6, 4, v60
	s_delay_alu instid0(VALU_DEP_2) | instskip(NEXT) | instid1(VALU_DEP_2)
	v_mul_hi_u32 v2, s20, v1
	v_dual_mov_b32 v3, v41 :: v_dual_mov_b32 v7, v41
	s_delay_alu instid0(VALU_DEP_2) | instskip(NEXT) | instid1(VALU_DEP_1)
	v_add_nc_u32_e32 v2, v1, v2
	v_lshrrev_b32_e32 v2, s21, v2
	s_wait_kmcnt 0x0
	s_ashr_i32 s27, s41, 31
	s_mov_b32 s26, s41
	s_mul_i32 s44, s33, s41
	s_lshr_b64 s[26:27], s[26:27], 2
	v_mul_lo_u32 v2, v2, s22
	v_mul_u64_e32 v[4:5], s[26:27], v[40:41]
	s_ashr_i32 s41, s40, 31
	s_ashr_i32 s45, s44, 31
	s_lshr_b64 s[26:27], s[40:41], 2
	s_delay_alu instid0(VALU_DEP_2) | instskip(NEXT) | instid1(VALU_DEP_1)
	v_sub_nc_u32_e32 v2, v1, v2
	v_mul_u64_e32 v[2:3], s[26:27], v[2:3]
	s_mul_i32 s26, s28, s42
	s_delay_alu instid0(SALU_CYCLE_1) | instskip(NEXT) | instid1(SALU_CYCLE_1)
	s_ashr_i32 s27, s26, 31
	s_add_nc_u64 s[4:5], s[4:5], s[26:27]
	s_delay_alu instid0(SALU_CYCLE_1)
	s_add_nc_u64 s[4:5], s[4:5], s[44:45]
	s_delay_alu instid0(VALU_DEP_3) | instid1(SALU_CYCLE_1)
	v_lshl_add_u64 v[4:5], v[4:5], 2, s[4:5]
	s_load_b32 s4, s[0:1], 0x40
	s_delay_alu instid0(VALU_DEP_1) | instskip(NEXT) | instid1(VALU_DEP_1)
	v_lshl_add_u64 v[2:3], v[2:3], 2, v[4:5]
	v_add_nc_u64_e32 v[2:3], v[2:3], v[6:7]
	global_load_b128 v[2:5], v[2:3], off
	s_wait_loadcnt 0x0
	s_wait_kmcnt 0x0
	v_fma_mixlo_f16 v1, s4, v2, 0
	v_mov_b32_e32 v2, v5
	s_delay_alu instid0(VALU_DEP_2) | instskip(NEXT) | instid1(VALU_DEP_2)
	v_and_b32_e32 v1, 0xffff, v1
	v_pk_mul_f32 v[2:3], s[4:5], v[2:3] op_sel_hi:[0,1]
	s_delay_alu instid0(VALU_DEP_1) | instskip(SKIP_1) | instid1(VALU_DEP_2)
	v_cvt_pk_f16_f32 v2, v2, v3
	v_fma_mixlo_f16 v3, s4, v4, 0
	v_and_b32_e32 v4, 0xffff0000, v2
	s_delay_alu instid0(VALU_DEP_2) | instskip(NEXT) | instid1(VALU_DEP_2)
	v_and_b32_e32 v3, 0xffff, v3
	v_dual_lshlrev_b32 v2, 16, v2 :: v_dual_bitop2_b32 v1, v4, v1 bitop3:0x54
	v_add_nc_u32_e32 v4, v59, v62
	s_delay_alu instid0(VALU_DEP_2) | instskip(NEXT) | instid1(VALU_DEP_3)
	v_or3_b32 v3, v2, v3, 0
	v_or3_b32 v2, 0, 0, v1
	ds_store_b64 v4, v[2:3]
.LBB30_4:
	s_or_b32 exec_lo, exec_lo, s10
	s_cmp_eq_u64 s[14:15], 0
	s_wait_dscnt 0x0
	s_barrier_signal -1
	s_barrier_wait -1
	s_cbranch_scc1 .LBB30_6
; %bb.5:
	s_load_b32 s4, s[0:1], 0xd0
	s_wait_kmcnt 0x0
	s_mul_i32 s4, s4, s28
	s_delay_alu instid0(SALU_CYCLE_1)
	s_add_co_i32 s4, s4, s31
	s_load_b32 s30, s[14:15], s4 offset:0x0 scale_offset
.LBB30_6:
	s_wait_xcnt 0x0
	s_bfe_u32 s4, ttmp6, 0x40010
	s_and_b32 s5, ttmp7, 0xffff
	s_add_co_i32 s4, s4, 1
	s_bfe_u32 s10, ttmp6, 0x40004
	s_mul_i32 s4, s5, s4
	v_mbcnt_lo_u32_b32 v63, -1, 0
	s_add_co_i32 s10, s10, s4
	s_cmp_eq_u32 s24, 0
	s_mov_b32 s4, 0
	s_cselect_b32 s38, s5, s10
	s_delay_alu instid0(SALU_CYCLE_1)
	s_lshl_b32 s10, s38, 5
	s_wait_kmcnt 0x0
	s_cmp_lt_i32 s10, s30
	s_cbranch_scc1 .LBB30_9
; %bb.7:
	v_mbcnt_lo_u32_b32 v1, -1, 0
	s_delay_alu instid0(VALU_DEP_1)
	v_dual_mov_b32 v64, 32 :: v_dual_bitop2_b32 v57, 16, v1 bitop3:0x14
	v_xor_b32_e32 v76, 8, v1
	v_xor_b32_e32 v77, 4, v1
	;; [unrolled: 1-line block ×3, first 2 shown]
	v_dual_lshlrev_b32 v41, 2, v60 :: v_dual_bitop2_b32 v79, 1, v1 bitop3:0x14
	s_and_not1_b32 vcc_lo, exec_lo, s4
	s_cbranch_vccz .LBB30_10
; %bb.8:
	v_dual_mov_b32 v73, 0 :: v_dual_mov_b32 v80, 0
	v_mov_b32_e32 v58, 0xfeffffff
	v_mov_b32_e32 v74, 0
	s_branch .LBB30_22
.LBB30_9:
                                        ; implicit-def: $vgpr1
                                        ; implicit-def: $vgpr64
                                        ; implicit-def: $vgpr57
                                        ; implicit-def: $vgpr76
                                        ; implicit-def: $vgpr77
                                        ; implicit-def: $vgpr78
                                        ; implicit-def: $vgpr79
	v_lshlrev_b32_e32 v41, 2, v60
.LBB30_10:
	v_dual_add_nc_u32 v1, s31, v61 :: v_dual_lshrrev_b32 v3, 1, v60
	s_clause 0x1
	s_load_b64 s[4:5], s[0:1], 0x8c
	s_load_b128 s[24:27], s[0:1], 0x98
	s_mul_f32 s11, s36, 0x4f7ffffe
	s_sub_co_i32 s14, 0, s39
	v_mul_hi_u32 v2, s20, v1
	v_lshrrev_b32_e32 v4, 2, v60
	s_cvt_u32_f32 s11, s11
	s_abs_i32 s36, s33
	s_mov_b32 s15, s37
	s_load_b64 s[40:41], s[0:1], 0xa8
	s_mul_i32 s14, s14, s11
	s_ashr_i32 s42, s33, 31
	s_mul_hi_u32 s14, s11, s14
	s_ashr_i32 s43, s29, 31
	s_add_co_i32 s14, s11, s14
	v_add_nc_u32_e32 v2, v1, v2
	s_mul_u64 s[14:15], s[36:37], s[14:15]
	v_lshl_add_u32 v3, v0, 4, v3
	s_mul_i32 s11, s15, s39
	s_ashr_i32 s3, s3, 1
	v_dual_lshrrev_b32 v6, s21, v2 :: v_dual_bitop2_b32 v2, 12, v41 bitop3:0x40
	s_sub_co_i32 s11, s36, s11
	s_ashr_i32 s29, s28, 31
	s_xor_b32 s37, s42, s43
	s_delay_alu instid0(VALU_DEP_1)
	v_mul_lo_u32 v6, v6, s22
	v_dual_lshlrev_b32 v7, 2, v2 :: v_dual_lshrrev_b32 v8, 3, v60
	s_wait_kmcnt 0x0
	s_ashr_i32 s14, s26, 2
	s_ashr_i32 s26, s4, 2
	s_add_co_i32 s4, s15, 1
	s_sub_co_i32 s36, s11, s39
	s_cmp_ge_u32 s11, s39
	v_lshl_add_u32 v5, v0, 3, v4
	s_cselect_b32 s4, s4, s15
	v_cmp_gt_u32_e32 vcc_lo, 32, v3
	v_mul_u32_u24_e32 v9, 0x70, v3
	v_mul_lo_u32 v46, s26, v3
	v_lshl_add_u32 v3, v0, 2, v8
	s_cselect_b32 s11, s36, s11
	s_add_co_i32 s15, s4, 1
	s_cmp_ge_u32 s11, s39
	v_mul_lo_u32 v42, s26, v5
	s_cselect_b32 s4, s15, s4
	v_sub_nc_u32_e32 v1, v1, v6
	v_mul_lo_u32 v48, s14, v3
	v_mul_lo_u32 v50, s14, v5
	v_dual_mov_b32 v45, 0 :: v_dual_bitop2_b32 v4, 4, v41 bitop3:0x40
	v_lshl_add_u32 v68, v0, 6, 0x1180
	v_mul_u32_u24_e32 v6, 0xc0, v5
	v_and_b32_e32 v0, 28, v41
	s_xor_b32 s4, s4, s37
	v_mad_u32 v69, v1, s3, v60
	s_sub_co_i32 s11, s4, s37
	s_mul_u64 s[24:25], s[24:25], s[28:29]
	s_mul_i32 s4, s11, s5
	v_dual_lshlrev_b32 v10, 2, v4 :: v_dual_ashrrev_i32 v43, 31, v42
	v_mad_u32_u24 v65, 0x70, v5, v7
	v_dual_ashrrev_i32 v47, 31, v46 :: v_dual_bitop2_b32 v1, v6, v7 bitop3:0x54
	v_cmp_gt_u32_e64 s3, 16, v5
	v_dual_lshlrev_b32 v5, 2, v0 :: v_dual_lshlrev_b32 v52, 2, v2
	s_add_nc_u64 s[6:7], s[6:7], s[24:25]
	s_ashr_i32 s5, s4, 31
	s_mul_u64 s[24:25], s[40:41], s[28:29]
	s_add_nc_u64 s[6:7], s[6:7], s[4:5]
	s_add_nc_u64 s[4:5], s[8:9], s[24:25]
	s_mul_i32 s8, s11, s27
	v_mul_u32_u24_e32 v66, 0x70, v60
	v_add3_u32 v67, v9, v10, 64
	v_lshl_add_u32 v70, v60, 1, v68
	v_dual_ashrrev_i32 v49, 31, v48 :: v_dual_ashrrev_i32 v51, 31, v50
	v_dual_mov_b32 v54, v52 :: v_dual_add_nc_u32 v71, 0x80, v1
	v_mad_u32_u24 v72, 0xc0, v3, v5
	v_dual_mov_b32 v81, 0xfeffffff :: v_dual_mov_b32 v64, 32
	v_dual_mov_b32 v55, v45 :: v_dual_lshlrev_b32 v44, 2, v0
	v_dual_lshlrev_b32 v56, 2, v4 :: v_dual_mov_b32 v74, v45
	v_dual_mov_b32 v73, v45 :: v_dual_mov_b32 v75, v45
	s_ashr_i32 s9, s8, 31
	s_ashr_i32 s27, s26, 31
	s_add_nc_u64 s[8:9], s[4:5], s[8:9]
	s_ashr_i32 s15, s14, 31
	s_add_nc_u64 s[20:21], s[0:1], 0xd0
.LBB30_11:                              ; =>This Inner Loop Header: Depth=1
	s_ashr_i32 s11, s10, 31
	s_delay_alu instid0(SALU_CYCLE_1) | instskip(NEXT) | instid1(SALU_CYCLE_1)
	s_mul_u64 s[4:5], s[10:11], s[26:27]
	s_lshl_b64 s[4:5], s[4:5], 2
	s_delay_alu instid0(SALU_CYCLE_1) | instskip(NEXT) | instid1(SALU_CYCLE_1)
	s_add_nc_u64 s[4:5], s[6:7], s[4:5]
	v_lshl_add_u64 v[0:1], v[46:47], 2, s[4:5]
	s_and_saveexec_b32 s24, vcc_lo
	s_cbranch_execz .LBB30_13
; %bb.12:                               ;   in Loop: Header=BB30_11 Depth=1
	v_mov_b32_e32 v57, v45
	s_delay_alu instid0(VALU_DEP_1)
	v_add_nc_u64_e32 v[2:3], v[0:1], v[56:57]
	global_load_b128 v[2:5], v[2:3], off offset:64
	s_wait_loadcnt 0x0
	ds_store_b128 v67, v[2:5]
.LBB30_13:                              ;   in Loop: Header=BB30_11 Depth=1
	s_or_b32 exec_lo, exec_lo, s24
	v_lshl_add_u64 v[2:3], v[42:43], 2, s[4:5]
	s_delay_alu instid0(VALU_DEP_1)
	v_add_nc_u64_e32 v[2:3], v[2:3], v[54:55]
	global_load_b128 v[4:7], v[2:3], off
	s_wait_loadcnt 0x0
	ds_store_b128 v65, v[4:7]
	s_wait_dscnt 0x0
	s_barrier_signal -1
	s_barrier_wait -1
	ds_load_b128 v[6:9], v66
	ds_load_b128 v[10:13], v59
	v_mov_b32_e32 v4, v45
	s_wait_dscnt 0x0
	;;#ASMSTART
	v_dot2_f32_f16 v4, v6, v10, v4
	;;#ASMEND
	;;#ASMSTART
	v_dot2_f32_f16 v4, v7, v11, v4
	;;#ASMEND
	;;#ASMSTART
	v_dot2_f32_f16 v4, v8, v12, v4
	;;#ASMEND
	;;#ASMSTART
	v_dot2_f32_f16 v4, v9, v13, v4
	;;#ASMEND
	ds_load_b128 v[6:9], v66 offset:16
	ds_load_b128 v[10:13], v59 offset:16
	s_wait_dscnt 0x0
	;;#ASMSTART
	v_dot2_f32_f16 v4, v6, v10, v4
	;;#ASMEND
	;;#ASMSTART
	v_dot2_f32_f16 v4, v7, v11, v4
	;;#ASMEND
	;;#ASMSTART
	v_dot2_f32_f16 v4, v8, v12, v4
	;;#ASMEND
	;;#ASMSTART
	v_dot2_f32_f16 v4, v9, v13, v4
	;;#ASMEND
	ds_load_b128 v[6:9], v66 offset:32
	ds_load_b128 v[10:13], v59 offset:32
	;; [unrolled: 15-line block ×5, first 2 shown]
	s_wait_dscnt 0x0
	;;#ASMSTART
	v_dot2_f32_f16 v4, v6, v10, v4
	;;#ASMEND
	;;#ASMSTART
	v_dot2_f32_f16 v4, v7, v11, v4
	;;#ASMEND
	;; [unrolled: 3-line block ×4, first 2 shown]
	s_barrier_signal -1
	s_barrier_wait -1
	s_and_saveexec_b32 s4, vcc_lo
	s_cbranch_execz .LBB30_15
; %bb.14:                               ;   in Loop: Header=BB30_11 Depth=1
	v_mov_b32_e32 v57, v45
	s_delay_alu instid0(VALU_DEP_1)
	v_add_nc_u64_e32 v[0:1], v[0:1], v[56:57]
	global_load_b128 v[6:9], v[0:1], off offset:160
	s_wait_loadcnt 0x0
	ds_store_b128 v67, v[6:9]
.LBB30_15:                              ;   in Loop: Header=BB30_11 Depth=1
	s_or_b32 exec_lo, exec_lo, s4
	global_load_b128 v[0:3], v[2:3], off offset:96
	v_dual_add_nc_u32 v5, s10, v69 :: v_dual_bitop2_b32 v57, 16, v63 bitop3:0x14
	v_xor_b32_e32 v78, 2, v63
	v_xor_b32_e32 v79, 1, v63
	s_delay_alu instid0(VALU_DEP_3)
	v_cmp_gt_i32_e64 s4, 32, v57
	s_wait_loadcnt 0x0
	ds_store_b128 v65, v[0:3]
	s_wait_dscnt 0x0
	s_barrier_signal -1
	s_barrier_wait -1
	ds_load_b128 v[0:3], v66
	ds_load_b128 v[6:9], v59 offset:96
	s_wait_dscnt 0x0
	;;#ASMSTART
	v_dot2_f32_f16 v4, v0, v6, v4
	;;#ASMEND
	;;#ASMSTART
	v_dot2_f32_f16 v4, v1, v7, v4
	;;#ASMEND
	;;#ASMSTART
	v_dot2_f32_f16 v4, v2, v8, v4
	;;#ASMEND
	;;#ASMSTART
	v_dot2_f32_f16 v4, v3, v9, v4
	;;#ASMEND
	ds_load_b128 v[0:3], v66 offset:16
	ds_load_b128 v[6:9], v59 offset:112
	s_wait_dscnt 0x0
	;;#ASMSTART
	v_dot2_f32_f16 v4, v0, v6, v4
	;;#ASMEND
	;;#ASMSTART
	v_dot2_f32_f16 v4, v1, v7, v4
	;;#ASMEND
	;;#ASMSTART
	v_dot2_f32_f16 v4, v2, v8, v4
	;;#ASMEND
	;;#ASMSTART
	v_dot2_f32_f16 v4, v3, v9, v4
	;;#ASMEND
	ds_load_b128 v[0:3], v66 offset:32
	;; [unrolled: 15-line block ×5, first 2 shown]
	ds_load_b128 v[6:9], v59 offset:176
	s_wait_dscnt 0x0
	;;#ASMSTART
	v_dot2_f32_f16 v4, v0, v6, v4
	;;#ASMEND
	;;#ASMSTART
	v_dot2_f32_f16 v4, v1, v7, v4
	;;#ASMEND
	;; [unrolled: 3-line block ×4, first 2 shown]
	global_load_u16 v0, v5, s[34:35] scale_offset
	v_max_num_f32_e32 v1, v81, v81
	s_wait_loadcnt 0x0
	s_barrier_signal -1
	s_barrier_wait -1
	v_cvt_f32_f16_e32 v0, v0
	s_delay_alu instid0(VALU_DEP_1) | instskip(NEXT) | instid1(VALU_DEP_1)
	v_add_f32_e32 v0, v4, v0
	v_add_f32_e32 v3, 0x40051340, v0
	s_delay_alu instid0(VALU_DEP_1) | instskip(NEXT) | instid1(VALU_DEP_1)
	v_dual_cndmask_b32 v2, v63, v57, s4 :: v_dual_max_num_f32 v1, v1, v3
	v_lshlrev_b32_e32 v2, 2, v2
	ds_bpermute_b32 v2, v2, v1
	s_wait_dscnt 0x0
	v_dual_max_num_f32 v2, v2, v2 :: v_dual_bitop2_b32 v76, 8, v63 bitop3:0x14
	s_delay_alu instid0(VALU_DEP_1) | instskip(NEXT) | instid1(VALU_DEP_1)
	v_cmp_gt_i32_e64 s4, 32, v76
	v_dual_max_num_f32 v1, v1, v2 :: v_dual_cndmask_b32 v3, v63, v76, s4
	s_delay_alu instid0(VALU_DEP_1) | instskip(SKIP_3) | instid1(VALU_DEP_1)
	v_lshlrev_b32_e32 v3, 2, v3
	ds_bpermute_b32 v2, v3, v1
	s_wait_dscnt 0x0
	v_dual_max_num_f32 v2, v2, v2 :: v_dual_bitop2_b32 v77, 4, v63 bitop3:0x14
	v_max_num_f32_e32 v1, v1, v2
	s_delay_alu instid0(VALU_DEP_2) | instskip(NEXT) | instid1(VALU_DEP_1)
	v_cmp_gt_i32_e64 s4, 32, v77
	v_cndmask_b32_e64 v3, v63, v77, s4
	v_cmp_gt_i32_e64 s4, 32, v78
	s_delay_alu instid0(VALU_DEP_2) | instskip(SKIP_4) | instid1(VALU_DEP_2)
	v_lshlrev_b32_e32 v3, 2, v3
	ds_bpermute_b32 v2, v3, v1
	v_cndmask_b32_e64 v3, v63, v78, s4
	v_cmp_gt_i32_e64 s4, 32, v79
	s_wait_dscnt 0x0
	v_dual_max_num_f32 v2, v2, v2 :: v_dual_lshlrev_b32 v3, 2, v3
	s_delay_alu instid0(VALU_DEP_1) | instskip(SKIP_3) | instid1(VALU_DEP_1)
	v_max_num_f32_e32 v1, v1, v2
	ds_bpermute_b32 v2, v3, v1
	s_wait_dscnt 0x0
	v_dual_cndmask_b32 v3, v63, v79, s4 :: v_dual_max_num_f32 v2, v2, v2
	v_dual_lshlrev_b32 v3, 2, v3 :: v_dual_max_num_f32 v1, v1, v2
	ds_bpermute_b32 v2, v3, v1
	s_wait_dscnt 0x0
	v_max_num_f32_e32 v2, v2, v2
	s_delay_alu instid0(VALU_DEP_1) | instskip(NEXT) | instid1(VALU_DEP_1)
	v_max_num_f32_e32 v58, v1, v2
	v_sub_f32_e32 v0, v0, v58
	s_delay_alu instid0(VALU_DEP_1) | instskip(SKIP_1) | instid1(VALU_DEP_2)
	v_mul_f32_e32 v1, 0x3fb8aa3b, v0
	v_cmp_ngt_f32_e64 s4, 0xc2ce8ed0, v0
	v_fma_f32 v2, 0x3fb8aa3b, v0, -v1
	v_rndne_f32_e32 v3, v1
	s_delay_alu instid0(VALU_DEP_1) | instskip(NEXT) | instid1(VALU_DEP_1)
	v_dual_fmac_f32 v2, 0x32a5705f, v0 :: v_dual_sub_f32 v1, v1, v3
	v_add_f32_e32 v1, v1, v2
	v_cvt_i32_f32_e32 v2, v3
	s_delay_alu instid0(VALU_DEP_2) | instskip(SKIP_1) | instid1(TRANS32_DEP_1)
	v_exp_f32_e32 v1, v1
	v_nop
	v_ldexp_f32 v1, v1, v2
	s_delay_alu instid0(VALU_DEP_1) | instskip(SKIP_1) | instid1(VALU_DEP_1)
	v_cndmask_b32_e64 v1, 0, v1, s4
	v_cmp_nlt_f32_e64 s4, 0x42b17218, v0
	v_cndmask_b32_e64 v80, 0x7f800000, v1, s4
	s_mul_u64 s[4:5], s[10:11], s[14:15]
	s_delay_alu instid0(SALU_CYCLE_1) | instskip(NEXT) | instid1(VALU_DEP_1)
	s_lshl_b64 s[4:5], s[4:5], 2
	v_cvt_f16_f32_e32 v0, v80
	s_add_nc_u64 s[4:5], s[8:9], s[4:5]
	ds_store_b16 v70, v0
	s_wait_xcnt 0x0
	s_and_saveexec_b32 s11, s3
	s_cbranch_execz .LBB30_17
; %bb.16:                               ;   in Loop: Header=BB30_11 Depth=1
	v_lshl_add_u64 v[0:1], v[50:51], 2, s[4:5]
	v_mov_b32_e32 v53, v45
	s_delay_alu instid0(VALU_DEP_1)
	v_add_nc_u64_e32 v[0:1], v[0:1], v[52:53]
	global_load_b128 v[0:3], v[0:1], off offset:128
	s_wait_loadcnt 0x0
	ds_store_b128 v71, v[0:3]
.LBB30_17:                              ;   in Loop: Header=BB30_11 Depth=1
	s_or_b32 exec_lo, exec_lo, s11
	v_lshl_add_u64 v[0:1], v[48:49], 2, s[4:5]
	v_add_nc_u32_e32 v83, 0x400, v62
	v_add_nc_u32_e32 v82, 0x800, v62
	v_sub_f32_e32 v81, v81, v58
	s_or_b32 s24, s10, 16
	v_add_nc_u64_e32 v[0:1], v[0:1], v[44:45]
	s_ashr_i32 s25, s24, 31
	s_delay_alu instid0(SALU_CYCLE_1)
	s_mul_u64 s[24:25], s[24:25], s[14:15]
	v_cmp_ngt_f32_e64 s4, 0xc2ce8ed0, v81
	v_cmp_nlt_f32_e64 s5, 0x42b17218, v81
	s_lshl_b64 s[24:25], s[24:25], 2
	global_load_b128 v[0:3], v[0:1], off
	s_add_nc_u64 s[24:25], s[8:9], s[24:25]
	s_wait_loadcnt 0x0
	ds_store_b128 v72, v[0:3]
	s_wait_dscnt 0x0
	s_barrier_signal -1
	s_barrier_wait -1
	ds_load_2addr_b64 v[36:39], v62 offset1:24
	ds_load_b128 v[28:31], v68
	ds_load_b128 v[4:7], v68 offset:16
	ds_load_2addr_b64 v[32:35], v62 offset0:48 offset1:72
	ds_load_2addr_b64 v[24:27], v62 offset0:96 offset1:120
	;; [unrolled: 1-line block ×7, first 2 shown]
	s_wait_dscnt 0x0
	s_barrier_signal -1
	s_barrier_wait -1
	s_and_saveexec_b32 s11, s3
	s_cbranch_execz .LBB30_19
; %bb.18:                               ;   in Loop: Header=BB30_11 Depth=1
	v_lshl_add_u64 v[84:85], v[50:51], 2, s[24:25]
	v_mov_b32_e32 v53, v45
	s_delay_alu instid0(VALU_DEP_1)
	v_add_nc_u64_e32 v[84:85], v[84:85], v[52:53]
	global_load_b128 v[84:87], v[84:85], off offset:128
	s_wait_loadcnt 0x0
	ds_store_b128 v71, v[84:87]
.LBB30_19:                              ;   in Loop: Header=BB30_11 Depth=1
	s_or_b32 exec_lo, exec_lo, s11
	v_lshl_add_u64 v[84:85], v[48:49], 2, s[24:25]
	v_mul_f32_e32 v53, 0x3fb8aa3b, v81
	s_delay_alu instid0(VALU_DEP_2) | instskip(NEXT) | instid1(VALU_DEP_2)
	v_add_nc_u64_e32 v[84:85], v[84:85], v[44:45]
	v_fma_f32 v88, 0x3fb8aa3b, v81, -v53
	v_rndne_f32_e32 v89, v53
	s_delay_alu instid0(VALU_DEP_2) | instskip(SKIP_4) | instid1(VALU_DEP_3)
	v_fmac_f32_e32 v88, 0x32a5705f, v81
	global_load_b128 v[84:87], v[84:85], off
	v_sub_f32_e32 v53, v53, v89
	v_cvt_i32_f32_e32 v81, v89
	v_and_b32_e32 v89, 0xffff, v29
	v_dual_lshrrev_b32 v29, 16, v29 :: v_dual_add_f32 v53, v53, v88
	s_delay_alu instid0(VALU_DEP_1) | instskip(NEXT) | instid1(VALU_DEP_2)
	v_mul_u32_u24_e32 v29, 0x10001, v29
	v_exp_f32_e32 v53, v53
	v_nop
	s_delay_alu instid0(TRANS32_DEP_1) | instskip(SKIP_1) | instid1(VALU_DEP_2)
	v_ldexp_f32 v53, v53, v81
	v_and_b32_e32 v81, 0xffff, v28
	v_dual_lshrrev_b32 v28, 16, v28 :: v_dual_cndmask_b32 v53, 0, v53, s4
	s_delay_alu instid0(VALU_DEP_2) | instskip(NEXT) | instid1(VALU_DEP_2)
	v_mul_u32_u24_e32 v81, 0x10001, v81
	v_mul_u32_u24_e32 v28, 0x10001, v28
	s_delay_alu instid0(VALU_DEP_3) | instskip(NEXT) | instid1(VALU_DEP_3)
	v_cndmask_b32_e64 v53, 0x7f800000, v53, s5
	v_pk_mul_f16 v36, v36, v81
	v_pk_mul_f16 v37, v37, v81
	s_delay_alu instid0(VALU_DEP_3) | instskip(SKIP_1) | instid1(VALU_DEP_2)
	v_cvt_f16_f32_e32 v88, v53
	v_fmac_f32_e32 v80, v75, v53
	v_and_b32_e32 v88, 0xffff, v88
	s_delay_alu instid0(VALU_DEP_1) | instskip(NEXT) | instid1(VALU_DEP_1)
	v_mul_u32_u24_e32 v88, 0x10001, v88
	v_pk_fma_f16 v36, v74, v88, v36
	v_pk_fma_f16 v37, v73, v88, v37
	v_mul_u32_u24_e32 v74, 0x10001, v89
	s_delay_alu instid0(VALU_DEP_3) | instskip(NEXT) | instid1(VALU_DEP_3)
	v_pk_fma_f16 v36, v38, v28, v36
	v_pk_fma_f16 v28, v39, v28, v37
	v_and_b32_e32 v38, 0xffff, v30
	v_lshrrev_b32_e32 v30, 16, v30
	s_delay_alu instid0(VALU_DEP_4) | instskip(NEXT) | instid1(VALU_DEP_4)
	v_pk_fma_f16 v32, v32, v74, v36
	v_pk_fma_f16 v28, v33, v74, v28
	s_delay_alu instid0(VALU_DEP_4)
	v_mul_u32_u24_e32 v36, 0x10001, v38
	v_and_b32_e32 v33, 0xffff, v31
	v_mul_u32_u24_e32 v30, 0x10001, v30
	v_pk_fma_f16 v32, v34, v29, v32
	v_pk_fma_f16 v28, v35, v29, v28
	v_lshrrev_b32_e32 v29, 16, v31
	v_mul_u32_u24_e32 v31, 0x10001, v33
	s_delay_alu instid0(VALU_DEP_4) | instskip(NEXT) | instid1(VALU_DEP_4)
	v_pk_fma_f16 v24, v24, v36, v32
	v_pk_fma_f16 v25, v25, v36, v28
	s_delay_alu instid0(VALU_DEP_4) | instskip(NEXT) | instid1(VALU_DEP_3)
	v_mul_u32_u24_e32 v28, 0x10001, v29
	v_pk_fma_f16 v24, v26, v30, v24
	s_delay_alu instid0(VALU_DEP_3) | instskip(SKIP_2) | instid1(VALU_DEP_4)
	v_pk_fma_f16 v25, v27, v30, v25
	v_and_b32_e32 v26, 0xffff, v4
	v_lshrrev_b32_e32 v4, 16, v4
	v_pk_fma_f16 v20, v20, v31, v24
	s_delay_alu instid0(VALU_DEP_4) | instskip(NEXT) | instid1(VALU_DEP_4)
	v_pk_fma_f16 v21, v21, v31, v25
	v_mul_u32_u24_e32 v24, 0x10001, v26
	s_delay_alu instid0(VALU_DEP_4) | instskip(NEXT) | instid1(VALU_DEP_4)
	v_mul_u32_u24_e32 v4, 0x10001, v4
	v_pk_fma_f16 v20, v22, v28, v20
	s_delay_alu instid0(VALU_DEP_4) | instskip(SKIP_2) | instid1(VALU_DEP_4)
	v_pk_fma_f16 v21, v23, v28, v21
	v_and_b32_e32 v22, 0xffff, v5
	v_lshrrev_b32_e32 v5, 16, v5
	v_pk_fma_f16 v16, v16, v24, v20
	s_delay_alu instid0(VALU_DEP_4) | instskip(NEXT) | instid1(VALU_DEP_4)
	v_pk_fma_f16 v17, v17, v24, v21
	v_mul_u32_u24_e32 v22, 0x10001, v22
	v_and_b32_e32 v20, 0xffff, v6
	v_lshrrev_b32_e32 v6, 16, v6
	v_pk_fma_f16 v16, v18, v4, v16
	v_pk_fma_f16 v4, v19, v4, v17
	v_mul_u32_u24_e32 v5, 0x10001, v5
	v_mul_u32_u24_e32 v20, 0x10001, v20
	s_delay_alu instid0(VALU_DEP_4) | instskip(NEXT) | instid1(VALU_DEP_4)
	v_pk_fma_f16 v12, v12, v22, v16
	v_pk_fma_f16 v4, v13, v22, v4
	v_and_b32_e32 v13, 0xffff, v7
	s_delay_alu instid0(VALU_DEP_3) | instskip(NEXT) | instid1(VALU_DEP_3)
	v_pk_fma_f16 v12, v14, v5, v12
	v_pk_fma_f16 v15, v15, v5, v4
	v_mul_u32_u24_e32 v14, 0x10001, v6
	s_delay_alu instid0(VALU_DEP_4) | instskip(NEXT) | instid1(VALU_DEP_4)
	v_mul_u32_u24_e32 v21, 0x10001, v13
	v_pk_fma_f16 v8, v8, v20, v12
	s_delay_alu instid0(VALU_DEP_4) | instskip(NEXT) | instid1(VALU_DEP_2)
	v_pk_fma_f16 v9, v9, v20, v15
	v_pk_fma_f16 v8, v10, v14, v8
	s_delay_alu instid0(VALU_DEP_2) | instskip(NEXT) | instid1(VALU_DEP_2)
	v_pk_fma_f16 v22, v11, v14, v9
	v_pk_fma_f16 v0, v0, v21, v8
	s_delay_alu instid0(VALU_DEP_2)
	v_pk_fma_f16 v1, v1, v21, v22
	s_wait_loadcnt 0x0
	ds_store_b128 v72, v[84:87]
	s_wait_dscnt 0x0
	s_barrier_signal -1
	s_barrier_wait -1
	ds_load_b128 v[16:19], v68 offset:32
	v_lshrrev_b32_e32 v12, 16, v7
	ds_load_2addr_b64 v[4:7], v62 offset1:24
	s_wait_dscnt 0x1
	v_and_b32_e32 v23, 0xffff, v16
	v_lshrrev_b32_e32 v16, 16, v16
	v_mul_u32_u24_e32 v20, 0x10001, v12
	ds_load_b128 v[8:11], v68 offset:48
	ds_load_2addr_b64 v[12:15], v62 offset0:48 offset1:72
	v_and_b32_e32 v24, 0xffff, v18
	v_mul_u32_u24_e32 v22, 0x10001, v23
	v_and_b32_e32 v23, 0xffff, v17
	v_pk_fma_f16 v21, v2, v20, v0
	v_pk_fma_f16 v20, v3, v20, v1
	ds_load_2addr_b64 v[0:3], v62 offset0:96 offset1:120
	v_mul_u32_u24_e32 v16, 0x10001, v16
	v_lshrrev_b32_e32 v17, 16, v17
	s_wait_dscnt 0x3
	v_pk_fma_f16 v4, v4, v22, v21
	v_pk_fma_f16 v5, v5, v22, v20
	v_mul_u32_u24_e32 v20, 0x10001, v23
	v_and_b32_e32 v28, 0xffff, v19
	s_delay_alu instid0(VALU_DEP_4) | instskip(NEXT) | instid1(VALU_DEP_4)
	v_pk_fma_f16 v21, v6, v16, v4
	v_pk_fma_f16 v16, v7, v16, v5
	ds_load_2addr_b64 v[4:7], v62 offset0:144 offset1:168
	s_wait_dscnt 0x2
	v_pk_fma_f16 v12, v12, v20, v21
	v_pk_fma_f16 v13, v13, v20, v16
	v_lshrrev_b32_e32 v16, 16, v18
	v_mul_u32_u24_e32 v17, 0x10001, v17
	v_mul_u32_u24_e32 v18, 0x10001, v24
	ds_load_2addr_b64 v[20:23], v62 offset0:192 offset1:216
	v_mul_u32_u24_e32 v16, 0x10001, v16
	v_pk_fma_f16 v24, v14, v17, v12
	v_pk_fma_f16 v17, v15, v17, v13
	ds_load_2addr_b64 v[12:15], v83 offset0:112 offset1:136
	s_wait_dscnt 0x3
	v_pk_fma_f16 v0, v0, v18, v24
	v_pk_fma_f16 v1, v1, v18, v17
	v_lshrrev_b32_e32 v17, 16, v19
	v_mul_u32_u24_e32 v18, 0x10001, v28
	v_and_b32_e32 v28, 0xffff, v8
	v_pk_fma_f16 v19, v2, v16, v0
	v_pk_fma_f16 v16, v3, v16, v1
	v_lshrrev_b32_e32 v8, 16, v8
	v_mul_u32_u24_e32 v17, 0x10001, v17
	ds_load_2addr_b64 v[24:27], v82 offset0:32 offset1:56
	s_wait_dscnt 0x3
	v_pk_fma_f16 v4, v4, v18, v19
	v_pk_fma_f16 v5, v5, v18, v16
	v_mul_u32_u24_e32 v16, 0x10001, v28
	ds_load_2addr_b64 v[0:3], v82 offset0:80 offset1:104
	s_wait_dscnt 0x0
	v_pk_fma_f16 v4, v6, v17, v4
	v_pk_fma_f16 v5, v7, v17, v5
	v_and_b32_e32 v6, 0xffff, v9
	v_mul_u32_u24_e32 v7, 0x10001, v8
	v_lshrrev_b32_e32 v8, 16, v9
	v_pk_fma_f16 v4, v20, v16, v4
	v_pk_fma_f16 v5, v21, v16, v5
	v_mul_u32_u24_e32 v6, 0x10001, v6
	s_barrier_signal -1
	s_barrier_wait -1
	v_pk_fma_f16 v4, v22, v7, v4
	v_pk_fma_f16 v5, v23, v7, v5
	v_and_b32_e32 v7, 0xffff, v10
	s_load_b32 s4, s[20:21], 0x4
	s_delay_alu instid0(VALU_DEP_3) | instskip(NEXT) | instid1(VALU_DEP_3)
	v_pk_fma_f16 v4, v12, v6, v4
	v_pk_fma_f16 v5, v13, v6, v5
	v_lshrrev_b32_e32 v6, 16, v10
	v_mul_u32_u24_e32 v8, 0x10001, v8
	v_mul_u32_u24_e32 v7, 0x10001, v7
	s_delay_alu instid0(VALU_DEP_3) | instskip(NEXT) | instid1(VALU_DEP_3)
	v_mul_u32_u24_e32 v6, 0x10001, v6
	v_pk_fma_f16 v4, v14, v8, v4
	v_pk_fma_f16 v5, v15, v8, v5
	v_and_b32_e32 v8, 0xffff, v11
	s_delay_alu instid0(VALU_DEP_3) | instskip(NEXT) | instid1(VALU_DEP_3)
	v_pk_fma_f16 v4, v24, v7, v4
	v_pk_fma_f16 v5, v25, v7, v5
	v_lshrrev_b32_e32 v7, 16, v11
	s_delay_alu instid0(VALU_DEP_4) | instskip(NEXT) | instid1(VALU_DEP_4)
	v_mul_u32_u24_e32 v8, 0x10001, v8
	v_pk_fma_f16 v4, v26, v6, v4
	s_delay_alu instid0(VALU_DEP_4) | instskip(NEXT) | instid1(VALU_DEP_4)
	v_pk_fma_f16 v5, v27, v6, v5
	v_mul_u32_u24_e32 v6, 0x10001, v7
	s_wait_kmcnt 0x0
	s_lshl_b32 s4, s4, 5
	v_pk_fma_f16 v0, v0, v8, v4
	v_pk_fma_f16 v1, v1, v8, v5
	s_add_co_i32 s10, s4, s10
	s_delay_alu instid0(SALU_CYCLE_1) | instskip(NEXT) | instid1(VALU_DEP_2)
	s_cmp_ge_i32 s10, s30
	v_pk_fma_f16 v74, v2, v6, v0
	s_delay_alu instid0(VALU_DEP_2)
	v_pk_fma_f16 v73, v3, v6, v1
	s_cbranch_scc1 .LBB30_21
; %bb.20:                               ;   in Loop: Header=BB30_11 Depth=1
	v_dual_mov_b32 v81, v58 :: v_dual_mov_b32 v75, v80
	s_branch .LBB30_11
.LBB30_21:
	v_mov_b32_e32 v1, v63
.LBB30_22:
	v_cmp_lt_i32_e32 vcc_lo, v57, v64
	s_cmp_lg_u64 s[12:13], 0
	s_cselect_b32 s3, -1, 0
	s_cmp_eq_u32 s38, 0
	v_cndmask_b32_e32 v0, v1, v57, vcc_lo
	v_cmp_lt_i32_e32 vcc_lo, v76, v64
	s_cselect_b32 s4, -1, 0
	s_delay_alu instid0(SALU_CYCLE_1) | instskip(SKIP_3) | instid1(VALU_DEP_3)
	s_and_b32 s3, s4, s3
	v_cndmask_b32_e32 v2, v1, v76, vcc_lo
	v_lshlrev_b32_e32 v0, 2, v0
	v_cmp_lt_i32_e32 vcc_lo, v77, v64
	v_lshlrev_b32_e32 v2, 2, v2
	ds_bpermute_b32 v0, v0, v80
	v_cndmask_b32_e32 v3, v1, v77, vcc_lo
	v_cmp_lt_i32_e32 vcc_lo, v78, v64
	s_wait_dscnt 0x0
	v_add_f32_e32 v0, v80, v0
	ds_bpermute_b32 v2, v2, v0
	s_wait_dscnt 0x0
	v_dual_add_f32 v0, v0, v2 :: v_dual_lshlrev_b32 v3, 2, v3
	ds_bpermute_b32 v2, v3, v0
	v_cndmask_b32_e32 v3, v1, v78, vcc_lo
	v_cmp_lt_i32_e32 vcc_lo, v79, v64
	v_cndmask_b32_e32 v1, v1, v79, vcc_lo
	s_delay_alu instid0(VALU_DEP_3)
	v_lshlrev_b32_e32 v3, 2, v3
	s_and_b32 vcc_lo, exec_lo, s3
	s_wait_dscnt 0x0
	v_add_f32_e32 v0, v0, v2
	ds_bpermute_b32 v2, v3, v0
	s_wait_dscnt 0x0
	v_dual_add_f32 v0, v0, v2 :: v_dual_lshlrev_b32 v1, 2, v1
	ds_bpermute_b32 v1, v1, v0
	s_wait_dscnt 0x0
	v_dual_add_f32 v59, v0, v1 :: v_dual_add_nc_u32 v2, s33, v40
	s_cbranch_vccz .LBB30_24
; %bb.23:
	global_load_b32 v1, v2, s[12:13] scale_offset
	s_wait_loadcnt 0x0
	v_dual_max_num_f32 v0, v58, v58 :: v_dual_max_num_f32 v3, v1, v1
	s_delay_alu instid0(VALU_DEP_1) | instskip(NEXT) | instid1(VALU_DEP_1)
	v_max_num_f32_e32 v0, v0, v3
	v_sub_f32_e32 v1, v1, v0
	s_delay_alu instid0(VALU_DEP_1) | instskip(SKIP_1) | instid1(VALU_DEP_2)
	v_mul_f32_e32 v7, 0x3fb8aa3b, v1
	v_sub_f32_e32 v3, v58, v0
	v_rndne_f32_e32 v9, v7
	s_delay_alu instid0(VALU_DEP_2) | instskip(NEXT) | instid1(VALU_DEP_1)
	v_mul_f32_e32 v4, 0x3fb8aa3b, v3
	v_fma_f32 v5, 0x3fb8aa3b, v3, -v4
	v_rndne_f32_e32 v6, v4
	s_delay_alu instid0(VALU_DEP_1) | instskip(SKIP_2) | instid1(VALU_DEP_3)
	v_dual_sub_f32 v4, v4, v6 :: v_dual_fmac_f32 v5, 0x32a5705f, v3
	v_cvt_i32_f32_e32 v6, v6
	v_cmp_ngt_f32_e32 vcc_lo, 0xc2ce8ed0, v3
	v_add_f32_e32 v4, v4, v5
	v_fma_f32 v8, 0x3fb8aa3b, v1, -v7
	v_sub_f32_e32 v5, v7, v9
	s_delay_alu instid0(VALU_DEP_3) | instskip(NEXT) | instid1(VALU_DEP_2)
	v_exp_f32_e32 v4, v4
	v_fmac_f32_e32 v8, 0x32a5705f, v1
	s_delay_alu instid0(TRANS32_DEP_1) | instskip(SKIP_1) | instid1(VALU_DEP_2)
	v_ldexp_f32 v4, v4, v6
	v_cvt_i32_f32_e32 v6, v9
	v_cndmask_b32_e32 v4, 0, v4, vcc_lo
	v_cmp_nlt_f32_e32 vcc_lo, 0x42b17218, v3
	s_delay_alu instid0(VALU_DEP_2) | instskip(SKIP_2) | instid1(VALU_DEP_2)
	v_cndmask_b32_e32 v3, 0x7f800000, v4, vcc_lo
	v_add_f32_e32 v5, v5, v8
	v_cmp_ngt_f32_e32 vcc_lo, 0xc2ce8ed0, v1
	v_exp_f32_e32 v5, v5
	v_nop
	s_delay_alu instid0(TRANS32_DEP_1) | instskip(SKIP_1) | instid1(VALU_DEP_2)
	v_ldexp_f32 v4, v5, v6
	v_cvt_f16_f32_e32 v5, v3
	v_cndmask_b32_e32 v4, 0, v4, vcc_lo
	v_cmp_nlt_f32_e32 vcc_lo, 0x42b17218, v1
	s_delay_alu instid0(VALU_DEP_3) | instskip(NEXT) | instid1(VALU_DEP_3)
	v_and_b32_e32 v5, 0xffff, v5
	v_cndmask_b32_e32 v1, 0x7f800000, v4, vcc_lo
	s_delay_alu instid0(VALU_DEP_2) | instskip(NEXT) | instid1(VALU_DEP_2)
	v_mul_u32_u24_e32 v4, 0x10001, v5
	v_fmac_f32_e32 v1, v59, v3
	s_delay_alu instid0(VALU_DEP_2) | instskip(SKIP_1) | instid1(VALU_DEP_3)
	v_pk_mul_f16 v74, v74, v4
	v_pk_mul_f16 v73, v73, v4
	v_mov_b64_e32 v[58:59], v[0:1]
	s_branch .LBB30_25
.LBB30_24:
	s_delay_alu instid0(VALU_DEP_1)
	v_mov_b32_e32 v1, v59
.LBB30_25:
	s_load_b32 s0, s[0:1], 0xd4
	s_wait_xcnt 0x0
	s_mul_i32 s1, s28, s22
	s_delay_alu instid0(SALU_CYCLE_1) | instskip(NEXT) | instid1(VALU_DEP_1)
	v_add3_u32 v0, s1, s31, v61
	v_mad_u32 v0, v0, s23, v2
	s_wait_kmcnt 0x0
	s_delay_alu instid0(VALU_DEP_1)
	v_mad_u32 v0, s0, v0, s38
	s_cmp_lg_u32 s0, 1
	s_cselect_b32 s0, -1, 0
	s_and_saveexec_b32 s1, s2
	s_cbranch_execz .LBB30_27
; %bb.26:
	v_div_scale_f32 v2, null, v1, v1, 1.0
	v_div_scale_f32 v5, vcc_lo, 1.0, v1, 1.0
	v_lshrrev_b32_e32 v7, 16, v73
	s_delay_alu instid0(VALU_DEP_3) | instskip(NEXT) | instid1(VALU_DEP_1)
	v_rcp_f32_e32 v3, v2
	v_cvt_f32_f16_e32 v7, v7
	s_delay_alu instid0(TRANS32_DEP_1) | instskip(NEXT) | instid1(VALU_DEP_1)
	v_fma_f32 v4, -v2, v3, 1.0
	v_fmac_f32_e32 v3, v4, v3
	s_delay_alu instid0(VALU_DEP_1) | instskip(NEXT) | instid1(VALU_DEP_1)
	v_mul_f32_e32 v4, v5, v3
	v_fma_f32 v6, -v2, v4, v5
	s_delay_alu instid0(VALU_DEP_1) | instskip(SKIP_1) | instid1(VALU_DEP_2)
	v_fmac_f32_e32 v4, v6, v3
	v_cvt_f32_f16_e32 v6, v73
	v_dual_fma_f32 v2, -v2, v4, v5 :: v_dual_lshrrev_b32 v5, 16, v74
	s_delay_alu instid0(VALU_DEP_1) | instskip(SKIP_2) | instid1(VALU_DEP_4)
	v_div_fmas_f32 v4, v2, v3, v4
	v_mad_u32 v2, 0x60, v0, v41
	v_mov_b32_e32 v3, 0
	v_cvt_f32_f16_e32 v5, v5
	s_delay_alu instid0(VALU_DEP_4) | instskip(SKIP_1) | instid1(VALU_DEP_2)
	v_div_fixup_f32 v1, v4, v1, 1.0
	v_cvt_f32_f16_e32 v4, v74
	v_cndmask_b32_e64 v8, v1, 1.0, s0
	v_lshl_add_u64 v[10:11], v[2:3], 2, s[16:17]
	s_delay_alu instid0(VALU_DEP_2)
	v_pk_mul_f32 v[2:3], v[8:9], v[4:5] op_sel_hi:[0,1]
	v_pk_mul_f32 v[4:5], v[8:9], v[6:7] op_sel_hi:[0,1]
	global_store_b128 v[10:11], v[2:5], off
.LBB30_27:
	s_wait_xcnt 0x0
	s_or_b32 exec_lo, exec_lo, s1
	v_cmp_eq_u32_e32 vcc_lo, 0, v60
	s_and_b32 s0, vcc_lo, s0
	s_delay_alu instid0(SALU_CYCLE_1)
	s_and_saveexec_b32 s1, s0
	s_cbranch_execz .LBB30_29
; %bb.28:
	global_store_b64 v0, v[58:59], s[18:19] scale_offset
.LBB30_29:
	s_sendmsg sendmsg(MSG_DEALLOC_VGPRS)
	s_endpgm
	.section	.rodata,"a",@progbits
	.p2align	6, 0x0
	.amdhsa_kernel _ZL15flash_attn_tileILi96ELi96ELi1ELi4ELb0EEvPKcS1_S1_S1_S1_PKiPfP15HIP_vector_typeIfLj2EEffffjfiS5_IjLj3EEiiiiiiiiiiiliiliiiiil
		.amdhsa_group_segment_fixed_size 4736
		.amdhsa_private_segment_fixed_size 0
		.amdhsa_kernarg_size 464
		.amdhsa_user_sgpr_count 2
		.amdhsa_user_sgpr_dispatch_ptr 0
		.amdhsa_user_sgpr_queue_ptr 0
		.amdhsa_user_sgpr_kernarg_segment_ptr 1
		.amdhsa_user_sgpr_dispatch_id 0
		.amdhsa_user_sgpr_kernarg_preload_length 0
		.amdhsa_user_sgpr_kernarg_preload_offset 0
		.amdhsa_user_sgpr_private_segment_size 0
		.amdhsa_wavefront_size32 1
		.amdhsa_uses_dynamic_stack 0
		.amdhsa_enable_private_segment 0
		.amdhsa_system_sgpr_workgroup_id_x 1
		.amdhsa_system_sgpr_workgroup_id_y 1
		.amdhsa_system_sgpr_workgroup_id_z 1
		.amdhsa_system_sgpr_workgroup_info 0
		.amdhsa_system_vgpr_workitem_id 1
		.amdhsa_next_free_vgpr 90
		.amdhsa_next_free_sgpr 46
		.amdhsa_named_barrier_count 0
		.amdhsa_reserve_vcc 1
		.amdhsa_float_round_mode_32 0
		.amdhsa_float_round_mode_16_64 0
		.amdhsa_float_denorm_mode_32 3
		.amdhsa_float_denorm_mode_16_64 3
		.amdhsa_fp16_overflow 0
		.amdhsa_memory_ordered 1
		.amdhsa_forward_progress 1
		.amdhsa_inst_pref_size 41
		.amdhsa_round_robin_scheduling 0
		.amdhsa_exception_fp_ieee_invalid_op 0
		.amdhsa_exception_fp_denorm_src 0
		.amdhsa_exception_fp_ieee_div_zero 0
		.amdhsa_exception_fp_ieee_overflow 0
		.amdhsa_exception_fp_ieee_underflow 0
		.amdhsa_exception_fp_ieee_inexact 0
		.amdhsa_exception_int_div_zero 0
	.end_amdhsa_kernel
	.section	.text._ZL15flash_attn_tileILi96ELi96ELi1ELi4ELb0EEvPKcS1_S1_S1_S1_PKiPfP15HIP_vector_typeIfLj2EEffffjfiS5_IjLj3EEiiiiiiiiiiiliiliiiiil,"axG",@progbits,_ZL15flash_attn_tileILi96ELi96ELi1ELi4ELb0EEvPKcS1_S1_S1_S1_PKiPfP15HIP_vector_typeIfLj2EEffffjfiS5_IjLj3EEiiiiiiiiiiiliiliiiiil,comdat
.Lfunc_end30:
	.size	_ZL15flash_attn_tileILi96ELi96ELi1ELi4ELb0EEvPKcS1_S1_S1_S1_PKiPfP15HIP_vector_typeIfLj2EEffffjfiS5_IjLj3EEiiiiiiiiiiiliiliiiiil, .Lfunc_end30-_ZL15flash_attn_tileILi96ELi96ELi1ELi4ELb0EEvPKcS1_S1_S1_S1_PKiPfP15HIP_vector_typeIfLj2EEffffjfiS5_IjLj3EEiiiiiiiiiiiliiliiiiil
                                        ; -- End function
	.set _ZL15flash_attn_tileILi96ELi96ELi1ELi4ELb0EEvPKcS1_S1_S1_S1_PKiPfP15HIP_vector_typeIfLj2EEffffjfiS5_IjLj3EEiiiiiiiiiiiliiliiiiil.num_vgpr, 90
	.set _ZL15flash_attn_tileILi96ELi96ELi1ELi4ELb0EEvPKcS1_S1_S1_S1_PKiPfP15HIP_vector_typeIfLj2EEffffjfiS5_IjLj3EEiiiiiiiiiiiliiliiiiil.num_agpr, 0
	.set _ZL15flash_attn_tileILi96ELi96ELi1ELi4ELb0EEvPKcS1_S1_S1_S1_PKiPfP15HIP_vector_typeIfLj2EEffffjfiS5_IjLj3EEiiiiiiiiiiiliiliiiiil.numbered_sgpr, 46
	.set _ZL15flash_attn_tileILi96ELi96ELi1ELi4ELb0EEvPKcS1_S1_S1_S1_PKiPfP15HIP_vector_typeIfLj2EEffffjfiS5_IjLj3EEiiiiiiiiiiiliiliiiiil.num_named_barrier, 0
	.set _ZL15flash_attn_tileILi96ELi96ELi1ELi4ELb0EEvPKcS1_S1_S1_S1_PKiPfP15HIP_vector_typeIfLj2EEffffjfiS5_IjLj3EEiiiiiiiiiiiliiliiiiil.private_seg_size, 0
	.set _ZL15flash_attn_tileILi96ELi96ELi1ELi4ELb0EEvPKcS1_S1_S1_S1_PKiPfP15HIP_vector_typeIfLj2EEffffjfiS5_IjLj3EEiiiiiiiiiiiliiliiiiil.uses_vcc, 1
	.set _ZL15flash_attn_tileILi96ELi96ELi1ELi4ELb0EEvPKcS1_S1_S1_S1_PKiPfP15HIP_vector_typeIfLj2EEffffjfiS5_IjLj3EEiiiiiiiiiiiliiliiiiil.uses_flat_scratch, 0
	.set _ZL15flash_attn_tileILi96ELi96ELi1ELi4ELb0EEvPKcS1_S1_S1_S1_PKiPfP15HIP_vector_typeIfLj2EEffffjfiS5_IjLj3EEiiiiiiiiiiiliiliiiiil.has_dyn_sized_stack, 0
	.set _ZL15flash_attn_tileILi96ELi96ELi1ELi4ELb0EEvPKcS1_S1_S1_S1_PKiPfP15HIP_vector_typeIfLj2EEffffjfiS5_IjLj3EEiiiiiiiiiiiliiliiiiil.has_recursion, 0
	.set _ZL15flash_attn_tileILi96ELi96ELi1ELi4ELb0EEvPKcS1_S1_S1_S1_PKiPfP15HIP_vector_typeIfLj2EEffffjfiS5_IjLj3EEiiiiiiiiiiiliiliiiiil.has_indirect_call, 0
	.section	.AMDGPU.csdata,"",@progbits
; Kernel info:
; codeLenInByte = 5200
; TotalNumSgprs: 48
; NumVgprs: 90
; ScratchSize: 0
; MemoryBound: 0
; FloatMode: 240
; IeeeMode: 1
; LDSByteSize: 4736 bytes/workgroup (compile time only)
; SGPRBlocks: 0
; VGPRBlocks: 5
; NumSGPRsForWavesPerEU: 48
; NumVGPRsForWavesPerEU: 90
; NamedBarCnt: 0
; Occupancy: 10
; WaveLimiterHint : 1
; COMPUTE_PGM_RSRC2:SCRATCH_EN: 0
; COMPUTE_PGM_RSRC2:USER_SGPR: 2
; COMPUTE_PGM_RSRC2:TRAP_HANDLER: 0
; COMPUTE_PGM_RSRC2:TGID_X_EN: 1
; COMPUTE_PGM_RSRC2:TGID_Y_EN: 1
; COMPUTE_PGM_RSRC2:TGID_Z_EN: 1
; COMPUTE_PGM_RSRC2:TIDIG_COMP_CNT: 1
	.section	.text._ZL33flash_attn_stream_k_fixup_uniformILi96ELi1ELi4EEvPfPK15HIP_vector_typeIfLj2EEiiiiiiS1_IjLj3EES5_S5_,"axG",@progbits,_ZL33flash_attn_stream_k_fixup_uniformILi96ELi1ELi4EEvPfPK15HIP_vector_typeIfLj2EEiiiiiiS1_IjLj3EES5_S5_,comdat
	.globl	_ZL33flash_attn_stream_k_fixup_uniformILi96ELi1ELi4EEvPfPK15HIP_vector_typeIfLj2EEiiiiiiS1_IjLj3EES5_S5_ ; -- Begin function _ZL33flash_attn_stream_k_fixup_uniformILi96ELi1ELi4EEvPfPK15HIP_vector_typeIfLj2EEiiiiiiS1_IjLj3EES5_S5_
	.p2align	8
	.type	_ZL33flash_attn_stream_k_fixup_uniformILi96ELi1ELi4EEvPfPK15HIP_vector_typeIfLj2EEiiiiiiS1_IjLj3EES5_S5_,@function
_ZL33flash_attn_stream_k_fixup_uniformILi96ELi1ELi4EEvPfPK15HIP_vector_typeIfLj2EEiiiiiiS1_IjLj3EES5_S5_: ; @_ZL33flash_attn_stream_k_fixup_uniformILi96ELi1ELi4EEvPfPK15HIP_vector_typeIfLj2EEiiiiiiS1_IjLj3EES5_S5_
; %bb.0:
	s_load_b256 s[4:11], s[0:1], 0x1c
	s_bfe_u32 s2, ttmp6, 0x40014
	s_lshr_b32 s3, ttmp7, 16
	s_add_co_i32 s2, s2, 1
	s_bfe_u32 s13, ttmp6, 0x40010
	s_mul_i32 s2, s3, s2
	s_bfe_u32 s12, ttmp6, 0x40008
	s_and_b32 s15, ttmp7, 0xffff
	s_add_co_i32 s13, s13, 1
	s_bfe_u32 s14, ttmp6, 0x4000c
	s_add_co_i32 s12, s12, s2
	s_mul_i32 s2, s15, s13
	s_bfe_u32 s13, ttmp6, 0x40004
	s_add_co_i32 s14, s14, 1
	s_add_co_i32 s13, s13, s2
	s_and_b32 s2, ttmp6, 15
	s_mul_i32 s14, ttmp9, s14
	s_getreg_b32 s20, hwreg(HW_REG_IB_STS2, 6, 4)
	s_add_co_i32 s2, s2, s14
	s_load_b128 s[16:19], s[0:1], 0x3c
	s_cmp_eq_u32 s20, 0
	s_cselect_b32 s14, ttmp9, s2
	s_cselect_b32 s13, s15, s13
	s_wait_kmcnt 0x0
	s_mul_hi_u32 s2, s7, s14
	s_cselect_b32 s12, s3, s12
	s_add_co_i32 s2, s14, s2
	s_delay_alu instid0(SALU_CYCLE_1) | instskip(NEXT) | instid1(SALU_CYCLE_1)
	s_lshr_b32 s7, s2, s8
	s_mul_i32 s2, s7, s9
	s_delay_alu instid0(SALU_CYCLE_1) | instskip(SKIP_2) | instid1(SALU_CYCLE_1)
	s_sub_co_i32 s8, s14, s2
	s_load_b64 s[2:3], s[0:1], 0x10
	s_mul_hi_u32 s9, s8, s10
	s_add_co_i32 s9, s8, s9
	s_delay_alu instid0(SALU_CYCLE_1) | instskip(NEXT) | instid1(SALU_CYCLE_1)
	s_lshr_b32 s15, s9, s11
	s_mul_i32 s9, s15, s16
	s_delay_alu instid0(SALU_CYCLE_1) | instskip(NEXT) | instid1(SALU_CYCLE_1)
	s_sub_co_i32 s8, s8, s9
	s_mul_hi_u32 s9, s8, s17
	s_delay_alu instid0(SALU_CYCLE_1) | instskip(NEXT) | instid1(SALU_CYCLE_1)
	s_add_co_i32 s9, s8, s9
	s_lshr_b32 s9, s9, s18
	s_delay_alu instid0(SALU_CYCLE_1) | instskip(SKIP_2) | instid1(SALU_CYCLE_1)
	s_mul_i32 s10, s9, s19
	s_lshl_b32 s17, s9, 2
	s_sub_co_i32 s16, s8, s10
	s_add_co_i32 s16, s16, s13
	s_wait_kmcnt 0x0
	s_cmp_lt_i32 s16, s2
	s_cselect_b32 s8, -1, 0
	s_add_co_i32 s17, s17, s12
	s_delay_alu instid0(SALU_CYCLE_1) | instskip(SKIP_1) | instid1(SALU_CYCLE_1)
	s_cmp_lt_i32 s17, s5
	s_cselect_b32 s9, -1, 0
	s_and_b32 s8, s8, s9
	s_delay_alu instid0(SALU_CYCLE_1)
	s_and_not1_b32 vcc_lo, exec_lo, s8
	s_cbranch_vccnz .LBB31_6
; %bb.1:
	s_load_b128 s[8:11], s[0:1], 0x0
	s_mul_i32 s7, s7, s2
	s_mul_i32 s15, s15, s5
	s_wait_xcnt 0x0
	s_add_co_i32 s0, s16, s7
	s_add_co_i32 s1, s17, s15
	s_mul_i32 s0, s0, s3
	s_mul_i32 s7, s6, s14
	s_add_co_i32 s1, s1, s0
	s_add_co_i32 s5, s7, s6
	v_mad_u32 v4, 0x60, s1, v0
	s_add_co_i32 s0, s13, s5
	s_add_co_i32 s2, s5, -2
	s_lshl_b32 s0, s0, 2
	s_delay_alu instid0(SALU_CYCLE_1) | instskip(NEXT) | instid1(SALU_CYCLE_1)
	s_add_co_i32 s0, s0, s12
	s_add_co_i32 s0, s0, -4
	s_delay_alu instid0(SALU_CYCLE_1) | instskip(NEXT) | instid1(SALU_CYCLE_1)
	s_ashr_i32 s1, s0, 31
	s_lshl_b64 s[0:1], s[0:1], 3
	s_wait_kmcnt 0x0
	global_load_b32 v3, v4, s[8:9] scale_offset
	s_add_nc_u64 s[0:1], s[10:11], s[0:1]
	v_ashrrev_i32_e32 v5, 31, v4
	s_load_b32 s15, s[0:1], 0x4
	s_cmp_lt_i32 s2, s7
	s_cbranch_scc1 .LBB31_4
; %bb.2:
	s_wait_xcnt 0x0
	s_load_b32 s0, s[0:1], 0x0
	s_add_co_i32 s14, s14, 1
	s_lshl_b32 s2, s4, 4
	s_wait_xcnt 0x0
	s_mul_i32 s1, s6, s14
	s_mul_i32 s6, s13, 0x180
	;; [unrolled: 1-line block ×3, first 2 shown]
	s_add_co_i32 s4, s13, s4
	s_mulk_i32 s1, 0x180
	s_add_co_i32 s6, s14, s6
	s_add_co_i32 s4, s4, s5
	s_add_co_i32 s6, s6, s1
	s_ashr_i32 s3, s2, 31
	s_lshl_b32 s1, s4, 2
	v_add3_u32 v0, s6, v0, 0xfffffd00
	s_wait_kmcnt 0x0
	v_mov_b32_e32 v2, s15
	s_lshl_b64 s[2:3], s[2:3], 2
	s_add_co_i32 s4, s12, s1
	s_add_nc_u64 s[2:3], s[10:11], s[2:3]
	s_add_co_i32 s1, s5, -1
	s_add_co_i32 s4, s4, -8
.LBB31_3:                               ; =>This Inner Loop Header: Depth=1
	global_load_b32 v7, v0, s[2:3] scale_offset
	s_ashr_i32 s5, s4, 31
	v_max_num_f32_e64 v1, s0, s0
	s_lshl_b64 s[12:13], s[4:5], 3
	s_delay_alu instid0(SALU_CYCLE_1) | instskip(SKIP_1) | instid1(VALU_DEP_1)
	s_add_nc_u64 s[12:13], s[10:11], s[12:13]
	s_load_b64 s[12:13], s[12:13], 0x0
	v_readfirstlane_b32 s5, v1
	v_add_nc_u32_e32 v0, 0xfffffe80, v0
	s_wait_kmcnt 0x0
	v_max_num_f32_e64 v1, s12, s12
	s_delay_alu instid0(VALU_DEP_1) | instskip(SKIP_1) | instid1(SALU_CYCLE_3)
	v_readfirstlane_b32 s6, v1
	s_max_num_f32 s5, s5, s6
	s_sub_f32 s0, s0, s5
	s_sub_f32 s6, s12, s5
	s_delay_alu instid0(SALU_CYCLE_2) | instskip(NEXT) | instid1(SALU_CYCLE_2)
	s_mul_f32 s12, s0, 0x3fb8aa3b
	s_mul_f32 s14, s6, 0x3fb8aa3b
	s_delay_alu instid0(SALU_CYCLE_2)
	s_xor_b32 s15, s12, 0x80000000
	s_rndne_f32 s16, s12
	s_fmamk_f32 s15, s0, 0x3fb8aa3b, s15
	s_cmp_nlt_f32 s0, 0xc2ce8ed0
	s_rndne_f32 s17, s14
	s_sub_f32 s12, s12, s16
	s_fmamk_f32 s15, s0, 0x32a5705f, s15
	s_cselect_b32 vcc_lo, -1, 0
	s_cmp_ngt_f32 s0, 0x42b17218
	s_delay_alu instid0(SALU_CYCLE_1) | instskip(SKIP_2) | instid1(SALU_CYCLE_1)
	s_add_f32 s12, s12, s15
	s_cvt_i32_f32 s15, s16
	s_sub_f32 s16, s14, s17
	v_s_exp_f32 s12, s12
	v_nop
	s_delay_alu instid0(TRANS32_DEP_1) | instskip(SKIP_1) | instid1(VALU_DEP_1)
	v_ldexp_f32 v1, s12, s15
	s_cvt_i32_f32 s12, s17
	v_cndmask_b32_e32 v1, 0, v1, vcc_lo
	s_cselect_b32 vcc_lo, -1, 0
	s_cmp_ge_f32 s0, 0xc1a00000
	s_delay_alu instid0(VALU_DEP_1)
	v_cndmask_b32_e32 v1, 0x7f800000, v1, vcc_lo
	s_cselect_b32 vcc_lo, -1, 0
	s_xor_b32 s0, s14, 0x80000000
	s_cmp_nlt_f32 s6, 0xc2ce8ed0
	s_fmamk_f32 s0, s6, 0x3fb8aa3b, s0
	v_cndmask_b32_e32 v10, 0, v1, vcc_lo
	s_delay_alu instid0(SALU_CYCLE_2) | instskip(NEXT) | instid1(SALU_CYCLE_3)
	s_fmamk_f32 s0, s6, 0x32a5705f, s0
	s_add_f32 s0, s16, s0
	s_delay_alu instid0(SALU_CYCLE_3) | instskip(SKIP_1) | instid1(TRANS32_DEP_1)
	v_s_exp_f32 s0, s0
	v_nop
	v_ldexp_f32 v6, s0, s12
	s_cselect_b32 s0, -1, 0
	s_cmp_ngt_f32 s6, 0x42b17218
	s_delay_alu instid0(VALU_DEP_1) | instskip(SKIP_2) | instid1(VALU_DEP_1)
	v_cndmask_b32_e64 v6, 0, v6, s0
	s_cselect_b32 s0, -1, 0
	s_cmp_ge_f32 s6, 0xc1a00000
	v_cndmask_b32_e64 v8, 0x7f800000, v6, s0
	s_cselect_b32 s0, -1, 0
	v_mov_b32_e32 v6, s13
	s_add_co_i32 s1, s1, -1
	s_add_co_i32 s4, s4, -4
	v_cndmask_b32_e64 v8, 0, v8, s0
	s_cmp_le_i32 s1, s7
	s_mov_b32 s0, s5
	s_wait_loadcnt 0x0
	s_delay_alu instid0(VALU_DEP_1) | instskip(NEXT) | instid1(VALU_DEP_1)
	v_pk_mul_f32 v[6:7], v[6:7], v[8:9] op_sel_hi:[1,0]
	v_pk_fma_f32 v[2:3], v[2:3], v[10:11], v[6:7] op_sel_hi:[1,0,1]
	s_cbranch_scc0 .LBB31_3
	s_branch .LBB31_5
.LBB31_4:
	s_wait_kmcnt 0x0
	v_mov_b32_e32 v2, s15
.LBB31_5:
	v_lshl_add_u64 v[0:1], v[4:5], 2, s[8:9]
	s_wait_loadcnt 0x0
	s_delay_alu instid0(VALU_DEP_2) | instskip(NEXT) | instid1(VALU_DEP_1)
	v_div_scale_f32 v4, null, v2, v2, v3
	v_rcp_f32_e32 v5, v4
	v_nop
	s_delay_alu instid0(TRANS32_DEP_1) | instskip(NEXT) | instid1(VALU_DEP_1)
	v_fma_f32 v6, -v4, v5, 1.0
	v_fmac_f32_e32 v5, v6, v5
	v_div_scale_f32 v6, vcc_lo, v3, v2, v3
	s_delay_alu instid0(VALU_DEP_1) | instskip(NEXT) | instid1(VALU_DEP_1)
	v_mul_f32_e32 v7, v6, v5
	v_fma_f32 v8, -v4, v7, v6
	s_delay_alu instid0(VALU_DEP_1) | instskip(NEXT) | instid1(VALU_DEP_1)
	v_fmac_f32_e32 v7, v8, v5
	v_fma_f32 v4, -v4, v7, v6
	s_delay_alu instid0(VALU_DEP_1) | instskip(NEXT) | instid1(VALU_DEP_1)
	v_div_fmas_f32 v4, v4, v5, v7
	v_div_fixup_f32 v2, v4, v2, v3
	global_store_b32 v[0:1], v2, off
.LBB31_6:
	s_endpgm
	.section	.rodata,"a",@progbits
	.p2align	6, 0x0
	.amdhsa_kernel _ZL33flash_attn_stream_k_fixup_uniformILi96ELi1ELi4EEvPfPK15HIP_vector_typeIfLj2EEiiiiiiS1_IjLj3EES5_S5_
		.amdhsa_group_segment_fixed_size 0
		.amdhsa_private_segment_fixed_size 0
		.amdhsa_kernarg_size 76
		.amdhsa_user_sgpr_count 2
		.amdhsa_user_sgpr_dispatch_ptr 0
		.amdhsa_user_sgpr_queue_ptr 0
		.amdhsa_user_sgpr_kernarg_segment_ptr 1
		.amdhsa_user_sgpr_dispatch_id 0
		.amdhsa_user_sgpr_kernarg_preload_length 0
		.amdhsa_user_sgpr_kernarg_preload_offset 0
		.amdhsa_user_sgpr_private_segment_size 0
		.amdhsa_wavefront_size32 1
		.amdhsa_uses_dynamic_stack 0
		.amdhsa_enable_private_segment 0
		.amdhsa_system_sgpr_workgroup_id_x 1
		.amdhsa_system_sgpr_workgroup_id_y 1
		.amdhsa_system_sgpr_workgroup_id_z 1
		.amdhsa_system_sgpr_workgroup_info 0
		.amdhsa_system_vgpr_workitem_id 0
		.amdhsa_next_free_vgpr 12
		.amdhsa_next_free_sgpr 21
		.amdhsa_named_barrier_count 0
		.amdhsa_reserve_vcc 1
		.amdhsa_float_round_mode_32 0
		.amdhsa_float_round_mode_16_64 0
		.amdhsa_float_denorm_mode_32 3
		.amdhsa_float_denorm_mode_16_64 3
		.amdhsa_fp16_overflow 0
		.amdhsa_memory_ordered 1
		.amdhsa_forward_progress 1
		.amdhsa_inst_pref_size 9
		.amdhsa_round_robin_scheduling 0
		.amdhsa_exception_fp_ieee_invalid_op 0
		.amdhsa_exception_fp_denorm_src 0
		.amdhsa_exception_fp_ieee_div_zero 0
		.amdhsa_exception_fp_ieee_overflow 0
		.amdhsa_exception_fp_ieee_underflow 0
		.amdhsa_exception_fp_ieee_inexact 0
		.amdhsa_exception_int_div_zero 0
	.end_amdhsa_kernel
	.section	.text._ZL33flash_attn_stream_k_fixup_uniformILi96ELi1ELi4EEvPfPK15HIP_vector_typeIfLj2EEiiiiiiS1_IjLj3EES5_S5_,"axG",@progbits,_ZL33flash_attn_stream_k_fixup_uniformILi96ELi1ELi4EEvPfPK15HIP_vector_typeIfLj2EEiiiiiiS1_IjLj3EES5_S5_,comdat
.Lfunc_end31:
	.size	_ZL33flash_attn_stream_k_fixup_uniformILi96ELi1ELi4EEvPfPK15HIP_vector_typeIfLj2EEiiiiiiS1_IjLj3EES5_S5_, .Lfunc_end31-_ZL33flash_attn_stream_k_fixup_uniformILi96ELi1ELi4EEvPfPK15HIP_vector_typeIfLj2EEiiiiiiS1_IjLj3EES5_S5_
                                        ; -- End function
	.set _ZL33flash_attn_stream_k_fixup_uniformILi96ELi1ELi4EEvPfPK15HIP_vector_typeIfLj2EEiiiiiiS1_IjLj3EES5_S5_.num_vgpr, 12
	.set _ZL33flash_attn_stream_k_fixup_uniformILi96ELi1ELi4EEvPfPK15HIP_vector_typeIfLj2EEiiiiiiS1_IjLj3EES5_S5_.num_agpr, 0
	.set _ZL33flash_attn_stream_k_fixup_uniformILi96ELi1ELi4EEvPfPK15HIP_vector_typeIfLj2EEiiiiiiS1_IjLj3EES5_S5_.numbered_sgpr, 21
	.set _ZL33flash_attn_stream_k_fixup_uniformILi96ELi1ELi4EEvPfPK15HIP_vector_typeIfLj2EEiiiiiiS1_IjLj3EES5_S5_.num_named_barrier, 0
	.set _ZL33flash_attn_stream_k_fixup_uniformILi96ELi1ELi4EEvPfPK15HIP_vector_typeIfLj2EEiiiiiiS1_IjLj3EES5_S5_.private_seg_size, 0
	.set _ZL33flash_attn_stream_k_fixup_uniformILi96ELi1ELi4EEvPfPK15HIP_vector_typeIfLj2EEiiiiiiS1_IjLj3EES5_S5_.uses_vcc, 1
	.set _ZL33flash_attn_stream_k_fixup_uniformILi96ELi1ELi4EEvPfPK15HIP_vector_typeIfLj2EEiiiiiiS1_IjLj3EES5_S5_.uses_flat_scratch, 0
	.set _ZL33flash_attn_stream_k_fixup_uniformILi96ELi1ELi4EEvPfPK15HIP_vector_typeIfLj2EEiiiiiiS1_IjLj3EES5_S5_.has_dyn_sized_stack, 0
	.set _ZL33flash_attn_stream_k_fixup_uniformILi96ELi1ELi4EEvPfPK15HIP_vector_typeIfLj2EEiiiiiiS1_IjLj3EES5_S5_.has_recursion, 0
	.set _ZL33flash_attn_stream_k_fixup_uniformILi96ELi1ELi4EEvPfPK15HIP_vector_typeIfLj2EEiiiiiiS1_IjLj3EES5_S5_.has_indirect_call, 0
	.section	.AMDGPU.csdata,"",@progbits
; Kernel info:
; codeLenInByte = 1076
; TotalNumSgprs: 23
; NumVgprs: 12
; ScratchSize: 0
; MemoryBound: 0
; FloatMode: 240
; IeeeMode: 1
; LDSByteSize: 0 bytes/workgroup (compile time only)
; SGPRBlocks: 0
; VGPRBlocks: 0
; NumSGPRsForWavesPerEU: 23
; NumVGPRsForWavesPerEU: 12
; NamedBarCnt: 0
; Occupancy: 16
; WaveLimiterHint : 0
; COMPUTE_PGM_RSRC2:SCRATCH_EN: 0
; COMPUTE_PGM_RSRC2:USER_SGPR: 2
; COMPUTE_PGM_RSRC2:TRAP_HANDLER: 0
; COMPUTE_PGM_RSRC2:TGID_X_EN: 1
; COMPUTE_PGM_RSRC2:TGID_Y_EN: 1
; COMPUTE_PGM_RSRC2:TGID_Z_EN: 1
; COMPUTE_PGM_RSRC2:TIDIG_COMP_CNT: 0
	.section	.text._ZL33flash_attn_stream_k_fixup_generalILi96ELi1ELi4EEvPfPK15HIP_vector_typeIfLj2EEiiiiS1_IjLj3EES5_S5_S5_,"axG",@progbits,_ZL33flash_attn_stream_k_fixup_generalILi96ELi1ELi4EEvPfPK15HIP_vector_typeIfLj2EEiiiiS1_IjLj3EES5_S5_S5_,comdat
	.globl	_ZL33flash_attn_stream_k_fixup_generalILi96ELi1ELi4EEvPfPK15HIP_vector_typeIfLj2EEiiiiS1_IjLj3EES5_S5_S5_ ; -- Begin function _ZL33flash_attn_stream_k_fixup_generalILi96ELi1ELi4EEvPfPK15HIP_vector_typeIfLj2EEiiiiS1_IjLj3EES5_S5_S5_
	.p2align	8
	.type	_ZL33flash_attn_stream_k_fixup_generalILi96ELi1ELi4EEvPfPK15HIP_vector_typeIfLj2EEiiiiS1_IjLj3EES5_S5_S5_,@function
_ZL33flash_attn_stream_k_fixup_generalILi96ELi1ELi4EEvPfPK15HIP_vector_typeIfLj2EEiiiiS1_IjLj3EES5_S5_S5_: ; @_ZL33flash_attn_stream_k_fixup_generalILi96ELi1ELi4EEvPfPK15HIP_vector_typeIfLj2EEiiiiS1_IjLj3EES5_S5_S5_
; %bb.0:
	s_clause 0x1
	s_load_b128 s[4:7], s[0:1], 0x10
	s_load_b32 s16, s[0:1], 0x50
	s_bfe_u32 s2, ttmp6, 0x4000c
	s_and_b32 s3, ttmp6, 15
	s_add_co_i32 s2, s2, 1
	s_getreg_b32 s15, hwreg(HW_REG_IB_STS2, 6, 4)
	s_mul_i32 s2, ttmp9, s2
	s_mov_b32 s17, 0
	s_add_co_i32 s3, s3, s2
	s_cmp_eq_u32 s15, 0
	s_cselect_b32 s2, ttmp9, s3
	s_delay_alu instid0(SALU_CYCLE_1) | instskip(SKIP_3) | instid1(SALU_CYCLE_1)
	s_ashr_i32 s3, s2, 31
	s_wait_kmcnt 0x0
	s_ashr_i32 s19, s7, 31
	s_mov_b32 s18, s7
	s_mul_u64 s[8:9], s[18:19], s[2:3]
	s_delay_alu instid0(SALU_CYCLE_1) | instskip(NEXT) | instid1(SALU_CYCLE_1)
	s_and_b64 s[10:11], s[8:9], 0xffffffff00000000
	s_cmp_lg_u64 s[10:11], 0
	s_cbranch_scc0 .LBB32_21
; %bb.1:
	s_add_nc_u64 s[10:11], s[16:17], 0
	s_mov_b32 s23, s17
	s_xor_b64 s[10:11], s[10:11], 0
	s_mov_b32 s27, s17
	s_cvt_f32_u32 s3, s10
	s_cvt_f32_u32 s7, s11
	s_sub_nc_u64 s[20:21], 0, s[10:11]
	s_delay_alu instid0(SALU_CYCLE_2) | instskip(NEXT) | instid1(SALU_CYCLE_3)
	s_fmamk_f32 s3, s7, 0x4f800000, s3
	v_s_rcp_f32 s3, s3
	s_delay_alu instid0(TRANS32_DEP_1) | instskip(NEXT) | instid1(SALU_CYCLE_3)
	s_mul_f32 s3, s3, 0x5f7ffffc
	s_mul_f32 s7, s3, 0x2f800000
	s_delay_alu instid0(SALU_CYCLE_3) | instskip(NEXT) | instid1(SALU_CYCLE_3)
	s_trunc_f32 s7, s7
	s_fmamk_f32 s3, s7, 0xcf800000, s3
	s_cvt_u32_f32 s13, s7
	s_delay_alu instid0(SALU_CYCLE_2) | instskip(NEXT) | instid1(SALU_CYCLE_3)
	s_cvt_u32_f32 s12, s3
	s_mul_u64 s[24:25], s[20:21], s[12:13]
	s_delay_alu instid0(SALU_CYCLE_1)
	s_mul_hi_u32 s29, s12, s25
	s_mul_i32 s28, s12, s25
	s_mul_hi_u32 s22, s12, s24
	s_mul_i32 s7, s13, s24
	s_add_nc_u64 s[22:23], s[22:23], s[28:29]
	s_mul_hi_u32 s3, s13, s24
	s_mul_hi_u32 s14, s13, s25
	s_add_co_u32 s7, s22, s7
	s_add_co_ci_u32 s26, s23, s3
	s_mul_i32 s24, s13, s25
	s_add_co_ci_u32 s25, s14, 0
	s_delay_alu instid0(SALU_CYCLE_1) | instskip(SKIP_3) | instid1(SALU_CYCLE_1)
	s_add_nc_u64 s[22:23], s[26:27], s[24:25]
	s_mov_b32 s25, s17
	s_add_co_u32 s12, s12, s22
	s_cselect_b32 s3, -1, 0
	s_cmp_lg_u32 s3, 0
	s_add_co_ci_u32 s13, s13, s23
	s_mov_b32 s23, s17
	s_mul_u64 s[20:21], s[20:21], s[12:13]
	s_delay_alu instid0(SALU_CYCLE_1)
	s_mul_hi_u32 s27, s12, s21
	s_mul_i32 s26, s12, s21
	s_mul_hi_u32 s22, s12, s20
	s_mul_i32 s7, s13, s20
	s_add_nc_u64 s[22:23], s[22:23], s[26:27]
	s_mul_hi_u32 s3, s13, s20
	s_mul_hi_u32 s14, s13, s21
	s_add_co_u32 s7, s22, s7
	s_add_co_ci_u32 s24, s23, s3
	s_mul_i32 s20, s13, s21
	s_add_co_ci_u32 s21, s14, 0
	s_mov_b32 s23, s17
	s_add_nc_u64 s[20:21], s[24:25], s[20:21]
	s_delay_alu instid0(SALU_CYCLE_1) | instskip(SKIP_1) | instid1(SALU_CYCLE_1)
	s_add_co_u32 s3, s12, s20
	s_cselect_b32 s7, -1, 0
	s_cmp_lg_u32 s7, 0
	s_add_co_ci_u32 s7, s13, s21
	s_ashr_i32 s12, s9, 31
	s_delay_alu instid0(SALU_CYCLE_1) | instskip(NEXT) | instid1(SALU_CYCLE_1)
	s_mov_b32 s13, s12
	s_add_nc_u64 s[20:21], s[8:9], s[12:13]
	s_delay_alu instid0(SALU_CYCLE_1) | instskip(NEXT) | instid1(SALU_CYCLE_1)
	s_xor_b64 s[20:21], s[20:21], s[12:13]
	s_mul_hi_u32 s27, s20, s7
	s_mul_i32 s26, s20, s7
	s_mul_hi_u32 s22, s20, s3
	s_mul_hi_u32 s14, s21, s3
	s_mul_i32 s3, s21, s3
	s_add_nc_u64 s[22:23], s[22:23], s[26:27]
	s_mul_hi_u32 s9, s21, s7
	s_add_co_u32 s3, s22, s3
	s_add_co_ci_u32 s24, s23, s14
	s_mul_i32 s26, s21, s7
	s_add_co_ci_u32 s27, s9, 0
	s_delay_alu instid0(SALU_CYCLE_1) | instskip(NEXT) | instid1(SALU_CYCLE_1)
	s_add_nc_u64 s[22:23], s[24:25], s[26:27]
	s_and_b64 s[24:25], s[22:23], 0xffffffff00000000
	s_delay_alu instid0(SALU_CYCLE_1) | instskip(NEXT) | instid1(SALU_CYCLE_1)
	s_or_b32 s24, s24, s22
	s_mul_u64 s[22:23], s[10:11], s[24:25]
	s_add_nc_u64 s[26:27], s[24:25], 1
	s_sub_co_u32 s3, s20, s22
	s_cselect_b32 s7, -1, 0
	s_sub_co_i32 s9, s21, s23
	s_cmp_lg_u32 s7, 0
	s_add_nc_u64 s[28:29], s[24:25], 2
	s_sub_co_ci_u32 s9, s9, s11
	s_sub_co_u32 s14, s3, s10
	s_cselect_b32 s20, -1, 0
	s_delay_alu instid0(SALU_CYCLE_1) | instskip(SKIP_1) | instid1(SALU_CYCLE_1)
	s_cmp_lg_u32 s20, 0
	s_sub_co_ci_u32 s9, s9, 0
	s_cmp_ge_u32 s9, s11
	s_cselect_b32 s20, -1, 0
	s_cmp_ge_u32 s14, s10
	s_cselect_b32 s14, -1, 0
	s_cmp_eq_u32 s9, s11
	s_cselect_b32 s9, s14, s20
	s_delay_alu instid0(SALU_CYCLE_1) | instskip(SKIP_4) | instid1(SALU_CYCLE_1)
	s_cmp_lg_u32 s9, 0
	s_cselect_b32 s9, s28, s26
	s_cselect_b32 s14, s29, s27
	s_cmp_lg_u32 s7, 0
	s_sub_co_ci_u32 s7, s21, s23
	s_cmp_ge_u32 s7, s11
	s_cselect_b32 s20, -1, 0
	s_cmp_ge_u32 s3, s10
	s_cselect_b32 s3, -1, 0
	s_cmp_eq_u32 s7, s11
	s_cselect_b32 s3, s3, s20
	s_delay_alu instid0(SALU_CYCLE_1) | instskip(SKIP_4) | instid1(SALU_CYCLE_1)
	s_cmp_lg_u32 s3, 0
	s_mov_b32 s3, s17
	s_cselect_b32 s11, s14, s25
	s_cselect_b32 s10, s9, s24
	s_xor_b64 s[12:13], s[12:13], 0
	s_xor_b64 s[10:11], s[10:11], s[12:13]
	s_delay_alu instid0(SALU_CYCLE_1)
	s_sub_nc_u64 s[20:21], s[10:11], s[12:13]
	s_and_not1_b32 vcc_lo, exec_lo, s3
	s_cbranch_vccnz .LBB32_3
.LBB32_2:
	v_cvt_f32_u32_e32 v1, s16
	s_sub_co_i32 s7, 0, s16
	s_mov_b32 s21, 0
	s_delay_alu instid0(VALU_DEP_1) | instskip(SKIP_1) | instid1(TRANS32_DEP_1)
	v_rcp_iflag_f32_e32 v1, v1
	v_nop
	v_mul_f32_e32 v1, 0x4f7ffffe, v1
	s_delay_alu instid0(VALU_DEP_1) | instskip(NEXT) | instid1(VALU_DEP_1)
	v_cvt_u32_f32_e32 v1, v1
	v_readfirstlane_b32 s3, v1
	s_mul_i32 s7, s7, s3
	s_delay_alu instid0(SALU_CYCLE_1) | instskip(NEXT) | instid1(SALU_CYCLE_1)
	s_mul_hi_u32 s7, s3, s7
	s_add_co_i32 s3, s3, s7
	s_delay_alu instid0(SALU_CYCLE_1) | instskip(NEXT) | instid1(SALU_CYCLE_1)
	s_mul_hi_u32 s3, s8, s3
	s_mul_i32 s7, s3, s16
	s_delay_alu instid0(SALU_CYCLE_1)
	s_sub_co_i32 s7, s8, s7
	s_add_co_i32 s8, s3, 1
	s_sub_co_i32 s9, s7, s16
	s_cmp_ge_u32 s7, s16
	s_cselect_b32 s3, s8, s3
	s_cselect_b32 s7, s9, s7
	s_add_co_i32 s8, s3, 1
	s_cmp_ge_u32 s7, s16
	s_cselect_b32 s20, s8, s3
.LBB32_3:
	s_add_co_i32 s8, s2, 1
	s_delay_alu instid0(SALU_CYCLE_1) | instskip(NEXT) | instid1(SALU_CYCLE_1)
	s_ashr_i32 s9, s8, 31
	s_mul_u64 s[8:9], s[18:19], s[8:9]
	s_delay_alu instid0(SALU_CYCLE_1) | instskip(NEXT) | instid1(SALU_CYCLE_1)
	s_and_b64 s[10:11], s[8:9], 0xffffffff00000000
	s_cmp_lg_u64 s[10:11], 0
	s_cbranch_scc0 .LBB32_22
; %bb.4:
	s_add_nc_u64 s[10:11], s[16:17], 0
	s_delay_alu instid0(SALU_CYCLE_1) | instskip(SKIP_4) | instid1(SALU_CYCLE_2)
	s_xor_b64 s[12:13], s[10:11], 0
	s_mov_b32 s11, 0
	s_cvt_f32_u32 s3, s12
	s_cvt_f32_u32 s7, s13
	s_sub_nc_u64 s[24:25], 0, s[12:13]
	s_fmamk_f32 s3, s7, 0x4f800000, s3
	s_delay_alu instid0(SALU_CYCLE_3) | instskip(NEXT) | instid1(TRANS32_DEP_1)
	v_s_rcp_f32 s3, s3
	s_mul_f32 s3, s3, 0x5f7ffffc
	s_delay_alu instid0(SALU_CYCLE_3) | instskip(NEXT) | instid1(SALU_CYCLE_3)
	s_mul_f32 s7, s3, 0x2f800000
	s_trunc_f32 s7, s7
	s_delay_alu instid0(SALU_CYCLE_3) | instskip(SKIP_1) | instid1(SALU_CYCLE_2)
	s_fmamk_f32 s3, s7, 0xcf800000, s3
	s_cvt_u32_f32 s23, s7
	s_cvt_u32_f32 s22, s3
	s_delay_alu instid0(SALU_CYCLE_3) | instskip(NEXT) | instid1(SALU_CYCLE_1)
	s_mul_u64 s[26:27], s[24:25], s[22:23]
	s_mul_hi_u32 s29, s22, s27
	s_mul_i32 s28, s22, s27
	s_mul_hi_u32 s10, s22, s26
	s_mul_i32 s7, s23, s26
	s_add_nc_u64 s[28:29], s[10:11], s[28:29]
	s_mul_hi_u32 s3, s23, s26
	s_mul_hi_u32 s14, s23, s27
	s_add_co_u32 s7, s28, s7
	s_add_co_ci_u32 s10, s29, s3
	s_mul_i32 s26, s23, s27
	s_add_co_ci_u32 s27, s14, 0
	s_delay_alu instid0(SALU_CYCLE_1) | instskip(NEXT) | instid1(SALU_CYCLE_1)
	s_add_nc_u64 s[26:27], s[10:11], s[26:27]
	s_add_co_u32 s22, s22, s26
	s_cselect_b32 s3, -1, 0
	s_delay_alu instid0(SALU_CYCLE_1) | instskip(SKIP_1) | instid1(SALU_CYCLE_1)
	s_cmp_lg_u32 s3, 0
	s_add_co_ci_u32 s23, s23, s27
	s_mul_u64 s[24:25], s[24:25], s[22:23]
	s_delay_alu instid0(SALU_CYCLE_1)
	s_mul_hi_u32 s27, s22, s25
	s_mul_i32 s26, s22, s25
	s_mul_hi_u32 s10, s22, s24
	s_mul_i32 s7, s23, s24
	s_add_nc_u64 s[26:27], s[10:11], s[26:27]
	s_mul_hi_u32 s3, s23, s24
	s_mul_hi_u32 s14, s23, s25
	s_add_co_u32 s7, s26, s7
	s_add_co_ci_u32 s10, s27, s3
	s_mul_i32 s24, s23, s25
	s_add_co_ci_u32 s25, s14, 0
	s_delay_alu instid0(SALU_CYCLE_1) | instskip(NEXT) | instid1(SALU_CYCLE_1)
	s_add_nc_u64 s[24:25], s[10:11], s[24:25]
	s_add_co_u32 s3, s22, s24
	s_cselect_b32 s7, -1, 0
	s_delay_alu instid0(SALU_CYCLE_1) | instskip(SKIP_2) | instid1(SALU_CYCLE_1)
	s_cmp_lg_u32 s7, 0
	s_add_co_ci_u32 s7, s23, s25
	s_ashr_i32 s22, s9, 31
	s_mov_b32 s23, s22
	s_delay_alu instid0(SALU_CYCLE_1) | instskip(NEXT) | instid1(SALU_CYCLE_1)
	s_add_nc_u64 s[24:25], s[8:9], s[22:23]
	s_xor_b64 s[24:25], s[24:25], s[22:23]
	s_delay_alu instid0(SALU_CYCLE_1)
	s_mul_hi_u32 s27, s24, s7
	s_mul_i32 s26, s24, s7
	s_mul_hi_u32 s10, s24, s3
	s_mul_hi_u32 s14, s25, s3
	s_mul_i32 s3, s25, s3
	s_add_nc_u64 s[26:27], s[10:11], s[26:27]
	s_mul_hi_u32 s9, s25, s7
	s_add_co_u32 s3, s26, s3
	s_add_co_ci_u32 s10, s27, s14
	s_mul_i32 s28, s25, s7
	s_add_co_ci_u32 s29, s9, 0
	s_delay_alu instid0(SALU_CYCLE_1) | instskip(NEXT) | instid1(SALU_CYCLE_1)
	s_add_nc_u64 s[26:27], s[10:11], s[28:29]
	s_and_b64 s[28:29], s[26:27], 0xffffffff00000000
	s_delay_alu instid0(SALU_CYCLE_1) | instskip(NEXT) | instid1(SALU_CYCLE_1)
	s_or_b32 s28, s28, s26
	s_mul_u64 s[26:27], s[12:13], s[28:29]
	s_add_nc_u64 s[30:31], s[28:29], 1
	s_sub_co_u32 s3, s24, s26
	s_cselect_b32 s7, -1, 0
	s_sub_co_i32 s9, s25, s27
	s_cmp_lg_u32 s7, 0
	s_add_nc_u64 s[34:35], s[28:29], 2
	s_sub_co_ci_u32 s9, s9, s13
	s_sub_co_u32 s10, s3, s12
	s_cselect_b32 s14, -1, 0
	s_delay_alu instid0(SALU_CYCLE_1) | instskip(SKIP_1) | instid1(SALU_CYCLE_1)
	s_cmp_lg_u32 s14, 0
	s_sub_co_ci_u32 s9, s9, 0
	s_cmp_ge_u32 s9, s13
	s_cselect_b32 s14, -1, 0
	s_cmp_ge_u32 s10, s12
	s_cselect_b32 s10, -1, 0
	s_cmp_eq_u32 s9, s13
	s_cselect_b32 s9, s10, s14
	s_delay_alu instid0(SALU_CYCLE_1) | instskip(SKIP_4) | instid1(SALU_CYCLE_1)
	s_cmp_lg_u32 s9, 0
	s_cselect_b32 s9, s34, s30
	s_cselect_b32 s10, s35, s31
	s_cmp_lg_u32 s7, 0
	s_sub_co_ci_u32 s7, s25, s27
	s_cmp_ge_u32 s7, s13
	s_cselect_b32 s14, -1, 0
	s_cmp_ge_u32 s3, s12
	s_cselect_b32 s3, -1, 0
	s_cmp_eq_u32 s7, s13
	s_cselect_b32 s3, s3, s14
	s_delay_alu instid0(SALU_CYCLE_1) | instskip(SKIP_3) | instid1(SALU_CYCLE_1)
	s_cmp_lg_u32 s3, 0
	s_cselect_b32 s13, s10, s29
	s_cselect_b32 s12, s9, s28
	s_xor_b64 s[22:23], s[22:23], 0
	s_xor_b64 s[12:13], s[12:13], s[22:23]
	s_delay_alu instid0(SALU_CYCLE_1)
	s_sub_nc_u64 s[24:25], s[12:13], s[22:23]
	s_load_b96 s[12:14], s[0:1], 0x44
	s_cbranch_execnz .LBB32_6
.LBB32_5:
	v_cvt_f32_u32_e32 v1, s16
	s_sub_co_i32 s7, 0, s16
	s_delay_alu instid0(VALU_DEP_1) | instskip(SKIP_1) | instid1(TRANS32_DEP_1)
	v_rcp_iflag_f32_e32 v1, v1
	v_nop
	v_mul_f32_e32 v1, 0x4f7ffffe, v1
	s_delay_alu instid0(VALU_DEP_1) | instskip(NEXT) | instid1(VALU_DEP_1)
	v_cvt_u32_f32_e32 v1, v1
	v_readfirstlane_b32 s3, v1
	s_mul_i32 s7, s7, s3
	s_delay_alu instid0(SALU_CYCLE_1) | instskip(NEXT) | instid1(SALU_CYCLE_1)
	s_mul_hi_u32 s7, s3, s7
	s_add_co_i32 s3, s3, s7
	s_delay_alu instid0(SALU_CYCLE_1) | instskip(NEXT) | instid1(SALU_CYCLE_1)
	s_mul_hi_u32 s3, s8, s3
	s_mul_i32 s7, s3, s16
	s_delay_alu instid0(SALU_CYCLE_1)
	s_sub_co_i32 s7, s8, s7
	s_add_co_i32 s8, s3, 1
	s_sub_co_i32 s9, s7, s16
	s_cmp_ge_u32 s7, s16
	s_cselect_b32 s3, s8, s3
	s_cselect_b32 s7, s9, s7
	s_add_co_i32 s8, s3, 1
	s_cmp_ge_u32 s7, s16
	s_cselect_b32 s24, s8, s3
.LBB32_6:
	s_delay_alu instid0(SALU_CYCLE_1)
	s_cmp_eq_u32 s20, s24
	s_mov_b64 s[8:9], 0xffffffff
	s_cselect_b32 s3, -1, 0
	s_and_b64 s[8:9], s[20:21], s[8:9]
	s_mov_b32 s23, 0
	s_wait_kmcnt 0x0
	s_mov_b32 s22, s12
	s_mov_b32 s25, s23
	s_mul_u64 s[10:11], s[8:9], s[22:23]
	s_delay_alu instid0(SALU_CYCLE_1) | instskip(SKIP_2) | instid1(SALU_CYCLE_1)
	s_add_co_i32 s7, s11, s20
	s_mul_u64 s[10:11], s[24:25], s[22:23]
	s_lshr_b32 s12, s7, s13
	s_mul_i32 s7, s12, s14
	s_delay_alu instid0(SALU_CYCLE_1) | instskip(SKIP_2) | instid1(SALU_CYCLE_1)
	s_cmp_eq_u32 s7, s20
	s_cselect_b32 s7, -1, 0
	s_add_co_i32 s10, s11, s24
	s_lshr_b32 s10, s10, s13
	s_delay_alu instid0(SALU_CYCLE_1)
	s_cmp_eq_u32 s12, s10
	s_mul_i32 s10, s10, s14
	s_cselect_b32 s11, -1, 0
	s_cmp_lg_u32 s10, s24
	s_cselect_b32 s10, -1, 0
	s_or_b32 s3, s3, s7
	s_and_b32 s10, s11, s10
	s_delay_alu instid0(SALU_CYCLE_1) | instskip(NEXT) | instid1(SALU_CYCLE_1)
	s_or_b32 s3, s3, s10
	s_and_b32 vcc_lo, exec_lo, s3
	s_cbranch_vccnz .LBB32_24
; %bb.7:
	s_load_b256 s[24:31], s[0:1], 0x20
	s_bfe_u32 s3, ttmp6, 0x40014
	s_bfe_u32 s33, ttmp6, 0x40010
	s_lshr_b32 s7, ttmp7, 16
	s_add_co_i32 s3, s3, 1
	s_and_b32 s21, ttmp7, 0xffff
	s_add_co_i32 s33, s33, 1
	s_bfe_u32 s10, ttmp6, 0x40008
	s_mul_i32 s3, s7, s3
	s_bfe_u32 s34, ttmp6, 0x40004
	s_mul_i32 s33, s21, s33
	s_mov_b32 s11, s23
	s_add_co_i32 s35, s10, s3
	s_add_co_i32 s34, s34, s33
	s_cmp_eq_u32 s15, 0
	s_cselect_b32 s3, s21, s34
	s_cselect_b32 s15, s7, s35
	s_wait_kmcnt 0x0
	s_mov_b32 s10, s24
	s_delay_alu instid0(SALU_CYCLE_1) | instskip(SKIP_2) | instid1(SALU_CYCLE_1)
	s_mul_u64 s[8:9], s[8:9], s[10:11]
	s_load_b32 s8, s[0:1], 0x40
	s_add_co_i32 s7, s9, s20
	s_lshr_b32 s7, s7, s25
	s_delay_alu instid0(SALU_CYCLE_1) | instskip(NEXT) | instid1(SALU_CYCLE_1)
	s_mul_i32 s9, s7, s26
	s_sub_co_i32 s9, s20, s9
	s_delay_alu instid0(SALU_CYCLE_1) | instskip(NEXT) | instid1(SALU_CYCLE_1)
	s_mul_hi_u32 s10, s9, s27
	s_add_co_i32 s10, s9, s10
	s_delay_alu instid0(SALU_CYCLE_1) | instskip(NEXT) | instid1(SALU_CYCLE_1)
	s_lshr_b32 s21, s10, s28
	s_mul_i32 s10, s21, s29
	s_delay_alu instid0(SALU_CYCLE_1) | instskip(NEXT) | instid1(SALU_CYCLE_1)
	s_sub_co_i32 s10, s9, s10
	s_mul_hi_u32 s9, s10, s30
	s_delay_alu instid0(SALU_CYCLE_1) | instskip(NEXT) | instid1(SALU_CYCLE_1)
	s_add_co_i32 s9, s10, s9
	s_lshr_b32 s25, s9, s31
	s_mov_b32 s9, s23
	s_wait_kmcnt 0x0
	s_mul_i32 s8, s25, s8
	s_lshl_b32 s25, s25, 2
	s_sub_co_i32 s8, s10, s8
	s_delay_alu instid0(SALU_CYCLE_1) | instskip(NEXT) | instid1(SALU_CYCLE_1)
	s_mul_u64 s[10:11], s[8:9], s[22:23]
	s_add_co_i32 s8, s8, s11
	s_delay_alu instid0(SALU_CYCLE_1) | instskip(NEXT) | instid1(SALU_CYCLE_1)
	s_lshr_b32 s24, s8, s13
	s_add_co_i32 s24, s24, s3
	s_delay_alu instid0(SALU_CYCLE_1) | instskip(SKIP_2) | instid1(SALU_CYCLE_1)
	s_cmp_lt_i32 s24, s4
	s_cselect_b32 s8, -1, 0
	s_add_co_i32 s25, s25, s15
	s_cmp_lt_i32 s25, s6
	s_cselect_b32 s9, -1, 0
	s_delay_alu instid0(SALU_CYCLE_1) | instskip(NEXT) | instid1(SALU_CYCLE_1)
	s_and_b32 s8, s8, s9
	s_and_not1_b32 vcc_lo, exec_lo, s8
	s_cbranch_vccnz .LBB32_24
; %bb.8:
	s_load_b128 s[8:11], s[0:1], 0x0
	s_mul_i32 s7, s7, s4
	s_mul_i32 s21, s21, s6
	s_wait_xcnt 0x0
	s_add_co_i32 s0, s24, s7
	s_add_co_i32 s1, s25, s21
	s_mul_i32 s0, s0, s5
	s_add_co_i32 s4, s3, s2
	s_add_co_i32 s1, s1, s0
	s_lshl_b32 s4, s4, 2
	v_mad_u32 v2, 0x60, s1, v0
	s_add_nc_u64 s[0:1], s[16:17], 0
	v_cvt_f32_u32_e32 v4, s16
	s_xor_b64 s[6:7], s[0:1], 0
	s_add_co_i32 s0, s4, s15
	s_cvt_f32_u32 s4, s6
	s_cvt_f32_u32 s5, s7
	s_ashr_i32 s1, s0, 31
	v_rcp_iflag_f32_e32 v4, v4
	s_lshl_b64 s[0:1], s[0:1], 3
	s_fmamk_f32 s4, s5, 0x4f800000, s4
	s_wait_kmcnt 0x0
	global_load_b32 v1, v2, s[8:9] scale_offset
	s_add_nc_u64 s[0:1], s[10:11], s[0:1]
	s_lshl_b32 s24, s16, 4
	s_load_b64 s[28:29], s[0:1], 0x0
	s_wait_xcnt 0x0
	v_s_rcp_f32 s0, s4
	s_lshl_b32 s1, s3, 2
	s_mov_b32 s25, 0
	s_add_co_i32 s4, s1, s15
	v_dual_mul_f32 v4, 0x4f7ffffe, v4 :: v_dual_ashrrev_i32 v3, 31, v2
	v_mad_u32 v6, 0x60, s4, v0
	s_add_co_i32 s36, s2, -1
	s_delay_alu instid0(TRANS32_DEP_1)
	s_mul_f32 s5, s0, 0x5f7ffffc
	s_lshl_b64 s[0:1], s[24:25], 2
	v_lshl_add_u64 v[2:3], v[2:3], 2, s[8:9]
	s_add_nc_u64 s[26:27], s[10:11], s[0:1]
	s_mul_f32 s17, s5, 0x2f800000
	v_cvt_u32_f32_e32 v7, v4
	s_mov_b64 s[8:9], 0xffffffff
	s_sub_nc_u64 s[34:35], 0, s[6:7]
	s_trunc_f32 s0, s17
	s_add_co_i32 s17, s16, s3
	s_wait_kmcnt 0x0
	v_mov_b32_e32 v0, s29
	s_fmamk_f32 s1, s0, 0xcf800000, s5
	s_cvt_u32_f32 s31, s0
	s_delay_alu instid0(SALU_CYCLE_2)
	s_cvt_u32_f32 s30, s1
.LBB32_9:                               ; =>This Inner Loop Header: Depth=1
	s_ashr_i32 s37, s36, 31
                                        ; implicit-def: $sgpr40_sgpr41
	s_delay_alu instid0(SALU_CYCLE_1) | instskip(NEXT) | instid1(SALU_CYCLE_1)
	s_mul_u64 s[0:1], s[36:37], s[18:19]
	s_and_b64 s[2:3], s[0:1], 0xffffffff00000000
	s_delay_alu instid0(SALU_CYCLE_1)
	s_cmp_lg_u64 s[2:3], 0
	s_mov_b32 s2, -1
	s_cbranch_scc0 .LBB32_11
; %bb.10:                               ;   in Loop: Header=BB32_9 Depth=1
	s_mul_u64 s[2:3], s[34:35], s[30:31]
	s_delay_alu instid0(SALU_CYCLE_1)
	s_mul_hi_u32 s5, s30, s3
	s_mul_i32 s4, s30, s3
	s_mul_hi_u32 s24, s30, s2
	s_mul_hi_u32 s21, s31, s2
	s_add_nc_u64 s[4:5], s[24:25], s[4:5]
	s_mul_i32 s2, s31, s2
	s_mul_hi_u32 s29, s31, s3
	s_add_co_u32 s2, s4, s2
	s_add_co_ci_u32 s24, s5, s21
	s_add_co_ci_u32 s5, s29, 0
	s_mul_i32 s4, s31, s3
	s_delay_alu instid0(SALU_CYCLE_1) | instskip(NEXT) | instid1(SALU_CYCLE_1)
	s_add_nc_u64 s[2:3], s[24:25], s[4:5]
	s_add_co_u32 s2, s30, s2
	s_cselect_b32 s4, -1, 0
	s_delay_alu instid0(SALU_CYCLE_1) | instskip(SKIP_1) | instid1(SALU_CYCLE_1)
	s_cmp_lg_u32 s4, 0
	s_add_co_ci_u32 s3, s31, s3
	s_mul_u64 s[4:5], s[34:35], s[2:3]
	s_delay_alu instid0(SALU_CYCLE_1)
	s_mul_hi_u32 s39, s2, s5
	s_mul_i32 s38, s2, s5
	s_mul_hi_u32 s24, s2, s4
	s_mul_hi_u32 s21, s3, s4
	s_mul_i32 s4, s3, s4
	s_add_nc_u64 s[38:39], s[24:25], s[38:39]
	s_mul_hi_u32 s29, s3, s5
	s_add_co_u32 s4, s38, s4
	s_add_co_ci_u32 s24, s39, s21
	s_mul_i32 s4, s3, s5
	s_add_co_ci_u32 s5, s29, 0
	s_delay_alu instid0(SALU_CYCLE_1) | instskip(NEXT) | instid1(SALU_CYCLE_1)
	s_add_nc_u64 s[4:5], s[24:25], s[4:5]
	s_add_co_u32 s21, s2, s4
	s_cselect_b32 s2, -1, 0
	s_delay_alu instid0(SALU_CYCLE_1) | instskip(SKIP_2) | instid1(SALU_CYCLE_1)
	s_cmp_lg_u32 s2, 0
	s_add_co_ci_u32 s29, s3, s5
	s_ashr_i32 s2, s1, 31
	s_mov_b32 s3, s2
	s_delay_alu instid0(SALU_CYCLE_1) | instskip(NEXT) | instid1(SALU_CYCLE_1)
	s_add_nc_u64 s[4:5], s[0:1], s[2:3]
	s_xor_b64 s[4:5], s[4:5], s[2:3]
	s_delay_alu instid0(SALU_CYCLE_1)
	s_mul_hi_u32 s39, s4, s29
	s_mul_i32 s38, s4, s29
	s_mul_hi_u32 s24, s4, s21
	s_mul_hi_u32 s33, s5, s21
	s_mul_i32 s21, s5, s21
	s_add_nc_u64 s[38:39], s[24:25], s[38:39]
	s_mul_hi_u32 s1, s5, s29
	s_add_co_u32 s21, s38, s21
	s_add_co_ci_u32 s24, s39, s33
	s_mul_i32 s40, s5, s29
	s_add_co_ci_u32 s41, s1, 0
	s_delay_alu instid0(SALU_CYCLE_1) | instskip(NEXT) | instid1(SALU_CYCLE_1)
	s_add_nc_u64 s[38:39], s[24:25], s[40:41]
	s_and_b64 s[40:41], s[38:39], 0xffffffff00000000
	s_delay_alu instid0(SALU_CYCLE_1) | instskip(NEXT) | instid1(SALU_CYCLE_1)
	s_or_b32 s40, s40, s38
	s_mul_u64 s[38:39], s[6:7], s[40:41]
	s_add_nc_u64 s[42:43], s[40:41], 1
	s_sub_co_u32 s1, s4, s38
	s_cselect_b32 s4, -1, 0
	s_sub_co_i32 s21, s5, s39
	s_cmp_lg_u32 s4, 0
	s_add_nc_u64 s[44:45], s[40:41], 2
	s_sub_co_ci_u32 s21, s21, s7
	s_sub_co_u32 s24, s1, s6
	s_cselect_b32 s29, -1, 0
	s_delay_alu instid0(SALU_CYCLE_1) | instskip(SKIP_1) | instid1(SALU_CYCLE_1)
	s_cmp_lg_u32 s29, 0
	s_sub_co_ci_u32 s21, s21, 0
	s_cmp_ge_u32 s21, s7
	s_cselect_b32 s29, -1, 0
	s_cmp_ge_u32 s24, s6
	s_cselect_b32 s24, -1, 0
	s_cmp_eq_u32 s21, s7
	s_cselect_b32 s21, s24, s29
	s_delay_alu instid0(SALU_CYCLE_1) | instskip(SKIP_4) | instid1(SALU_CYCLE_1)
	s_cmp_lg_u32 s21, 0
	s_cselect_b32 s21, s44, s42
	s_cselect_b32 s24, s45, s43
	s_cmp_lg_u32 s4, 0
	s_sub_co_ci_u32 s4, s5, s39
	s_cmp_ge_u32 s4, s7
	s_cselect_b32 s5, -1, 0
	s_cmp_ge_u32 s1, s6
	s_cselect_b32 s1, -1, 0
	s_cmp_eq_u32 s4, s7
	s_cselect_b32 s1, s1, s5
	s_delay_alu instid0(SALU_CYCLE_1) | instskip(SKIP_3) | instid1(SALU_CYCLE_1)
	s_cmp_lg_u32 s1, 0
	s_cselect_b32 s5, s24, s41
	s_cselect_b32 s4, s21, s40
	s_xor_b64 s[2:3], s[2:3], 0
	s_xor_b64 s[4:5], s[4:5], s[2:3]
	s_delay_alu instid0(SALU_CYCLE_1)
	s_sub_nc_u64 s[40:41], s[4:5], s[2:3]
	s_mov_b32 s2, 0
.LBB32_11:                              ;   in Loop: Header=BB32_9 Depth=1
	s_delay_alu instid0(SALU_CYCLE_1)
	s_and_not1_b32 vcc_lo, exec_lo, s2
	s_cbranch_vccnz .LBB32_13
; %bb.12:                               ;   in Loop: Header=BB32_9 Depth=1
	v_readfirstlane_b32 s1, v7
	s_sub_co_i32 s2, 0, s16
	s_delay_alu instid0(SALU_CYCLE_1) | instskip(NEXT) | instid1(SALU_CYCLE_1)
	s_mul_i32 s2, s2, s1
	s_mul_hi_u32 s2, s1, s2
	s_delay_alu instid0(SALU_CYCLE_1) | instskip(NEXT) | instid1(SALU_CYCLE_1)
	s_add_co_i32 s1, s1, s2
	s_mul_hi_u32 s1, s0, s1
	s_delay_alu instid0(SALU_CYCLE_1) | instskip(NEXT) | instid1(SALU_CYCLE_1)
	s_mul_i32 s2, s1, s16
	s_sub_co_i32 s0, s0, s2
	s_add_co_i32 s2, s1, 1
	s_sub_co_i32 s3, s0, s16
	s_cmp_ge_u32 s0, s16
	s_cselect_b32 s1, s2, s1
	s_cselect_b32 s0, s3, s0
	s_add_co_i32 s2, s1, 1
	s_cmp_ge_u32 s0, s16
	s_cselect_b32 s24, s2, s1
	s_delay_alu instid0(SALU_CYCLE_1)
	s_mov_b64 s[40:41], s[24:25]
.LBB32_13:                              ;   in Loop: Header=BB32_9 Depth=1
	s_delay_alu instid0(SALU_CYCLE_1)
	s_cmp_lg_u32 s20, s40
	s_mov_b32 s0, -1
                                        ; implicit-def: $vgpr4_vgpr5
                                        ; implicit-def: $sgpr29
                                        ; implicit-def: $sgpr21
                                        ; implicit-def: $sgpr24
                                        ; implicit-def: $sgpr33
	s_cbranch_scc0 .LBB32_18
; %bb.14:                               ;   in Loop: Header=BB32_9 Depth=1
	s_add_co_i32 s0, s17, s36
	v_max_num_f32_e64 v4, s28, s28
	s_lshl_b32 s0, s0, 2
	s_mov_b32 s33, s20
	s_add_co_i32 s0, s0, s15
	s_load_b64 s[38:39], s[10:11], s0 offset:0x0 scale_offset
	s_wait_xcnt 0x0
	v_readfirstlane_b32 s0, v4
	s_wait_kmcnt 0x0
	v_max_num_f32_e64 v5, s38, s38
	s_delay_alu instid0(VALU_DEP_1) | instskip(SKIP_1) | instid1(SALU_CYCLE_3)
	v_readfirstlane_b32 s1, v5
	s_max_num_f32 s21, s0, s1
	s_sub_f32 s37, s28, s21
	s_sub_f32 s38, s38, s21
	s_delay_alu instid0(SALU_CYCLE_2)
	s_cmp_nlt_f32 s37, 0xc2ce8ed0
	s_cselect_b32 s1, -1, 0
	s_cmp_ngt_f32 s37, 0x42b17218
	s_cselect_b32 s2, -1, 0
	s_cmp_ge_f32 s37, 0xc1a00000
	s_cselect_b32 s0, -1, 0
	s_cmp_nlt_f32 s38, 0xc2ce8ed0
	s_cselect_b32 s3, -1, 0
	s_cmp_ngt_f32 s38, 0x42b17218
	s_cselect_b32 s4, -1, 0
	s_cmp_ge_f32 s38, 0xc1a00000
	s_cselect_b32 s5, -1, 0
	s_and_b64 s[42:43], s[40:41], s[8:9]
	s_delay_alu instid0(SALU_CYCLE_1) | instskip(NEXT) | instid1(SALU_CYCLE_1)
	s_mul_u64 s[42:43], s[42:43], s[22:23]
	s_add_co_i32 s24, s43, s40
	s_delay_alu instid0(SALU_CYCLE_1) | instskip(NEXT) | instid1(SALU_CYCLE_1)
	s_lshr_b32 s24, s24, s13
	s_mul_i32 s29, s24, s14
	s_delay_alu instid0(SALU_CYCLE_1) | instskip(SKIP_3) | instid1(SALU_CYCLE_1)
	s_cmp_eq_u32 s29, s40
	s_cselect_b32 s29, -1, 0
	s_cmp_lt_u32 s24, s12
	s_cselect_b32 s24, -1, 0
	s_or_b32 s24, s24, s29
	s_mov_b32 s29, -1
	s_and_b32 vcc_lo, exec_lo, s24
	s_mov_b32 s24, s36
	s_cbranch_vccnz .LBB32_16
; %bb.15:                               ;   in Loop: Header=BB32_9 Depth=1
	s_add_co_i32 s24, s36, -1
	s_mov_b32 s29, 0
	s_mov_b32 s33, s40
.LBB32_16:                              ;   in Loop: Header=BB32_9 Depth=1
	v_mad_u32 v4, 0x180, s36, v6
	s_mul_f32 s41, s37, 0x3fb8aa3b
	s_mul_f32 s40, s38, 0x3fb8aa3b
	s_delay_alu instid0(SALU_CYCLE_2)
	s_xor_b32 s43, s41, 0x80000000
	s_rndne_f32 s45, s41
	s_fmamk_f32 s43, s37, 0x3fb8aa3b, s43
	s_xor_b32 s42, s40, 0x80000000
	s_rndne_f32 s44, s40
	s_sub_f32 s41, s41, s45
	global_load_b32 v5, v4, s[26:27] scale_offset
	s_fmamk_f32 s37, s37, 0x32a5705f, s43
	s_fmamk_f32 s42, s38, 0x3fb8aa3b, s42
	s_sub_f32 s40, s40, s44
	s_delay_alu instid0(SALU_CYCLE_1) | instskip(NEXT) | instid1(SALU_CYCLE_1)
	s_add_f32 s37, s41, s37
	s_fmamk_f32 s38, s38, 0x32a5705f, s42
	s_cvt_i32_f32 s41, s45
	s_delay_alu instid0(SALU_CYCLE_1) | instskip(NEXT) | instid1(SALU_CYCLE_1)
	v_s_exp_f32 s37, s37
	s_add_f32 s38, s40, s38
	s_cvt_i32_f32 s40, s44
	s_delay_alu instid0(SALU_CYCLE_2) | instskip(NEXT) | instid1(TRANS32_DEP_2)
	v_s_exp_f32 s38, s38
	v_ldexp_f32 v8, s37, s41
	s_wait_xcnt 0x0
	s_delay_alu instid0(TRANS32_DEP_1) | instskip(NEXT) | instid1(VALU_DEP_2)
	v_ldexp_f32 v4, s38, s40
	v_cndmask_b32_e64 v8, 0, v8, s1
	s_delay_alu instid0(VALU_DEP_1) | instskip(NEXT) | instid1(VALU_DEP_1)
	v_cndmask_b32_e64 v9, 0x7f800000, v8, s2
	v_dual_cndmask_b32 v4, 0, v4, s3 :: v_dual_cndmask_b32 v10, 0, v9, s0
	s_delay_alu instid0(VALU_DEP_1) | instskip(NEXT) | instid1(VALU_DEP_1)
	v_cndmask_b32_e64 v4, 0x7f800000, v4, s4
	v_dual_cndmask_b32 v8, 0, v4, s5 :: v_dual_mov_b32 v4, s39
	s_wait_loadcnt 0x0
	s_delay_alu instid0(VALU_DEP_1) | instskip(NEXT) | instid1(VALU_DEP_1)
	v_pk_mul_f32 v[4:5], v[4:5], v[8:9] op_sel_hi:[1,0]
	v_pk_fma_f32 v[4:5], v[0:1], v[10:11], v[4:5] op_sel_hi:[1,0,1]
	s_cbranch_execz .LBB32_19
.LBB32_17:                              ;   in Loop: Header=BB32_9 Depth=1
	s_and_not1_b32 vcc_lo, exec_lo, s29
	s_cbranch_vccnz .LBB32_20
	s_branch .LBB32_23
.LBB32_18:                              ;   in Loop: Header=BB32_9 Depth=1
	s_and_not1_b32 vcc_lo, exec_lo, s0
	s_cbranch_vccnz .LBB32_17
.LBB32_19:                              ;   in Loop: Header=BB32_9 Depth=1
	s_wait_loadcnt 0x0
	v_mov_b64_e32 v[4:5], v[0:1]
	s_add_co_i32 s24, s36, -1
	s_mov_b32 s33, s20
	s_mov_b32 s21, s28
	s_cbranch_execz .LBB32_23
.LBB32_20:                              ;   in Loop: Header=BB32_9 Depth=1
	s_wait_loadcnt 0x0
	s_delay_alu instid0(VALU_DEP_1)
	v_mov_b64_e32 v[0:1], v[4:5]
	s_mov_b32 s20, s33
	s_mov_b32 s36, s24
	;; [unrolled: 1-line block ×3, first 2 shown]
	s_branch .LBB32_9
.LBB32_21:
                                        ; implicit-def: $sgpr20_sgpr21
	s_branch .LBB32_2
.LBB32_22:
                                        ; implicit-def: $sgpr24_sgpr25
	s_load_b96 s[12:14], s[0:1], 0x44
	s_branch .LBB32_5
.LBB32_23:
	s_delay_alu instid0(VALU_DEP_1) | instskip(SKIP_1) | instid1(VALU_DEP_1)
	v_div_scale_f32 v0, null, v4, v4, v5
	s_wait_loadcnt 0x0
	v_rcp_f32_e32 v1, v0
	v_nop
	s_delay_alu instid0(TRANS32_DEP_1) | instskip(NEXT) | instid1(VALU_DEP_1)
	v_fma_f32 v6, -v0, v1, 1.0
	v_fmac_f32_e32 v1, v6, v1
	v_div_scale_f32 v6, vcc_lo, v5, v4, v5
	s_delay_alu instid0(VALU_DEP_1) | instskip(NEXT) | instid1(VALU_DEP_1)
	v_mul_f32_e32 v7, v6, v1
	v_fma_f32 v8, -v0, v7, v6
	s_delay_alu instid0(VALU_DEP_1) | instskip(NEXT) | instid1(VALU_DEP_1)
	v_fmac_f32_e32 v7, v8, v1
	v_fma_f32 v0, -v0, v7, v6
	s_delay_alu instid0(VALU_DEP_1) | instskip(NEXT) | instid1(VALU_DEP_1)
	v_div_fmas_f32 v0, v0, v1, v7
	v_div_fixup_f32 v0, v0, v4, v5
	global_store_b32 v[2:3], v0, off
.LBB32_24:
	s_endpgm
	.section	.rodata,"a",@progbits
	.p2align	6, 0x0
	.amdhsa_kernel _ZL33flash_attn_stream_k_fixup_generalILi96ELi1ELi4EEvPfPK15HIP_vector_typeIfLj2EEiiiiS1_IjLj3EES5_S5_S5_
		.amdhsa_group_segment_fixed_size 0
		.amdhsa_private_segment_fixed_size 0
		.amdhsa_kernarg_size 336
		.amdhsa_user_sgpr_count 2
		.amdhsa_user_sgpr_dispatch_ptr 0
		.amdhsa_user_sgpr_queue_ptr 0
		.amdhsa_user_sgpr_kernarg_segment_ptr 1
		.amdhsa_user_sgpr_dispatch_id 0
		.amdhsa_user_sgpr_kernarg_preload_length 0
		.amdhsa_user_sgpr_kernarg_preload_offset 0
		.amdhsa_user_sgpr_private_segment_size 0
		.amdhsa_wavefront_size32 1
		.amdhsa_uses_dynamic_stack 0
		.amdhsa_enable_private_segment 0
		.amdhsa_system_sgpr_workgroup_id_x 1
		.amdhsa_system_sgpr_workgroup_id_y 1
		.amdhsa_system_sgpr_workgroup_id_z 1
		.amdhsa_system_sgpr_workgroup_info 0
		.amdhsa_system_vgpr_workitem_id 0
		.amdhsa_next_free_vgpr 12
		.amdhsa_next_free_sgpr 46
		.amdhsa_named_barrier_count 0
		.amdhsa_reserve_vcc 1
		.amdhsa_float_round_mode_32 0
		.amdhsa_float_round_mode_16_64 0
		.amdhsa_float_denorm_mode_32 3
		.amdhsa_float_denorm_mode_16_64 3
		.amdhsa_fp16_overflow 0
		.amdhsa_memory_ordered 1
		.amdhsa_forward_progress 1
		.amdhsa_inst_pref_size 27
		.amdhsa_round_robin_scheduling 0
		.amdhsa_exception_fp_ieee_invalid_op 0
		.amdhsa_exception_fp_denorm_src 0
		.amdhsa_exception_fp_ieee_div_zero 0
		.amdhsa_exception_fp_ieee_overflow 0
		.amdhsa_exception_fp_ieee_underflow 0
		.amdhsa_exception_fp_ieee_inexact 0
		.amdhsa_exception_int_div_zero 0
	.end_amdhsa_kernel
	.section	.text._ZL33flash_attn_stream_k_fixup_generalILi96ELi1ELi4EEvPfPK15HIP_vector_typeIfLj2EEiiiiS1_IjLj3EES5_S5_S5_,"axG",@progbits,_ZL33flash_attn_stream_k_fixup_generalILi96ELi1ELi4EEvPfPK15HIP_vector_typeIfLj2EEiiiiS1_IjLj3EES5_S5_S5_,comdat
.Lfunc_end32:
	.size	_ZL33flash_attn_stream_k_fixup_generalILi96ELi1ELi4EEvPfPK15HIP_vector_typeIfLj2EEiiiiS1_IjLj3EES5_S5_S5_, .Lfunc_end32-_ZL33flash_attn_stream_k_fixup_generalILi96ELi1ELi4EEvPfPK15HIP_vector_typeIfLj2EEiiiiS1_IjLj3EES5_S5_S5_
                                        ; -- End function
	.set _ZL33flash_attn_stream_k_fixup_generalILi96ELi1ELi4EEvPfPK15HIP_vector_typeIfLj2EEiiiiS1_IjLj3EES5_S5_S5_.num_vgpr, 12
	.set _ZL33flash_attn_stream_k_fixup_generalILi96ELi1ELi4EEvPfPK15HIP_vector_typeIfLj2EEiiiiS1_IjLj3EES5_S5_S5_.num_agpr, 0
	.set _ZL33flash_attn_stream_k_fixup_generalILi96ELi1ELi4EEvPfPK15HIP_vector_typeIfLj2EEiiiiS1_IjLj3EES5_S5_S5_.numbered_sgpr, 46
	.set _ZL33flash_attn_stream_k_fixup_generalILi96ELi1ELi4EEvPfPK15HIP_vector_typeIfLj2EEiiiiS1_IjLj3EES5_S5_S5_.num_named_barrier, 0
	.set _ZL33flash_attn_stream_k_fixup_generalILi96ELi1ELi4EEvPfPK15HIP_vector_typeIfLj2EEiiiiS1_IjLj3EES5_S5_S5_.private_seg_size, 0
	.set _ZL33flash_attn_stream_k_fixup_generalILi96ELi1ELi4EEvPfPK15HIP_vector_typeIfLj2EEiiiiS1_IjLj3EES5_S5_S5_.uses_vcc, 1
	.set _ZL33flash_attn_stream_k_fixup_generalILi96ELi1ELi4EEvPfPK15HIP_vector_typeIfLj2EEiiiiS1_IjLj3EES5_S5_S5_.uses_flat_scratch, 0
	.set _ZL33flash_attn_stream_k_fixup_generalILi96ELi1ELi4EEvPfPK15HIP_vector_typeIfLj2EEiiiiS1_IjLj3EES5_S5_S5_.has_dyn_sized_stack, 0
	.set _ZL33flash_attn_stream_k_fixup_generalILi96ELi1ELi4EEvPfPK15HIP_vector_typeIfLj2EEiiiiS1_IjLj3EES5_S5_S5_.has_recursion, 0
	.set _ZL33flash_attn_stream_k_fixup_generalILi96ELi1ELi4EEvPfPK15HIP_vector_typeIfLj2EEiiiiS1_IjLj3EES5_S5_S5_.has_indirect_call, 0
	.section	.AMDGPU.csdata,"",@progbits
; Kernel info:
; codeLenInByte = 3348
; TotalNumSgprs: 48
; NumVgprs: 12
; ScratchSize: 0
; MemoryBound: 0
; FloatMode: 240
; IeeeMode: 1
; LDSByteSize: 0 bytes/workgroup (compile time only)
; SGPRBlocks: 0
; VGPRBlocks: 0
; NumSGPRsForWavesPerEU: 48
; NumVGPRsForWavesPerEU: 12
; NamedBarCnt: 0
; Occupancy: 16
; WaveLimiterHint : 0
; COMPUTE_PGM_RSRC2:SCRATCH_EN: 0
; COMPUTE_PGM_RSRC2:USER_SGPR: 2
; COMPUTE_PGM_RSRC2:TRAP_HANDLER: 0
; COMPUTE_PGM_RSRC2:TGID_X_EN: 1
; COMPUTE_PGM_RSRC2:TGID_Y_EN: 1
; COMPUTE_PGM_RSRC2:TGID_Z_EN: 1
; COMPUTE_PGM_RSRC2:TIDIG_COMP_CNT: 0
	.section	.text._ZL15flash_attn_tileILi96ELi96ELi32ELi2ELb0EEvPKcS1_S1_S1_S1_PKiPfP15HIP_vector_typeIfLj2EEffffjfiS5_IjLj3EEiiiiiiiiiiiliiliiiiil,"axG",@progbits,_ZL15flash_attn_tileILi96ELi96ELi32ELi2ELb0EEvPKcS1_S1_S1_S1_PKiPfP15HIP_vector_typeIfLj2EEffffjfiS5_IjLj3EEiiiiiiiiiiiliiliiiiil,comdat
	.globl	_ZL15flash_attn_tileILi96ELi96ELi32ELi2ELb0EEvPKcS1_S1_S1_S1_PKiPfP15HIP_vector_typeIfLj2EEffffjfiS5_IjLj3EEiiiiiiiiiiiliiliiiiil ; -- Begin function _ZL15flash_attn_tileILi96ELi96ELi32ELi2ELb0EEvPKcS1_S1_S1_S1_PKiPfP15HIP_vector_typeIfLj2EEffffjfiS5_IjLj3EEiiiiiiiiiiiliiliiiiil
	.p2align	8
	.type	_ZL15flash_attn_tileILi96ELi96ELi32ELi2ELb0EEvPKcS1_S1_S1_S1_PKiPfP15HIP_vector_typeIfLj2EEffffjfiS5_IjLj3EEiiiiiiiiiiiliiliiiiil,@function
_ZL15flash_attn_tileILi96ELi96ELi32ELi2ELb0EEvPKcS1_S1_S1_S1_PKiPfP15HIP_vector_typeIfLj2EEffffjfiS5_IjLj3EEiiiiiiiiiiiliiliiiiil: ; @_ZL15flash_attn_tileILi96ELi96ELi32ELi2ELb0EEvPKcS1_S1_S1_S1_PKiPfP15HIP_vector_typeIfLj2EEffffjfiS5_IjLj3EEiiiiiiiiiiiliiliiiiil
; %bb.0:
	s_clause 0x1
	s_load_b128 s[36:39], s[0:1], 0x5c
	s_load_b64 s[42:43], s[0:1], 0x80
	s_bfe_u32 s5, ttmp6, 0x40014
	s_lshr_b32 s4, ttmp7, 16
	s_add_co_i32 s5, s5, 1
	s_bfe_u32 s6, ttmp6, 0x40008
	s_mul_i32 s5, s4, s5
	s_getreg_b32 s15, hwreg(HW_REG_IB_STS2, 6, 4)
	s_add_co_i32 s6, s6, s5
	s_load_b512 s[16:31], s[0:1], 0x0
	s_mov_b64 s[44:45], 0
	s_wait_kmcnt 0x0
	s_lshr_b32 s2, s39, 31
	s_delay_alu instid0(SALU_CYCLE_1) | instskip(NEXT) | instid1(SALU_CYCLE_1)
	s_add_co_i32 s2, s39, s2
	s_ashr_i32 s2, s2, 1
	s_delay_alu instid0(SALU_CYCLE_1) | instskip(SKIP_1) | instid1(SALU_CYCLE_2)
	s_cvt_f32_u32 s3, s2
	s_sub_co_i32 s7, 0, s2
	v_rcp_iflag_f32_e32 v1, s3
	v_nop
	s_delay_alu instid0(TRANS32_DEP_1) | instskip(SKIP_1) | instid1(SALU_CYCLE_3)
	v_readfirstlane_b32 s3, v1
	s_mul_f32 s3, s3, 0x4f7ffffe
	s_cvt_u32_f32 s3, s3
	s_delay_alu instid0(SALU_CYCLE_3) | instskip(NEXT) | instid1(SALU_CYCLE_1)
	s_mul_i32 s7, s7, s3
	s_mul_hi_u32 s7, s3, s7
	s_delay_alu instid0(SALU_CYCLE_1) | instskip(SKIP_2) | instid1(SALU_CYCLE_1)
	s_add_co_i32 s3, s3, s7
	s_cmp_eq_u32 s15, 0
	s_cselect_b32 s4, s4, s6
	s_mul_hi_u32 s3, s4, s3
	s_delay_alu instid0(SALU_CYCLE_1) | instskip(SKIP_2) | instid1(SALU_CYCLE_1)
	s_mul_i32 s5, s3, s2
	s_add_co_i32 s6, s3, 1
	s_sub_co_i32 s5, s4, s5
	s_sub_co_i32 s7, s5, s2
	s_cmp_ge_u32 s5, s2
	s_cselect_b32 s3, s6, s3
	s_cselect_b32 s5, s7, s5
	s_add_co_i32 s6, s3, 1
	s_cmp_ge_u32 s5, s2
	s_cselect_b32 s40, s6, s3
	s_abs_i32 s2, s43
	s_abs_i32 s7, s39
	s_cvt_f32_u32 s3, s2
	s_sub_co_i32 s5, 0, s2
	s_lshl_b32 s4, s4, 1
	s_mul_i32 s6, s40, s39
	v_rcp_iflag_f32_e32 v1, s3
	s_sub_co_i32 s34, s4, s6
	s_xor_b32 s4, s39, s43
	s_delay_alu instid0(SALU_CYCLE_1) | instskip(SKIP_1) | instid1(TRANS32_DEP_1)
	s_ashr_i32 s4, s4, 31
	v_nop
	v_readfirstlane_b32 s3, v1
	s_mul_f32 s3, s3, 0x4f7ffffe
	s_delay_alu instid0(SALU_CYCLE_3) | instskip(NEXT) | instid1(SALU_CYCLE_3)
	s_cvt_u32_f32 s3, s3
	s_mul_i32 s5, s5, s3
	s_delay_alu instid0(SALU_CYCLE_1) | instskip(NEXT) | instid1(SALU_CYCLE_1)
	s_mul_hi_u32 s5, s3, s5
	s_add_co_i32 s3, s3, s5
	s_delay_alu instid0(SALU_CYCLE_1) | instskip(NEXT) | instid1(SALU_CYCLE_1)
	s_mul_hi_u32 s3, s7, s3
	s_mul_i32 s5, s3, s2
	s_add_co_i32 s6, s3, 1
	s_sub_co_i32 s5, s7, s5
	s_delay_alu instid0(SALU_CYCLE_1)
	s_sub_co_i32 s7, s5, s2
	s_cmp_ge_u32 s5, s2
	s_cselect_b32 s3, s6, s3
	s_cselect_b32 s5, s7, s5
	s_add_co_i32 s6, s3, 1
	s_cmp_ge_u32 s5, s2
	s_mov_b32 s7, 0
	s_cselect_b32 s2, s6, s3
	s_delay_alu instid0(SALU_CYCLE_1) | instskip(SKIP_2) | instid1(SALU_CYCLE_1)
	s_xor_b32 s5, s2, s4
	s_load_b64 s[2:3], s[0:1], 0xb8
	s_sub_co_i32 s9, s5, s4
	s_abs_i32 s35, s9
	s_cmp_eq_u64 s[22:23], 0
	s_cvt_f32_u32 s4, s35
	s_delay_alu instid0(SALU_CYCLE_3) | instskip(SKIP_1) | instid1(TRANS32_DEP_1)
	v_rcp_iflag_f32_e32 v1, s4
	v_nop
	v_readfirstlane_b32 s14, v1
	s_cbranch_scc1 .LBB33_2
; %bb.1:
	s_wait_kmcnt 0x0
	s_abs_i32 s2, s2
	s_abs_i32 s6, s40
	s_cvt_f32_u32 s4, s2
	s_sub_co_i32 s5, 0, s2
	s_delay_alu instid0(SALU_CYCLE_2) | instskip(SKIP_1) | instid1(TRANS32_DEP_1)
	v_rcp_iflag_f32_e32 v1, s4
	v_nop
	v_readfirstlane_b32 s4, v1
	s_mul_f32 s4, s4, 0x4f7ffffe
	s_delay_alu instid0(SALU_CYCLE_3) | instskip(NEXT) | instid1(SALU_CYCLE_3)
	s_cvt_u32_f32 s4, s4
	s_mul_i32 s5, s5, s4
	s_delay_alu instid0(SALU_CYCLE_1) | instskip(NEXT) | instid1(SALU_CYCLE_1)
	s_mul_hi_u32 s5, s4, s5
	s_add_co_i32 s4, s4, s5
	s_delay_alu instid0(SALU_CYCLE_1) | instskip(SKIP_2) | instid1(SALU_CYCLE_1)
	s_mul_hi_u32 s8, s6, s4
	s_load_b64 s[4:5], s[0:1], 0xc8
	s_mul_i32 s8, s8, s2
	s_sub_co_i32 s6, s6, s8
	s_ashr_i32 s8, s40, 31
	s_sub_co_i32 s10, s6, s2
	s_cmp_ge_u32 s6, s2
	s_cselect_b32 s6, s10, s6
	s_delay_alu instid0(SALU_CYCLE_1) | instskip(SKIP_2) | instid1(SALU_CYCLE_1)
	s_sub_co_i32 s10, s6, s2
	s_cmp_ge_u32 s6, s2
	s_cselect_b32 s2, s10, s6
	s_xor_b32 s2, s2, s8
	s_delay_alu instid0(SALU_CYCLE_1) | instskip(NEXT) | instid1(SALU_CYCLE_1)
	s_sub_co_i32 s10, s2, s8
	s_ashr_i32 s11, s10, 31
	s_wait_kmcnt 0x0
	s_mul_u64 s[4:5], s[4:5], s[10:11]
	s_delay_alu instid0(SALU_CYCLE_1)
	s_add_nc_u64 s[44:45], s[22:23], s[4:5]
.LBB33_2:
	s_clause 0x1
	s_load_b96 s[4:6], s[0:1], 0x70
	s_load_b32 s8, s[0:1], 0x40
	s_wait_kmcnt 0x0
	s_bfe_u32 s2, ttmp6, 0x4000c
	v_and_b32_e32 v148, 0x3ff, v0
	s_add_co_i32 s2, s2, 1
	s_and_b32 s10, ttmp6, 15
	s_mul_i32 s11, ttmp9, s2
	s_delay_alu instid0(VALU_DEP_1)
	v_dual_mov_b32 v3, 0 :: v_dual_lshlrev_b32 v115, 2, v148
	s_add_co_i32 s10, s10, s11
	s_cmp_eq_u32 s15, 0
	v_bfe_u32 v4, v0, 10, 10
	s_cselect_b32 s22, ttmp9, s10
	v_cmp_gt_u32_e64 s2, 24, v148
	v_dual_lshlrev_b32 v150, 3, v148 :: v_dual_lshlrev_b32 v0, 2, v115
	s_lshl_b32 s33, s22, 5
	s_mul_i32 s10, s40, s6
	s_mul_i32 s46, s34, s5
	s_ashr_i32 s11, s10, 31
	s_ashr_i32 s13, s5, 31
	s_mov_b32 s12, s5
	s_ashr_i32 s5, s4, 31
	s_ashr_i32 s47, s46, 31
	s_add_nc_u64 s[10:11], s[16:17], s[10:11]
	s_lshr_b64 s[12:13], s[12:13], 2
	s_add_nc_u64 s[10:11], s[10:11], s[46:47]
	s_mov_b32 s6, s36
	s_lshr_b64 s[4:5], s[4:5], 2
	s_and_saveexec_b32 s16, s2
	s_cbranch_execz .LBB33_4
; %bb.3:
	v_lshl_add_u32 v2, v4, 2, s33
	s_lshl_b64 s[46:47], s[12:13], 2
	s_delay_alu instid0(SALU_CYCLE_1) | instskip(NEXT) | instid1(VALU_DEP_1)
	s_add_nc_u64 s[46:47], s[10:11], s[46:47]
	v_mul_u64_e32 v[6:7], s[6:7], v[2:3]
	s_delay_alu instid0(VALU_DEP_1) | instskip(NEXT) | instid1(VALU_DEP_1)
	v_add_nc_u32_e32 v1, v2, v7
	v_lshrrev_b32_e32 v1, s37, v1
	s_delay_alu instid0(VALU_DEP_1) | instskip(NEXT) | instid1(VALU_DEP_1)
	v_mul_lo_u32 v1, v1, s38
	v_dual_mov_b32 v1, v3 :: v_dual_sub_nc_u32 v2, v2, v1
	s_delay_alu instid0(VALU_DEP_1) | instskip(NEXT) | instid1(VALU_DEP_1)
	v_mul_u64_e32 v[6:7], s[4:5], v[2:3]
	v_lshlrev_b64_e32 v[6:7], 2, v[6:7]
	s_delay_alu instid0(VALU_DEP_1) | instskip(SKIP_1) | instid1(VALU_DEP_2)
	v_add_nc_u64_e32 v[8:9], s[10:11], v[6:7]
	v_add_nc_u64_e32 v[2:3], s[46:47], v[6:7]
	;; [unrolled: 1-line block ×3, first 2 shown]
	s_delay_alu instid0(VALU_DEP_2)
	v_add_nc_u64_e32 v[2:3], v[2:3], v[0:1]
	s_clause 0x1
	global_load_b128 v[6:9], v[14:15], off
	global_load_b128 v[10:13], v[2:3], off
	s_wait_loadcnt 0x1
	v_fma_mixlo_f16 v1, s8, v6, 0
	s_wait_xcnt 0x0
	v_fma_mixlo_f16 v2, s8, v7, 0
	s_wait_loadcnt 0x0
	v_fma_mixlo_f16 v6, s8, v10, 0
	v_fma_mixlo_f16 v7, s8, v11, 0
	;; [unrolled: 1-line block ×6, first 2 shown]
	v_lshlrev_b32_e32 v2, 16, v2
	v_and_b32_e32 v1, 0xffff, v1
	v_lshlrev_b32_e32 v7, 16, v7
	v_and_b32_e32 v6, 0xffff, v6
	;; [unrolled: 2-line block ×4, first 2 shown]
	v_or_b32_e32 v1, v2, v1
	v_or_b32_e32 v6, v7, v6
	v_mad_u32_u24 v10, 0x600, v4, v150
	v_or3_b32 v3, v5, v3, 0
	v_or3_b32 v7, v9, v8, 0
	;; [unrolled: 1-line block ×4, first 2 shown]
	ds_store_2addr_b64 v10, v[2:3], v[6:7] offset1:24
.LBB33_4:
	s_or_b32 exec_lo, exec_lo, s16
	v_lshlrev_b32_e32 v2, 3, v4
	s_delay_alu instid0(VALU_DEP_1) | instskip(NEXT) | instid1(VALU_DEP_1)
	v_or_b32_e32 v3, 2, v2
	v_lshrrev_b32_e32 v147, 1, v3
	s_and_saveexec_b32 s16, s2
	s_cbranch_execnz .LBB33_16
; %bb.5:
	s_or_b32 exec_lo, exec_lo, s16
	v_or_b32_e32 v146, 3, v2
	s_and_saveexec_b32 s16, s2
	s_cbranch_execnz .LBB33_17
.LBB33_6:
	s_or_b32 exec_lo, exec_lo, s16
	v_or_b32_e32 v145, 4, v2
	s_and_saveexec_b32 s16, s2
	s_cbranch_execnz .LBB33_18
.LBB33_7:
	s_or_b32 exec_lo, exec_lo, s16
	v_or_b32_e32 v144, 5, v2
	s_and_saveexec_b32 s16, s2
	s_cbranch_execnz .LBB33_19
.LBB33_8:
	s_or_b32 exec_lo, exec_lo, s16
	v_or_b32_e32 v143, 6, v2
	s_and_saveexec_b32 s16, s2
	s_cbranch_execnz .LBB33_20
.LBB33_9:
	s_or_b32 exec_lo, exec_lo, s16
	v_or_b32_e32 v142, 7, v2
	s_and_saveexec_b32 s16, s2
	s_cbranch_execz .LBB33_11
.LBB33_10:
	s_delay_alu instid0(VALU_DEP_1) | instskip(NEXT) | instid1(VALU_DEP_1)
	v_dual_lshrrev_b32 v1, 1, v142 :: v_dual_mov_b32 v7, 0
	v_add_nc_u32_e32 v6, s33, v1
	s_delay_alu instid0(VALU_DEP_1) | instskip(NEXT) | instid1(VALU_DEP_1)
	v_mul_u64_e32 v[8:9], s[6:7], v[6:7]
	v_add_nc_u32_e32 v1, v6, v9
	s_delay_alu instid0(VALU_DEP_1) | instskip(NEXT) | instid1(VALU_DEP_1)
	v_lshrrev_b32_e32 v1, s37, v1
	v_mul_lo_u32 v1, v1, s38
	s_delay_alu instid0(VALU_DEP_1) | instskip(NEXT) | instid1(VALU_DEP_1)
	v_dual_mov_b32 v1, v7 :: v_dual_sub_nc_u32 v6, v6, v1
	v_mul_u64_e32 v[8:9], s[4:5], v[6:7]
	s_lshl_b64 s[4:5], s[12:13], 2
	s_delay_alu instid0(SALU_CYCLE_1)
	s_add_nc_u64 s[4:5], s[10:11], s[4:5]
	s_delay_alu instid0(VALU_DEP_1) | instid1(SALU_CYCLE_1)
	v_lshl_add_u64 v[6:7], v[8:9], 2, s[4:5]
	s_delay_alu instid0(VALU_DEP_1) | instskip(SKIP_4) | instid1(VALU_DEP_2)
	v_add_nc_u64_e32 v[0:1], v[6:7], v[0:1]
	global_load_b128 v[6:9], v[0:1], off
	s_wait_loadcnt 0x0
	v_fma_mixlo_f16 v3, s8, v6, 0
	v_mov_b32_e32 v6, v9
	v_and_b32_e32 v3, 0xffff, v3
	s_delay_alu instid0(VALU_DEP_2) | instskip(NEXT) | instid1(VALU_DEP_1)
	v_pk_mul_f32 v[0:1], s[8:9], v[6:7] op_sel_hi:[0,1]
	v_cvt_pk_f16_f32 v0, v0, v1
	v_fma_mixlo_f16 v1, s8, v8, 0
	s_delay_alu instid0(VALU_DEP_2) | instskip(NEXT) | instid1(VALU_DEP_2)
	v_and_b32_e32 v5, 0xffff0000, v0
	v_and_b32_e32 v1, 0xffff, v1
	s_delay_alu instid0(VALU_DEP_2) | instskip(SKIP_1) | instid1(VALU_DEP_2)
	v_dual_lshlrev_b32 v0, 16, v0 :: v_dual_bitop2_b32 v3, v5, v3 bitop3:0x54
	v_mad_u32_u24 v5, 0xc0, v142, v150
	v_or3_b32 v1, v0, v1, 0
	s_delay_alu instid0(VALU_DEP_3)
	v_or3_b32 v0, 0, 0, v3
	ds_store_b64 v5, v[0:1]
.LBB33_11:
	s_or_b32 exec_lo, exec_lo, s16
	s_cmp_eq_u64 s[26:27], 0
	s_wait_dscnt 0x0
	s_barrier_signal -1
	s_barrier_wait -1
	s_cbranch_scc1 .LBB33_13
; %bb.12:
	s_load_b32 s4, s[0:1], 0xd0
	s_wait_kmcnt 0x0
	s_mul_i32 s4, s4, s40
	s_delay_alu instid0(SALU_CYCLE_1)
	s_add_co_i32 s4, s4, s22
	s_load_b32 s42, s[26:27], s4 offset:0x0 scale_offset
.LBB33_13:
	s_wait_xcnt 0x0
	s_bfe_u32 s4, ttmp6, 0x40010
	s_and_b32 s5, ttmp7, 0xffff
	s_add_co_i32 s4, s4, 1
	s_bfe_u32 s8, ttmp6, 0x40004
	s_mul_i32 s4, s5, s4
	v_mbcnt_lo_u32_b32 v156, -1, 0
	s_add_co_i32 s8, s8, s4
	s_cmp_eq_u32 s15, 0
	s_mov_b32 s4, 0
	s_cselect_b32 s43, s5, s8
	s_delay_alu instid0(SALU_CYCLE_1)
	s_lshl_b32 s22, s43, 5
	s_wait_kmcnt 0x0
	s_cmp_lt_i32 s22, s42
	s_cbranch_scc1 .LBB33_21
; %bb.14:
	v_mbcnt_lo_u32_b32 v8, -1, 0
	s_delay_alu instid0(VALU_DEP_1)
	v_dual_mov_b32 v153, 32 :: v_dual_bitop2_b32 v184, 16, v8 bitop3:0x14
	v_xor_b32_e32 v181, 8, v8
	v_xor_b32_e32 v182, 4, v8
	;; [unrolled: 1-line block ×4, first 2 shown]
	v_lshlrev_b32_e32 v149, 2, v4
	s_and_not1_b32 vcc_lo, exec_lo, s4
	s_cbranch_vccz .LBB33_22
; %bb.15:
	v_dual_mov_b32 v179, 0 :: v_dual_mov_b32 v107, 0
	v_dual_mov_b32 v7, 0xfeffffff :: v_dual_mov_b32 v6, 0xfeffffff
	;; [unrolled: 1-line block ×16, first 2 shown]
	s_branch .LBB33_42
.LBB33_16:
	s_delay_alu instid0(VALU_DEP_1) | instskip(SKIP_1) | instid1(VALU_DEP_2)
	v_dual_mov_b32 v7, 0 :: v_dual_add_nc_u32 v6, s33, v147
	v_mad_u32_u24 v3, 0xc0, v3, v150
	v_mul_u64_e32 v[8:9], s[6:7], v[6:7]
	s_delay_alu instid0(VALU_DEP_1) | instskip(NEXT) | instid1(VALU_DEP_1)
	v_add_nc_u32_e32 v1, v6, v9
	v_lshrrev_b32_e32 v1, s37, v1
	s_delay_alu instid0(VALU_DEP_1) | instskip(NEXT) | instid1(VALU_DEP_1)
	v_mul_lo_u32 v1, v1, s38
	v_dual_mov_b32 v1, v7 :: v_dual_sub_nc_u32 v6, v6, v1
	s_delay_alu instid0(VALU_DEP_1) | instskip(NEXT) | instid1(VALU_DEP_1)
	v_mul_u64_e32 v[8:9], s[4:5], v[6:7]
	v_lshl_add_u64 v[6:7], v[8:9], 2, s[10:11]
	s_delay_alu instid0(VALU_DEP_1) | instskip(SKIP_4) | instid1(VALU_DEP_2)
	v_add_nc_u64_e32 v[6:7], v[6:7], v[0:1]
	global_load_b128 v[6:9], v[6:7], off
	s_wait_loadcnt 0x0
	v_fma_mixlo_f16 v1, s8, v6, 0
	v_mov_b32_e32 v6, v9
	v_and_b32_e32 v1, 0xffff, v1
	s_delay_alu instid0(VALU_DEP_2) | instskip(NEXT) | instid1(VALU_DEP_1)
	v_pk_mul_f32 v[6:7], s[8:9], v[6:7] op_sel_hi:[0,1]
	v_cvt_pk_f16_f32 v5, v6, v7
	v_fma_mixlo_f16 v6, s8, v8, 0
	s_delay_alu instid0(VALU_DEP_2) | instskip(NEXT) | instid1(VALU_DEP_2)
	v_and_b32_e32 v7, 0xffff0000, v5
	v_and_b32_e32 v6, 0xffff, v6
	v_lshlrev_b32_e32 v5, 16, v5
	s_delay_alu instid0(VALU_DEP_3) | instskip(NEXT) | instid1(VALU_DEP_2)
	v_or_b32_e32 v1, v7, v1
	v_or3_b32 v7, v5, v6, 0
	s_delay_alu instid0(VALU_DEP_2)
	v_or3_b32 v6, 0, 0, v1
	ds_store_b64 v3, v[6:7]
	s_or_b32 exec_lo, exec_lo, s16
	v_or_b32_e32 v146, 3, v2
	s_and_saveexec_b32 s16, s2
	s_cbranch_execz .LBB33_6
.LBB33_17:
	s_delay_alu instid0(VALU_DEP_1) | instskip(SKIP_1) | instid1(SALU_CYCLE_1)
	v_dual_lshrrev_b32 v1, 1, v146 :: v_dual_mov_b32 v7, 0
	s_lshl_b64 s[46:47], s[12:13], 2
	s_add_nc_u64 s[46:47], s[10:11], s[46:47]
	s_delay_alu instid0(VALU_DEP_1) | instskip(NEXT) | instid1(VALU_DEP_1)
	v_add_nc_u32_e32 v6, s33, v1
	v_mul_u64_e32 v[8:9], s[6:7], v[6:7]
	s_delay_alu instid0(VALU_DEP_1) | instskip(NEXT) | instid1(VALU_DEP_1)
	v_add_nc_u32_e32 v1, v6, v9
	v_lshrrev_b32_e32 v1, s37, v1
	s_delay_alu instid0(VALU_DEP_1) | instskip(NEXT) | instid1(VALU_DEP_1)
	v_mul_lo_u32 v1, v1, s38
	v_dual_mov_b32 v1, v7 :: v_dual_sub_nc_u32 v6, v6, v1
	s_delay_alu instid0(VALU_DEP_1) | instskip(NEXT) | instid1(VALU_DEP_1)
	v_mul_u64_e32 v[8:9], s[4:5], v[6:7]
	v_lshl_add_u64 v[6:7], v[8:9], 2, s[46:47]
	s_delay_alu instid0(VALU_DEP_1)
	v_add_nc_u64_e32 v[6:7], v[6:7], v[0:1]
	global_load_b128 v[6:9], v[6:7], off
	s_wait_loadcnt 0x0
	v_fma_mixlo_f16 v1, s8, v6, 0
	v_mov_b32_e32 v6, v9
	v_fma_mixlo_f16 v5, s8, v8, 0
	v_mad_u32_u24 v8, 0xc0, v146, v150
	s_delay_alu instid0(VALU_DEP_4) | instskip(NEXT) | instid1(VALU_DEP_4)
	v_and_b32_e32 v1, 0xffff, v1
	v_pk_mul_f32 v[6:7], s[8:9], v[6:7] op_sel_hi:[0,1]
	s_delay_alu instid0(VALU_DEP_4) | instskip(NEXT) | instid1(VALU_DEP_2)
	v_and_b32_e32 v5, 0xffff, v5
	v_cvt_pk_f16_f32 v3, v6, v7
	s_delay_alu instid0(VALU_DEP_1) | instskip(NEXT) | instid1(VALU_DEP_1)
	v_and_b32_e32 v6, 0xffff0000, v3
	v_dual_lshlrev_b32 v3, 16, v3 :: v_dual_bitop2_b32 v1, v6, v1 bitop3:0x54
	s_delay_alu instid0(VALU_DEP_1) | instskip(NEXT) | instid1(VALU_DEP_2)
	v_or3_b32 v7, v3, v5, 0
	v_or3_b32 v6, 0, 0, v1
	ds_store_b64 v8, v[6:7]
	s_or_b32 exec_lo, exec_lo, s16
	v_or_b32_e32 v145, 4, v2
	s_and_saveexec_b32 s16, s2
	s_cbranch_execz .LBB33_7
.LBB33_18:
	s_delay_alu instid0(VALU_DEP_1) | instskip(NEXT) | instid1(VALU_DEP_1)
	v_dual_lshrrev_b32 v1, 1, v145 :: v_dual_mov_b32 v7, 0
	v_add_nc_u32_e32 v6, s33, v1
	s_delay_alu instid0(VALU_DEP_1) | instskip(NEXT) | instid1(VALU_DEP_1)
	v_mul_u64_e32 v[8:9], s[6:7], v[6:7]
	v_add_nc_u32_e32 v1, v6, v9
	s_delay_alu instid0(VALU_DEP_1) | instskip(NEXT) | instid1(VALU_DEP_1)
	v_lshrrev_b32_e32 v1, s37, v1
	v_mul_lo_u32 v1, v1, s38
	s_delay_alu instid0(VALU_DEP_1) | instskip(NEXT) | instid1(VALU_DEP_1)
	v_dual_mov_b32 v1, v7 :: v_dual_sub_nc_u32 v6, v6, v1
	v_mul_u64_e32 v[8:9], s[4:5], v[6:7]
	s_delay_alu instid0(VALU_DEP_1) | instskip(NEXT) | instid1(VALU_DEP_1)
	v_lshl_add_u64 v[6:7], v[8:9], 2, s[10:11]
	v_add_nc_u64_e32 v[6:7], v[6:7], v[0:1]
	global_load_b128 v[6:9], v[6:7], off
	s_wait_loadcnt 0x0
	v_fma_mixlo_f16 v1, s8, v6, 0
	v_mov_b32_e32 v6, v9
	v_fma_mixlo_f16 v5, s8, v8, 0
	v_mad_u32_u24 v8, 0xc0, v145, v150
	s_delay_alu instid0(VALU_DEP_4) | instskip(NEXT) | instid1(VALU_DEP_4)
	v_and_b32_e32 v1, 0xffff, v1
	v_pk_mul_f32 v[6:7], s[8:9], v[6:7] op_sel_hi:[0,1]
	s_delay_alu instid0(VALU_DEP_4) | instskip(NEXT) | instid1(VALU_DEP_2)
	v_and_b32_e32 v5, 0xffff, v5
	v_cvt_pk_f16_f32 v3, v6, v7
	s_delay_alu instid0(VALU_DEP_1) | instskip(NEXT) | instid1(VALU_DEP_1)
	v_and_b32_e32 v6, 0xffff0000, v3
	v_dual_lshlrev_b32 v3, 16, v3 :: v_dual_bitop2_b32 v1, v6, v1 bitop3:0x54
	s_delay_alu instid0(VALU_DEP_1) | instskip(NEXT) | instid1(VALU_DEP_2)
	v_or3_b32 v7, v3, v5, 0
	v_or3_b32 v6, 0, 0, v1
	ds_store_b64 v8, v[6:7]
	s_or_b32 exec_lo, exec_lo, s16
	v_or_b32_e32 v144, 5, v2
	s_and_saveexec_b32 s16, s2
	s_cbranch_execz .LBB33_8
.LBB33_19:
	s_delay_alu instid0(VALU_DEP_1) | instskip(SKIP_1) | instid1(SALU_CYCLE_1)
	v_dual_lshrrev_b32 v1, 1, v144 :: v_dual_mov_b32 v7, 0
	s_lshl_b64 s[46:47], s[12:13], 2
	s_add_nc_u64 s[46:47], s[10:11], s[46:47]
	s_delay_alu instid0(VALU_DEP_1) | instskip(NEXT) | instid1(VALU_DEP_1)
	v_add_nc_u32_e32 v6, s33, v1
	v_mul_u64_e32 v[8:9], s[6:7], v[6:7]
	s_delay_alu instid0(VALU_DEP_1) | instskip(NEXT) | instid1(VALU_DEP_1)
	v_add_nc_u32_e32 v1, v6, v9
	v_lshrrev_b32_e32 v1, s37, v1
	s_delay_alu instid0(VALU_DEP_1) | instskip(NEXT) | instid1(VALU_DEP_1)
	v_mul_lo_u32 v1, v1, s38
	v_dual_mov_b32 v1, v7 :: v_dual_sub_nc_u32 v6, v6, v1
	s_delay_alu instid0(VALU_DEP_1) | instskip(NEXT) | instid1(VALU_DEP_1)
	v_mul_u64_e32 v[8:9], s[4:5], v[6:7]
	v_lshl_add_u64 v[6:7], v[8:9], 2, s[46:47]
	s_delay_alu instid0(VALU_DEP_1)
	v_add_nc_u64_e32 v[6:7], v[6:7], v[0:1]
	global_load_b128 v[6:9], v[6:7], off
	s_wait_loadcnt 0x0
	v_fma_mixlo_f16 v1, s8, v6, 0
	v_mov_b32_e32 v6, v9
	v_fma_mixlo_f16 v5, s8, v8, 0
	v_mad_u32_u24 v8, 0xc0, v144, v150
	s_delay_alu instid0(VALU_DEP_4) | instskip(NEXT) | instid1(VALU_DEP_4)
	v_and_b32_e32 v1, 0xffff, v1
	v_pk_mul_f32 v[6:7], s[8:9], v[6:7] op_sel_hi:[0,1]
	s_delay_alu instid0(VALU_DEP_4) | instskip(NEXT) | instid1(VALU_DEP_2)
	v_and_b32_e32 v5, 0xffff, v5
	v_cvt_pk_f16_f32 v3, v6, v7
	s_delay_alu instid0(VALU_DEP_1) | instskip(NEXT) | instid1(VALU_DEP_1)
	v_and_b32_e32 v6, 0xffff0000, v3
	v_dual_lshlrev_b32 v3, 16, v3 :: v_dual_bitop2_b32 v1, v6, v1 bitop3:0x54
	s_delay_alu instid0(VALU_DEP_1) | instskip(NEXT) | instid1(VALU_DEP_2)
	v_or3_b32 v7, v3, v5, 0
	v_or3_b32 v6, 0, 0, v1
	ds_store_b64 v8, v[6:7]
	s_or_b32 exec_lo, exec_lo, s16
	v_or_b32_e32 v143, 6, v2
	s_and_saveexec_b32 s16, s2
	s_cbranch_execz .LBB33_9
.LBB33_20:
	s_delay_alu instid0(VALU_DEP_1) | instskip(NEXT) | instid1(VALU_DEP_1)
	v_dual_lshrrev_b32 v1, 1, v143 :: v_dual_mov_b32 v7, 0
	v_add_nc_u32_e32 v6, s33, v1
	s_delay_alu instid0(VALU_DEP_1) | instskip(NEXT) | instid1(VALU_DEP_1)
	v_mul_u64_e32 v[8:9], s[6:7], v[6:7]
	v_add_nc_u32_e32 v1, v6, v9
	s_delay_alu instid0(VALU_DEP_1) | instskip(NEXT) | instid1(VALU_DEP_1)
	v_lshrrev_b32_e32 v1, s37, v1
	v_mul_lo_u32 v1, v1, s38
	s_delay_alu instid0(VALU_DEP_1) | instskip(NEXT) | instid1(VALU_DEP_1)
	v_dual_mov_b32 v1, v7 :: v_dual_sub_nc_u32 v6, v6, v1
	v_mul_u64_e32 v[8:9], s[4:5], v[6:7]
	s_delay_alu instid0(VALU_DEP_1) | instskip(NEXT) | instid1(VALU_DEP_1)
	v_lshl_add_u64 v[6:7], v[8:9], 2, s[10:11]
	v_add_nc_u64_e32 v[6:7], v[6:7], v[0:1]
	global_load_b128 v[6:9], v[6:7], off
	s_wait_loadcnt 0x0
	v_fma_mixlo_f16 v1, s8, v6, 0
	v_mov_b32_e32 v6, v9
	v_fma_mixlo_f16 v5, s8, v8, 0
	v_mad_u32_u24 v8, 0xc0, v143, v150
	s_delay_alu instid0(VALU_DEP_4) | instskip(NEXT) | instid1(VALU_DEP_4)
	v_and_b32_e32 v1, 0xffff, v1
	v_pk_mul_f32 v[6:7], s[8:9], v[6:7] op_sel_hi:[0,1]
	s_delay_alu instid0(VALU_DEP_4) | instskip(NEXT) | instid1(VALU_DEP_2)
	v_and_b32_e32 v5, 0xffff, v5
	v_cvt_pk_f16_f32 v3, v6, v7
	s_delay_alu instid0(VALU_DEP_1) | instskip(NEXT) | instid1(VALU_DEP_1)
	v_and_b32_e32 v6, 0xffff0000, v3
	v_dual_lshlrev_b32 v3, 16, v3 :: v_dual_bitop2_b32 v1, v6, v1 bitop3:0x54
	s_delay_alu instid0(VALU_DEP_1) | instskip(NEXT) | instid1(VALU_DEP_2)
	v_or3_b32 v7, v3, v5, 0
	v_or3_b32 v6, 0, 0, v1
	ds_store_b64 v8, v[6:7]
	s_or_b32 exec_lo, exec_lo, s16
	v_or_b32_e32 v142, 7, v2
	s_and_saveexec_b32 s16, s2
	s_cbranch_execnz .LBB33_10
	s_branch .LBB33_11
.LBB33_21:
                                        ; implicit-def: $vgpr8
                                        ; implicit-def: $vgpr153
                                        ; implicit-def: $vgpr184
                                        ; implicit-def: $vgpr181
                                        ; implicit-def: $vgpr182
                                        ; implicit-def: $vgpr183
                                        ; implicit-def: $vgpr185
	v_lshlrev_b32_e32 v149, 2, v4
.LBB33_22:
	s_delay_alu instid0(VALU_DEP_1) | instskip(SKIP_2) | instid1(VALU_DEP_3)
	v_dual_mov_b32 v105, 0 :: v_dual_add_nc_u32 v104, s33, v149
	v_dual_lshrrev_b32 v3, 1, v148 :: v_dual_lshrrev_b32 v5, 2, v148
	v_dual_lshrrev_b32 v8, 3, v148 :: v_dual_bitop2_b32 v6, 12, v115 bitop3:0x40
	v_mul_u64_e32 v[0:1], s[6:7], v[104:105]
	v_mul_u32_u24_e32 v160, 0x600, v4
	v_dual_lshlrev_b32 v7, 4, v148 :: v_dual_bitop2_b32 v0, 4, v115 bitop3:0x40
	v_lshl_add_u32 v161, v4, 9, 0x3000
	v_lshl_add_u32 v13, v4, 4, v3
	v_dual_add_nc_u32 v14, v5, v2 :: v_dual_add_nc_u32 v2, 1, v104
	v_dual_mov_b32 v3, v105 :: v_dual_lshlrev_b32 v16, 2, v6
	v_dual_mov_b32 v5, v105 :: v_dual_add_nc_u32 v17, v8, v149
	v_dual_add_nc_u32 v163, v161, v7 :: v_dual_lshlrev_b32 v116, 2, v6
	s_delay_alu instid0(VALU_DEP_3)
	v_mul_u64_e32 v[6:7], s[6:7], v[2:3]
	v_dual_mov_b32 v153, 32 :: v_dual_bitop2_b32 v114, 28, v115 bitop3:0x40
	v_mul_u32_u24_e32 v3, 0xc0, v14
	s_mul_f32 s4, s14, 0x4f7ffffe
	s_ashr_i32 s46, s9, 31
	s_clause 0x2
	s_load_b64 s[12:13], s[0:1], 0x8c
	s_load_b128 s[8:11], s[0:1], 0x98
	s_load_b64 s[16:17], s[0:1], 0xa8
	s_ashr_i32 s36, s34, 31
	s_sub_co_i32 s5, 0, s35
	s_xor_b32 s48, s36, s46
	s_cvt_u32_f32 s36, s4
	s_abs_i32 s14, s34
	s_mov_b32 s15, s7
	s_mov_b32 s47, s7
	s_mul_i32 s5, s5, s36
	s_ashr_i32 s23, s3, 1
	s_mul_hi_u32 s46, s36, s5
	v_dual_add_nc_u32 v4, 2, v104 :: v_dual_add_nc_u32 v1, v104, v1
	v_lshlrev_b32_e32 v18, 2, v114
	s_add_co_i32 s46, s36, s46
	s_ashr_i32 s41, s40, 31
	s_delay_alu instid0(VALU_DEP_2)
	v_mul_u64_e32 v[8:9], s[6:7], v[4:5]
	v_lshrrev_b32_e32 v1, s37, v1
	v_mul_u32_u24_e32 v5, 0xc0, v17
	v_or_b32_e32 v3, v3, v16
	s_wait_kmcnt 0x0
	s_ashr_i32 s36, s10, 2
	v_dual_mov_b32 v12, 0xfeffffff :: v_dual_lshlrev_b32 v15, 2, v0
	v_mul_lo_u32 v1, v1, s38
	v_mov_b32_e32 v162, v105
	v_add3_u32 v167, v5, v18, 0x4000
	v_mul_lo_u32 v122, s36, v14
	v_mul_lo_u32 v124, s36, v17
	v_mul_u32_u24_e32 v19, 0x70, v13
	v_mul_u32_u24_e32 v20, 0x70, v14
	s_mul_u64 s[8:9], s[8:9], s[40:41]
	v_mul_u32_u24_e32 v159, 0x70, v148
	v_dual_mov_b32 v152, v105 :: v_dual_mov_b32 v151, v105
	v_dual_sub_nc_u32 v1, v104, v1 :: v_dual_add_nc_u32 v104, 3, v104
	v_dual_mov_b32 v155, v105 :: v_dual_mov_b32 v154, v105
	v_dual_mov_b32 v158, v105 :: v_dual_mov_b32 v157, v105
	s_delay_alu instid0(VALU_DEP_3)
	v_mul_lo_u32 v171, v1, s23
	v_cmp_gt_u32_e32 vcc_lo, 32, v13
	v_cmp_gt_u32_e64 s3, 32, v14
	v_cmp_gt_u32_e64 s4, 16, v14
	;; [unrolled: 1-line block ×3, first 2 shown]
	v_add3_u32 v165, v19, v15, 0x4040
	v_add3_u32 v166, v20, v16, 0x4000
	v_dual_ashrrev_i32 v123, 31, v122 :: v_dual_ashrrev_i32 v125, 31, v124
	v_add_nc_u32_e32 v5, v4, v9
	v_dual_mov_b32 v169, v105 :: v_dual_add_nc_u32 v168, 0x4080, v3
	v_add_nc_u32_e32 v3, v2, v7
	v_mul_u64_e32 v[10:11], s[6:7], v[104:105]
	s_mul_u64 s[6:7], s[14:15], s[46:47]
	s_ashr_i32 s46, s12, 2
	s_mul_i32 s6, s7, s35
	s_add_co_i32 s47, s7, 1
	s_sub_co_i32 s6, s14, s6
	v_mul_lo_u32 v118, s46, v13
	s_sub_co_i32 s10, s6, s35
	s_cmp_ge_u32 s6, s35
	v_mul_lo_u32 v120, s46, v14
	s_cselect_b32 s7, s47, s7
	s_cselect_b32 s6, s10, s6
	s_add_co_i32 s10, s7, 1
	s_cmp_ge_u32 s6, s35
	s_mul_u64 s[14:15], s[16:17], s[40:41]
	s_cselect_b32 s6, s10, s7
	v_dual_mov_b32 v164, v105 :: v_dual_mov_b32 v170, v105
	s_xor_b32 s6, s6, s48
	s_delay_alu instid0(VALU_DEP_2)
	v_dual_ashrrev_i32 v119, 31, v118 :: v_dual_ashrrev_i32 v121, 31, v120
	s_sub_co_i32 s7, s6, s48
	v_dual_mov_b32 v176, v105 :: v_dual_mov_b32 v175, v105
	s_mul_i32 s6, s7, s13
	s_mul_i32 s10, s7, s11
	v_dual_mov_b32 v178, v105 :: v_dual_mov_b32 v177, v105
	v_dual_mov_b32 v180, v105 :: v_dual_lshrrev_b32 v5, s37, v5
	v_mov_b32_e32 v179, v105
	v_dual_mov_b32 v17, 0xfeffffff :: v_dual_mov_b32 v16, 0xfeffffff
	v_add_nc_u32_e32 v6, v104, v11
	v_lshrrev_b32_e32 v3, s37, v3
	v_mul_lo_u32 v5, v5, s38
	v_dual_mov_b32 v15, 0xfeffffff :: v_dual_mov_b32 v14, 0xfeffffff
	s_delay_alu instid0(VALU_DEP_4) | instskip(NEXT) | instid1(VALU_DEP_4)
	v_lshrrev_b32_e32 v6, s37, v6
	v_mul_lo_u32 v3, v3, s38
	v_dual_mov_b32 v13, 0xfeffffff :: v_dual_mov_b32 v112, v105
	v_dual_mov_b32 v113, v105 :: v_dual_mov_b32 v110, v105
	s_delay_alu instid0(VALU_DEP_4)
	v_mul_lo_u32 v6, v6, s38
	v_dual_mov_b32 v111, v105 :: v_dual_mov_b32 v108, v105
	v_dual_mov_b32 v109, v105 :: v_dual_mov_b32 v106, v105
	;; [unrolled: 1-line block ×3, first 2 shown]
	v_dual_sub_nc_u32 v2, v2, v3 :: v_dual_sub_nc_u32 v3, v4, v5
	v_mov_b32_e32 v137, 0xfeffffff
	s_add_nc_u64 s[8:9], s[18:19], s[8:9]
	v_dual_sub_nc_u32 v4, v104, v6 :: v_dual_lshlrev_b32 v104, 2, v0
	s_delay_alu instid0(VALU_DEP_3) | instskip(SKIP_2) | instid1(VALU_DEP_3)
	v_mul_lo_u32 v172, v2, s23
	v_mul_lo_u32 v173, v3, s23
	s_add_nc_u64 s[14:15], s[20:21], s[14:15]
	v_mul_lo_u32 v174, v4, s23
	s_ashr_i32 s7, s6, 31
	s_ashr_i32 s11, s10, 31
	s_add_nc_u64 s[26:27], s[0:1], 0xd0
	s_ashr_i32 s47, s46, 31
	s_ashr_i32 s37, s36, 31
	s_add_nc_u64 s[48:49], s[8:9], s[6:7]
	s_add_nc_u64 s[50:51], s[14:15], s[10:11]
.LBB33_23:                              ; =>This Inner Loop Header: Depth=1
	s_ashr_i32 s23, s22, 31
	s_delay_alu instid0(SALU_CYCLE_1) | instskip(NEXT) | instid1(SALU_CYCLE_1)
	s_mul_u64 s[6:7], s[22:23], s[46:47]
	s_lshl_b64 s[6:7], s[6:7], 2
	s_delay_alu instid0(SALU_CYCLE_1) | instskip(NEXT) | instid1(SALU_CYCLE_1)
	s_add_nc_u64 s[6:7], s[48:49], s[6:7]
	v_lshl_add_u64 v[0:1], v[118:119], 2, s[6:7]
	s_and_saveexec_b32 s8, vcc_lo
	s_cbranch_execz .LBB33_25
; %bb.24:                               ;   in Loop: Header=BB33_23 Depth=1
	s_delay_alu instid0(VALU_DEP_1)
	v_add_nc_u64_e32 v[2:3], v[0:1], v[104:105]
	global_load_b128 v[2:5], v[2:3], off offset:64
	s_wait_loadcnt 0x0
	ds_store_b128 v165, v[2:5]
.LBB33_25:                              ;   in Loop: Header=BB33_23 Depth=1
	s_or_b32 exec_lo, exec_lo, s8
	v_lshl_add_u64 v[2:3], v[120:121], 2, s[6:7]
	s_and_saveexec_b32 s6, s3
	s_cbranch_execz .LBB33_27
; %bb.26:                               ;   in Loop: Header=BB33_23 Depth=1
	v_mov_b32_e32 v117, v105
	s_delay_alu instid0(VALU_DEP_1)
	v_add_nc_u64_e32 v[4:5], v[2:3], v[116:117]
	global_load_b128 v[4:7], v[4:5], off
	s_wait_loadcnt 0x0
	ds_store_b128 v166, v[4:7]
.LBB33_27:                              ;   in Loop: Header=BB33_23 Depth=1
	s_or_b32 exec_lo, exec_lo, s6
	s_wait_dscnt 0x0
	s_barrier_signal -1
	s_barrier_wait -1
	ds_load_b128 v[4:7], v159 offset:16384
	ds_load_b128 v[8:11], v160
	ds_load_b128 v[22:25], v160 offset:192
	ds_load_b128 v[26:29], v160 offset:384
	ds_load_b128 v[30:33], v160 offset:576
	ds_load_b128 v[34:37], v160 offset:768
	ds_load_b128 v[38:41], v160 offset:960
	ds_load_b128 v[42:45], v160 offset:1152
	v_dual_mov_b32 v18, 0 :: v_dual_mov_b32 v19, 0
	ds_load_b128 v[46:49], v160 offset:1344
	v_dual_mov_b32 v20, 0 :: v_dual_mov_b32 v21, 0
	s_wait_dscnt 0x7
	;;#ASMSTART
	v_dot2_f32_f16 v18, v4, v8, v18
	;;#ASMEND
	;;#ASMSTART
	v_dot2_f32_f16 v18, v5, v9, v18
	;;#ASMEND
	;;#ASMSTART
	v_dot2_f32_f16 v18, v6, v10, v18
	;;#ASMEND
	;;#ASMSTART
	v_dot2_f32_f16 v18, v7, v11, v18
	;;#ASMEND
	s_wait_dscnt 0x6
	;;#ASMSTART
	v_dot2_f32_f16 v19, v4, v22, v19
	;;#ASMEND
	;;#ASMSTART
	v_dot2_f32_f16 v19, v5, v23, v19
	;;#ASMEND
	;;#ASMSTART
	v_dot2_f32_f16 v19, v6, v24, v19
	;;#ASMEND
	;;#ASMSTART
	v_dot2_f32_f16 v19, v7, v25, v19
	;;#ASMEND
	;; [unrolled: 13-line block ×3, first 2 shown]
	s_wait_dscnt 0x4
	;;#ASMSTART
	v_dot2_f32_f16 v21, v4, v30, v21
	;;#ASMEND
	;;#ASMSTART
	v_dot2_f32_f16 v21, v5, v31, v21
	;;#ASMEND
	v_dual_mov_b32 v22, 0 :: v_dual_mov_b32 v23, 0
	;;#ASMSTART
	v_dot2_f32_f16 v21, v6, v32, v21
	;;#ASMEND
	;;#ASMSTART
	v_dot2_f32_f16 v21, v7, v33, v21
	;;#ASMEND
	s_wait_dscnt 0x3
	;;#ASMSTART
	v_dot2_f32_f16 v22, v4, v34, v22
	;;#ASMEND
	;;#ASMSTART
	v_dot2_f32_f16 v22, v5, v35, v22
	;;#ASMEND
	;; [unrolled: 3-line block ×4, first 2 shown]
	s_wait_dscnt 0x2
	;;#ASMSTART
	v_dot2_f32_f16 v23, v4, v38, v23
	;;#ASMEND
	;;#ASMSTART
	v_dot2_f32_f16 v23, v5, v39, v23
	;;#ASMEND
	v_dual_mov_b32 v24, 0 :: v_dual_mov_b32 v25, 0
	;;#ASMSTART
	v_dot2_f32_f16 v23, v6, v40, v23
	;;#ASMEND
	;;#ASMSTART
	v_dot2_f32_f16 v23, v7, v41, v23
	;;#ASMEND
	s_wait_dscnt 0x1
	;;#ASMSTART
	v_dot2_f32_f16 v24, v4, v42, v24
	;;#ASMEND
	;;#ASMSTART
	v_dot2_f32_f16 v24, v5, v43, v24
	;;#ASMEND
	;; [unrolled: 3-line block ×4, first 2 shown]
	s_wait_dscnt 0x0
	;;#ASMSTART
	v_dot2_f32_f16 v25, v4, v46, v25
	;;#ASMEND
	;;#ASMSTART
	v_dot2_f32_f16 v25, v5, v47, v25
	;;#ASMEND
	;; [unrolled: 3-line block ×4, first 2 shown]
	ds_load_b128 v[4:7], v159 offset:16400
	ds_load_b128 v[8:11], v160 offset:16
	;; [unrolled: 1-line block ×9, first 2 shown]
	s_wait_dscnt 0x7
	;;#ASMSTART
	v_dot2_f32_f16 v18, v4, v8, v18
	;;#ASMEND
	;;#ASMSTART
	v_dot2_f32_f16 v18, v5, v9, v18
	;;#ASMEND
	;;#ASMSTART
	v_dot2_f32_f16 v18, v6, v10, v18
	;;#ASMEND
	;;#ASMSTART
	v_dot2_f32_f16 v18, v7, v11, v18
	;;#ASMEND
	s_wait_dscnt 0x6
	;;#ASMSTART
	v_dot2_f32_f16 v19, v4, v26, v19
	;;#ASMEND
	;;#ASMSTART
	v_dot2_f32_f16 v19, v5, v27, v19
	;;#ASMEND
	;;#ASMSTART
	v_dot2_f32_f16 v19, v6, v28, v19
	;;#ASMEND
	;;#ASMSTART
	v_dot2_f32_f16 v19, v7, v29, v19
	;;#ASMEND
	;; [unrolled: 13-line block ×8, first 2 shown]
	ds_load_b128 v[4:7], v159 offset:16416
	ds_load_b128 v[8:11], v160 offset:32
	;; [unrolled: 1-line block ×9, first 2 shown]
	s_wait_dscnt 0x7
	;;#ASMSTART
	v_dot2_f32_f16 v18, v4, v8, v18
	;;#ASMEND
	;;#ASMSTART
	v_dot2_f32_f16 v18, v5, v9, v18
	;;#ASMEND
	;;#ASMSTART
	v_dot2_f32_f16 v18, v6, v10, v18
	;;#ASMEND
	;;#ASMSTART
	v_dot2_f32_f16 v18, v7, v11, v18
	;;#ASMEND
	s_wait_dscnt 0x6
	;;#ASMSTART
	v_dot2_f32_f16 v19, v4, v26, v19
	;;#ASMEND
	;;#ASMSTART
	v_dot2_f32_f16 v19, v5, v27, v19
	;;#ASMEND
	;;#ASMSTART
	v_dot2_f32_f16 v19, v6, v28, v19
	;;#ASMEND
	;;#ASMSTART
	v_dot2_f32_f16 v19, v7, v29, v19
	;;#ASMEND
	;; [unrolled: 13-line block ×8, first 2 shown]
	ds_load_b128 v[4:7], v159 offset:16432
	ds_load_b128 v[8:11], v160 offset:48
	;; [unrolled: 1-line block ×9, first 2 shown]
	s_wait_dscnt 0x7
	;;#ASMSTART
	v_dot2_f32_f16 v18, v4, v8, v18
	;;#ASMEND
	;;#ASMSTART
	v_dot2_f32_f16 v18, v5, v9, v18
	;;#ASMEND
	;;#ASMSTART
	v_dot2_f32_f16 v18, v6, v10, v18
	;;#ASMEND
	;;#ASMSTART
	v_dot2_f32_f16 v18, v7, v11, v18
	;;#ASMEND
	s_wait_dscnt 0x6
	;;#ASMSTART
	v_dot2_f32_f16 v19, v4, v26, v19
	;;#ASMEND
	;;#ASMSTART
	v_dot2_f32_f16 v19, v5, v27, v19
	;;#ASMEND
	;;#ASMSTART
	v_dot2_f32_f16 v19, v6, v28, v19
	;;#ASMEND
	;;#ASMSTART
	v_dot2_f32_f16 v19, v7, v29, v19
	;;#ASMEND
	;; [unrolled: 13-line block ×8, first 2 shown]
	ds_load_b128 v[4:7], v159 offset:16448
	ds_load_b128 v[8:11], v160 offset:64
	;; [unrolled: 1-line block ×9, first 2 shown]
	s_wait_dscnt 0x7
	;;#ASMSTART
	v_dot2_f32_f16 v18, v4, v8, v18
	;;#ASMEND
	;;#ASMSTART
	v_dot2_f32_f16 v18, v5, v9, v18
	;;#ASMEND
	;;#ASMSTART
	v_dot2_f32_f16 v18, v6, v10, v18
	;;#ASMEND
	;;#ASMSTART
	v_dot2_f32_f16 v18, v7, v11, v18
	;;#ASMEND
	s_wait_dscnt 0x6
	;;#ASMSTART
	v_dot2_f32_f16 v19, v4, v26, v19
	;;#ASMEND
	;;#ASMSTART
	v_dot2_f32_f16 v19, v5, v27, v19
	;;#ASMEND
	;;#ASMSTART
	v_dot2_f32_f16 v19, v6, v28, v19
	;;#ASMEND
	;;#ASMSTART
	v_dot2_f32_f16 v19, v7, v29, v19
	;;#ASMEND
	;; [unrolled: 13-line block ×8, first 2 shown]
	ds_load_b128 v[4:7], v159 offset:16464
	ds_load_b128 v[8:11], v160 offset:80
	;; [unrolled: 1-line block ×9, first 2 shown]
	s_wait_dscnt 0x7
	;;#ASMSTART
	v_dot2_f32_f16 v18, v4, v8, v18
	;;#ASMEND
	;;#ASMSTART
	v_dot2_f32_f16 v18, v5, v9, v18
	;;#ASMEND
	;;#ASMSTART
	v_dot2_f32_f16 v18, v6, v10, v18
	;;#ASMEND
	;;#ASMSTART
	v_dot2_f32_f16 v18, v7, v11, v18
	;;#ASMEND
	s_wait_dscnt 0x6
	;;#ASMSTART
	v_dot2_f32_f16 v19, v4, v26, v19
	;;#ASMEND
	;;#ASMSTART
	v_dot2_f32_f16 v19, v5, v27, v19
	;;#ASMEND
	;;#ASMSTART
	v_dot2_f32_f16 v19, v6, v28, v19
	;;#ASMEND
	;;#ASMSTART
	v_dot2_f32_f16 v19, v7, v29, v19
	;;#ASMEND
	;; [unrolled: 13-line block ×8, first 2 shown]
	s_barrier_signal -1
	s_barrier_wait -1
	s_and_saveexec_b32 s6, vcc_lo
	s_cbranch_execz .LBB33_29
; %bb.28:                               ;   in Loop: Header=BB33_23 Depth=1
	v_add_nc_u64_e32 v[0:1], v[0:1], v[104:105]
	global_load_b128 v[4:7], v[0:1], off offset:160
	s_wait_loadcnt 0x0
	ds_store_b128 v165, v[4:7]
.LBB33_29:                              ;   in Loop: Header=BB33_23 Depth=1
	s_or_b32 exec_lo, exec_lo, s6
	s_and_saveexec_b32 s6, s3
	s_cbranch_execz .LBB33_31
; %bb.30:                               ;   in Loop: Header=BB33_23 Depth=1
	v_mov_b32_e32 v117, v105
	s_delay_alu instid0(VALU_DEP_1)
	v_add_nc_u64_e32 v[0:1], v[2:3], v[116:117]
	global_load_b128 v[0:3], v[0:1], off offset:96
	s_wait_loadcnt 0x0
	ds_store_b128 v166, v[0:3]
.LBB33_31:                              ;   in Loop: Header=BB33_23 Depth=1
	s_or_b32 exec_lo, exec_lo, s6
	s_wait_dscnt 0x0
	s_barrier_signal -1
	s_barrier_wait -1
	ds_load_b128 v[0:3], v159 offset:16384
	ds_load_b128 v[4:7], v160 offset:96
	;; [unrolled: 1-line block ×9, first 2 shown]
	v_xor_b32_e32 v184, 16, v156
	v_xor_b32_e32 v181, 8, v156
	;; [unrolled: 1-line block ×3, first 2 shown]
	s_wait_dscnt 0x7
	;;#ASMSTART
	v_dot2_f32_f16 v18, v0, v4, v18
	;;#ASMEND
	;;#ASMSTART
	v_dot2_f32_f16 v18, v1, v5, v18
	;;#ASMEND
	;;#ASMSTART
	v_dot2_f32_f16 v18, v2, v6, v18
	;;#ASMEND
	;;#ASMSTART
	v_dot2_f32_f16 v18, v3, v7, v18
	;;#ASMEND
	s_wait_dscnt 0x6
	;;#ASMSTART
	v_dot2_f32_f16 v19, v0, v8, v19
	;;#ASMEND
	;;#ASMSTART
	v_dot2_f32_f16 v19, v1, v9, v19
	;;#ASMEND
	;;#ASMSTART
	v_dot2_f32_f16 v19, v2, v10, v19
	;;#ASMEND
	;;#ASMSTART
	v_dot2_f32_f16 v19, v3, v11, v19
	;;#ASMEND
	;; [unrolled: 13-line block ×8, first 2 shown]
	ds_load_b128 v[0:3], v159 offset:16400
	ds_load_b128 v[4:7], v160 offset:112
	;; [unrolled: 1-line block ×9, first 2 shown]
	s_wait_dscnt 0x7
	;;#ASMSTART
	v_dot2_f32_f16 v18, v0, v4, v18
	;;#ASMEND
	;;#ASMSTART
	v_dot2_f32_f16 v18, v1, v5, v18
	;;#ASMEND
	;;#ASMSTART
	v_dot2_f32_f16 v18, v2, v6, v18
	;;#ASMEND
	;;#ASMSTART
	v_dot2_f32_f16 v18, v3, v7, v18
	;;#ASMEND
	s_wait_dscnt 0x6
	;;#ASMSTART
	v_dot2_f32_f16 v19, v0, v8, v19
	;;#ASMEND
	;;#ASMSTART
	v_dot2_f32_f16 v19, v1, v9, v19
	;;#ASMEND
	;;#ASMSTART
	v_dot2_f32_f16 v19, v2, v10, v19
	;;#ASMEND
	;;#ASMSTART
	v_dot2_f32_f16 v19, v3, v11, v19
	;;#ASMEND
	;; [unrolled: 13-line block ×8, first 2 shown]
	ds_load_b128 v[0:3], v159 offset:16416
	ds_load_b128 v[4:7], v160 offset:128
	;; [unrolled: 1-line block ×9, first 2 shown]
	s_wait_dscnt 0x7
	;;#ASMSTART
	v_dot2_f32_f16 v18, v0, v4, v18
	;;#ASMEND
	;;#ASMSTART
	v_dot2_f32_f16 v18, v1, v5, v18
	;;#ASMEND
	;;#ASMSTART
	v_dot2_f32_f16 v18, v2, v6, v18
	;;#ASMEND
	;;#ASMSTART
	v_dot2_f32_f16 v18, v3, v7, v18
	;;#ASMEND
	s_wait_dscnt 0x6
	;;#ASMSTART
	v_dot2_f32_f16 v19, v0, v8, v19
	;;#ASMEND
	;;#ASMSTART
	v_dot2_f32_f16 v19, v1, v9, v19
	;;#ASMEND
	;;#ASMSTART
	v_dot2_f32_f16 v19, v2, v10, v19
	;;#ASMEND
	;;#ASMSTART
	v_dot2_f32_f16 v19, v3, v11, v19
	;;#ASMEND
	;; [unrolled: 13-line block ×8, first 2 shown]
	ds_load_b128 v[0:3], v159 offset:16432
	ds_load_b128 v[4:7], v160 offset:144
	ds_load_b128 v[8:11], v160 offset:336
	ds_load_b128 v[26:29], v160 offset:528
	ds_load_b128 v[30:33], v160 offset:720
	ds_load_b128 v[34:37], v160 offset:912
	ds_load_b128 v[38:41], v160 offset:1104
	ds_load_b128 v[42:45], v160 offset:1296
	ds_load_b128 v[46:49], v160 offset:1488
	s_wait_dscnt 0x7
	;;#ASMSTART
	v_dot2_f32_f16 v18, v0, v4, v18
	;;#ASMEND
	;;#ASMSTART
	v_dot2_f32_f16 v18, v1, v5, v18
	;;#ASMEND
	;;#ASMSTART
	v_dot2_f32_f16 v18, v2, v6, v18
	;;#ASMEND
	;;#ASMSTART
	v_dot2_f32_f16 v18, v3, v7, v18
	;;#ASMEND
	s_wait_dscnt 0x6
	;;#ASMSTART
	v_dot2_f32_f16 v19, v0, v8, v19
	;;#ASMEND
	;;#ASMSTART
	v_dot2_f32_f16 v19, v1, v9, v19
	;;#ASMEND
	;;#ASMSTART
	v_dot2_f32_f16 v19, v2, v10, v19
	;;#ASMEND
	;;#ASMSTART
	v_dot2_f32_f16 v19, v3, v11, v19
	;;#ASMEND
	;; [unrolled: 13-line block ×8, first 2 shown]
	ds_load_b128 v[0:3], v159 offset:16448
	ds_load_b128 v[4:7], v160 offset:160
	;; [unrolled: 1-line block ×9, first 2 shown]
	s_wait_dscnt 0x7
	;;#ASMSTART
	v_dot2_f32_f16 v18, v0, v4, v18
	;;#ASMEND
	;;#ASMSTART
	v_dot2_f32_f16 v18, v1, v5, v18
	;;#ASMEND
	;;#ASMSTART
	v_dot2_f32_f16 v18, v2, v6, v18
	;;#ASMEND
	;;#ASMSTART
	v_dot2_f32_f16 v18, v3, v7, v18
	;;#ASMEND
	s_wait_dscnt 0x6
	;;#ASMSTART
	v_dot2_f32_f16 v19, v0, v8, v19
	;;#ASMEND
	;;#ASMSTART
	v_dot2_f32_f16 v19, v1, v9, v19
	;;#ASMEND
	;;#ASMSTART
	v_dot2_f32_f16 v19, v2, v10, v19
	;;#ASMEND
	;;#ASMSTART
	v_dot2_f32_f16 v19, v3, v11, v19
	;;#ASMEND
	;; [unrolled: 13-line block ×8, first 2 shown]
	ds_load_b128 v[0:3], v159 offset:16464
	ds_load_b128 v[4:7], v160 offset:176
	;; [unrolled: 1-line block ×3, first 2 shown]
	v_add_nc_u32_e32 v34, s22, v148
	ds_load_b128 v[26:29], v160 offset:560
	ds_load_b128 v[30:33], v160 offset:752
	v_xor_b32_e32 v182, 4, v156
	v_dual_add_nc_u32 v50, v34, v171 :: v_dual_bitop2_b32 v185, 1, v156 bitop3:0x14
	v_dual_add_nc_u32 v51, v34, v172 :: v_dual_add_nc_u32 v52, v34, v173
	v_add_nc_u32_e32 v53, v34, v174
	ds_load_b128 v[34:37], v160 offset:944
	ds_load_b128 v[38:41], v160 offset:1136
	;; [unrolled: 1-line block ×4, first 2 shown]
	s_wait_dscnt 0x7
	;;#ASMSTART
	v_dot2_f32_f16 v18, v0, v4, v18
	;;#ASMEND
	;;#ASMSTART
	v_dot2_f32_f16 v18, v1, v5, v18
	;;#ASMEND
	;;#ASMSTART
	v_dot2_f32_f16 v18, v2, v6, v18
	;;#ASMEND
	;;#ASMSTART
	v_dot2_f32_f16 v18, v3, v7, v18
	;;#ASMEND
	s_wait_dscnt 0x6
	;;#ASMSTART
	v_dot2_f32_f16 v19, v0, v8, v19
	;;#ASMEND
	;;#ASMSTART
	v_dot2_f32_f16 v19, v1, v9, v19
	;;#ASMEND
	;;#ASMSTART
	v_dot2_f32_f16 v19, v2, v10, v19
	;;#ASMEND
	;;#ASMSTART
	v_dot2_f32_f16 v19, v3, v11, v19
	;;#ASMEND
	;; [unrolled: 13-line block ×8, first 2 shown]
	s_clause 0x3
	global_load_u16 v0, v50, s[44:45] scale_offset
	global_load_u16 v1, v51, s[44:45] scale_offset
	;; [unrolled: 1-line block ×4, first 2 shown]
	v_max_num_f32_e32 v7, v15, v15
	v_cmp_gt_i32_e64 s6, 32, v184
	v_dual_max_num_f32 v4, v12, v12 :: v_dual_max_num_f32 v8, v14, v14
	v_dual_max_num_f32 v5, v17, v17 :: v_dual_max_num_f32 v6, v16, v16
	s_delay_alu instid0(VALU_DEP_3) | instskip(SKIP_3) | instid1(VALU_DEP_3)
	v_dual_max_num_f32 v10, v13, v13 :: v_dual_cndmask_b32 v9, v156, v184, s6
	v_dual_max_num_f32 v26, v137, v137 :: v_dual_max_num_f32 v11, v136, v136
	v_cmp_gt_i32_e64 s6, 32, v181
	s_wait_loadcnt 0x0
	v_lshlrev_b32_e32 v9, 2, v9
	s_barrier_signal -1
	s_barrier_wait -1
	v_cvt_f32_f16_e32 v0, v0
	v_cvt_f32_f16_e32 v1, v1
	;; [unrolled: 1-line block ×4, first 2 shown]
	s_delay_alu instid0(VALU_DEP_4) | instskip(NEXT) | instid1(VALU_DEP_4)
	v_dual_add_f32 v18, v18, v0 :: v_dual_add_f32 v19, v19, v0
	v_dual_add_f32 v20, v20, v1 :: v_dual_add_f32 v21, v21, v1
	s_delay_alu instid0(VALU_DEP_4) | instskip(NEXT) | instid1(VALU_DEP_4)
	v_dual_add_f32 v22, v22, v2 :: v_dual_add_f32 v23, v23, v2
	v_dual_add_f32 v24, v24, v3 :: v_dual_add_f32 v25, v25, v3
	;; [unrolled: 3-line block ×4, first 2 shown]
	s_delay_alu instid0(VALU_DEP_4) | instskip(NEXT) | instid1(VALU_DEP_4)
	v_dual_max_num_f32 v0, v4, v0 :: v_dual_max_num_f32 v1, v5, v1
	v_dual_max_num_f32 v2, v6, v2 :: v_dual_max_num_f32 v3, v7, v3
	s_delay_alu instid0(VALU_DEP_4) | instskip(NEXT) | instid1(VALU_DEP_4)
	v_dual_max_num_f32 v4, v8, v27 :: v_dual_max_num_f32 v5, v10, v28
	v_dual_max_num_f32 v6, v11, v29 :: v_dual_max_num_f32 v7, v26, v30
	ds_bpermute_b32 v8, v9, v0
	ds_bpermute_b32 v10, v9, v1
	;; [unrolled: 1-line block ×8, first 2 shown]
	v_cndmask_b32_e64 v30, v156, v181, s6
	v_cmp_gt_i32_e64 s6, 32, v182
	s_wait_dscnt 0x6
	v_dual_max_num_f32 v8, v8, v8 :: v_dual_max_num_f32 v10, v10, v10
	s_wait_dscnt 0x5
	v_dual_max_num_f32 v11, v11, v11 :: v_dual_lshlrev_b32 v30, 2, v30
	s_wait_dscnt 0x3
	v_dual_max_num_f32 v26, v26, v26 :: v_dual_max_num_f32 v27, v27, v27
	s_wait_dscnt 0x1
	v_dual_max_num_f32 v28, v28, v28 :: v_dual_max_num_f32 v29, v29, v29
	;; [unrolled: 2-line block ×3, first 2 shown]
	v_dual_max_num_f32 v1, v1, v10 :: v_dual_max_num_f32 v2, v2, v11
	v_dual_max_num_f32 v3, v3, v26 :: v_dual_max_num_f32 v4, v4, v27
	;; [unrolled: 1-line block ×3, first 2 shown]
	s_delay_alu instid0(VALU_DEP_4)
	v_max_num_f32_e32 v7, v7, v9
	ds_bpermute_b32 v8, v30, v0
	ds_bpermute_b32 v9, v30, v1
	;; [unrolled: 1-line block ×8, first 2 shown]
	v_cndmask_b32_e64 v30, v156, v182, s6
	v_cmp_gt_i32_e64 s6, 32, v183
	s_wait_dscnt 0x6
	v_dual_max_num_f32 v8, v8, v8 :: v_dual_max_num_f32 v9, v9, v9
	s_delay_alu instid0(VALU_DEP_3)
	v_lshlrev_b32_e32 v30, 2, v30
	s_wait_dscnt 0x4
	v_dual_max_num_f32 v10, v10, v10 :: v_dual_max_num_f32 v11, v11, v11
	s_wait_dscnt 0x2
	v_dual_max_num_f32 v26, v26, v26 :: v_dual_max_num_f32 v27, v27, v27
	;; [unrolled: 2-line block ×3, first 2 shown]
	v_dual_max_num_f32 v0, v0, v8 :: v_dual_max_num_f32 v1, v1, v9
	v_dual_max_num_f32 v2, v2, v10 :: v_dual_max_num_f32 v3, v3, v11
	;; [unrolled: 1-line block ×3, first 2 shown]
	s_delay_alu instid0(VALU_DEP_4)
	v_dual_max_num_f32 v6, v6, v28 :: v_dual_max_num_f32 v7, v7, v29
	ds_bpermute_b32 v8, v30, v0
	ds_bpermute_b32 v9, v30, v1
	;; [unrolled: 1-line block ×8, first 2 shown]
	v_cndmask_b32_e64 v30, v156, v183, s6
	v_cmp_gt_i32_e64 s6, 32, v185
	s_wait_dscnt 0x6
	v_dual_max_num_f32 v8, v8, v8 :: v_dual_max_num_f32 v9, v9, v9
	s_wait_dscnt 0x5
	v_max_num_f32_e32 v10, v10, v10
	s_wait_dscnt 0x4
	v_dual_max_num_f32 v11, v11, v11 :: v_dual_lshlrev_b32 v30, 2, v30
	s_wait_dscnt 0x2
	v_dual_max_num_f32 v26, v26, v26 :: v_dual_max_num_f32 v27, v27, v27
	s_wait_dscnt 0x0
	v_dual_max_num_f32 v28, v28, v28 :: v_dual_max_num_f32 v29, v29, v29
	v_dual_max_num_f32 v0, v0, v8 :: v_dual_max_num_f32 v1, v1, v9
	;; [unrolled: 1-line block ×4, first 2 shown]
	s_delay_alu instid0(VALU_DEP_4)
	v_max_num_f32_e32 v6, v6, v28
	ds_bpermute_b32 v8, v30, v0
	ds_bpermute_b32 v10, v30, v2
	v_max_num_f32_e32 v7, v7, v29
	ds_bpermute_b32 v9, v30, v1
	ds_bpermute_b32 v11, v30, v3
	;; [unrolled: 1-line block ×6, first 2 shown]
	v_cndmask_b32_e64 v30, v156, v185, s6
	s_wait_dscnt 0x6
	v_dual_max_num_f32 v8, v8, v8 :: v_dual_max_num_f32 v10, v10, v10
	s_wait_dscnt 0x5
	s_delay_alu instid0(VALU_DEP_2)
	v_dual_max_num_f32 v9, v9, v9 :: v_dual_lshlrev_b32 v30, 2, v30
	s_wait_dscnt 0x3
	v_dual_max_num_f32 v11, v11, v11 :: v_dual_max_num_f32 v26, v26, v26
	s_wait_dscnt 0x2
	v_max_num_f32_e32 v28, v28, v28
	v_dual_max_num_f32 v0, v0, v8 :: v_dual_max_num_f32 v1, v1, v9
	s_wait_dscnt 0x0
	v_dual_max_num_f32 v27, v27, v27 :: v_dual_max_num_f32 v29, v29, v29
	v_dual_max_num_f32 v2, v2, v10 :: v_dual_max_num_f32 v3, v3, v11
	s_delay_alu instid0(VALU_DEP_2) | instskip(NEXT) | instid1(VALU_DEP_3)
	v_dual_max_num_f32 v4, v4, v26 :: v_dual_max_num_f32 v5, v5, v27
	v_dual_max_num_f32 v6, v6, v28 :: v_dual_max_num_f32 v7, v7, v29
	ds_bpermute_b32 v8, v30, v0
	ds_bpermute_b32 v9, v30, v1
	;; [unrolled: 1-line block ×8, first 2 shown]
	s_wait_dscnt 0x6
	v_dual_max_num_f32 v8, v8, v8 :: v_dual_max_num_f32 v9, v9, v9
	s_wait_dscnt 0x4
	v_dual_max_num_f32 v10, v10, v10 :: v_dual_max_num_f32 v11, v11, v11
	;; [unrolled: 2-line block ×3, first 2 shown]
	v_dual_max_num_f32 v0, v0, v8 :: v_dual_max_num_f32 v1, v1, v9
	s_wait_dscnt 0x0
	v_dual_max_num_f32 v27, v27, v27 :: v_dual_max_num_f32 v29, v29, v29
	v_dual_max_num_f32 v2, v2, v10 :: v_dual_max_num_f32 v3, v3, v11
	s_delay_alu instid0(VALU_DEP_2) | instskip(NEXT) | instid1(VALU_DEP_3)
	v_dual_max_num_f32 v4, v4, v26 :: v_dual_max_num_f32 v5, v5, v27
	v_dual_max_num_f32 v6, v6, v28 :: v_dual_max_num_f32 v7, v7, v29
	v_dual_sub_f32 v8, v18, v0 :: v_dual_sub_f32 v9, v19, v1
	s_delay_alu instid0(VALU_DEP_4) | instskip(NEXT) | instid1(VALU_DEP_4)
	v_dual_sub_f32 v10, v20, v2 :: v_dual_sub_f32 v11, v21, v3
	v_dual_sub_f32 v18, v22, v4 :: v_dual_sub_f32 v19, v23, v5
	s_delay_alu instid0(VALU_DEP_4) | instskip(NEXT) | instid1(VALU_DEP_4)
	v_dual_sub_f32 v20, v24, v6 :: v_dual_sub_f32 v21, v25, v7
	v_dual_mul_f32 v22, 0x3fb8aa3b, v8 :: v_dual_mul_f32 v23, 0x3fb8aa3b, v9
	s_delay_alu instid0(VALU_DEP_4) | instskip(NEXT) | instid1(VALU_DEP_3)
	v_dual_mul_f32 v24, 0x3fb8aa3b, v10 :: v_dual_mul_f32 v25, 0x3fb8aa3b, v11
	v_dual_mul_f32 v28, 0x3fb8aa3b, v20 :: v_dual_mul_f32 v29, 0x3fb8aa3b, v21
	s_delay_alu instid0(VALU_DEP_3)
	v_fma_f32 v30, 0x3fb8aa3b, v8, -v22
	v_rndne_f32_e32 v31, v22
	v_fma_f32 v32, 0x3fb8aa3b, v9, -v23
	v_rndne_f32_e32 v33, v23
	;; [unrolled: 2-line block ×3, first 2 shown]
	v_rndne_f32_e32 v43, v28
	s_delay_alu instid0(VALU_DEP_4) | instskip(NEXT) | instid1(VALU_DEP_3)
	v_dual_fmac_f32 v30, 0x32a5705f, v8 :: v_dual_sub_f32 v23, v23, v33
	v_dual_sub_f32 v22, v22, v31 :: v_dual_sub_f32 v25, v25, v37
	v_dual_mul_f32 v26, 0x3fb8aa3b, v18 :: v_dual_mul_f32 v27, 0x3fb8aa3b, v19
	v_fma_f32 v34, 0x3fb8aa3b, v10, -v24
	v_rndne_f32_e32 v35, v24
	v_fma_f32 v42, 0x3fb8aa3b, v20, -v28
	v_fmac_f32_e32 v36, 0x32a5705f, v11
	v_fmac_f32_e32 v32, 0x32a5705f, v9
	v_dual_sub_f32 v28, v28, v43 :: v_dual_add_f32 v22, v22, v30
	v_rndne_f32_e32 v39, v26
	v_rndne_f32_e32 v41, v27
	v_fma_f32 v44, 0x3fb8aa3b, v21, -v29
	v_rndne_f32_e32 v45, v29
	v_fmac_f32_e32 v34, 0x32a5705f, v10
	v_dual_sub_f32 v24, v24, v35 :: v_dual_add_f32 v25, v25, v36
	v_add_f32_e32 v23, v23, v32
	v_exp_f32_e32 v22, v22
	v_cvt_i32_f32_e32 v31, v31
	v_fma_f32 v38, 0x3fb8aa3b, v18, -v26
	v_fma_f32 v40, 0x3fb8aa3b, v19, -v27
	v_sub_f32_e32 v27, v27, v41
	v_fmac_f32_e32 v44, 0x32a5705f, v21
	v_dual_sub_f32 v29, v29, v45 :: v_dual_sub_f32 v26, v26, v39
	v_add_f32_e32 v24, v24, v34
	v_exp_f32_e32 v23, v23
	v_exp_f32_e32 v25, v25
	v_cvt_i32_f32_e32 v33, v33
	v_cvt_i32_f32_e32 v37, v37
	v_ldexp_f32 v22, v22, v31
	v_cmp_ngt_f32_e64 s6, 0xc2ce8ed0, v8
	v_dual_fmac_f32 v40, 0x32a5705f, v19 :: v_dual_add_f32 v29, v29, v44
	v_fmac_f32_e32 v38, 0x32a5705f, v18
	v_exp_f32_e32 v24, v24
	v_cvt_i32_f32_e32 v35, v35
	v_ldexp_f32 v23, v23, v33
	v_ldexp_f32 v25, v25, v37
	v_cndmask_b32_e64 v22, 0, v22, s6
	v_cmp_ngt_f32_e64 s6, 0xc2ce8ed0, v9
	v_dual_add_f32 v27, v27, v40 :: v_dual_add_f32 v26, v26, v38
	v_fmac_f32_e32 v42, 0x32a5705f, v20
	v_ldexp_f32 v24, v24, v35
	s_delay_alu instid0(VALU_DEP_4)
	v_cndmask_b32_e64 v23, 0, v23, s6
	v_cmp_ngt_f32_e64 s6, 0xc2ce8ed0, v10
	v_exp_f32_e32 v26, v26
	v_cvt_i32_f32_e32 v39, v39
	v_add_f32_e32 v28, v28, v42
	v_exp_f32_e32 v27, v27
	v_cndmask_b32_e64 v24, 0, v24, s6
	v_cmp_ngt_f32_e64 s6, 0xc2ce8ed0, v11
	v_cvt_i32_f32_e32 v41, v41
	v_ldexp_f32 v26, v26, v39
	v_exp_f32_e32 v28, v28
	v_cvt_i32_f32_e32 v43, v43
	v_cndmask_b32_e64 v25, 0, v25, s6
	v_cmp_ngt_f32_e64 s6, 0xc2ce8ed0, v18
	v_ldexp_f32 v27, v27, v41
	v_exp_f32_e32 v29, v29
	v_cvt_i32_f32_e32 v45, v45
	v_ldexp_f32 v28, v28, v43
	v_cndmask_b32_e64 v26, 0, v26, s6
	v_cmp_ngt_f32_e64 s6, 0xc2ce8ed0, v19
	s_delay_alu instid0(TRANS32_DEP_1) | instid1(VALU_DEP_4)
	v_ldexp_f32 v29, v29, v45
	s_delay_alu instid0(VALU_DEP_2) | instskip(SKIP_1) | instid1(VALU_DEP_1)
	v_cndmask_b32_e64 v27, 0, v27, s6
	v_cmp_ngt_f32_e64 s6, 0xc2ce8ed0, v20
	v_cndmask_b32_e64 v28, 0, v28, s6
	v_cmp_ngt_f32_e64 s6, 0xc2ce8ed0, v21
	s_delay_alu instid0(VALU_DEP_1) | instskip(SKIP_1) | instid1(VALU_DEP_1)
	v_cndmask_b32_e64 v29, 0, v29, s6
	v_cmp_nlt_f32_e64 s6, 0x42b17218, v8
	v_cndmask_b32_e64 v126, 0x7f800000, v22, s6
	v_cmp_nlt_f32_e64 s6, 0x42b17218, v10
	s_delay_alu instid0(VALU_DEP_1) | instskip(SKIP_1) | instid1(VALU_DEP_1)
	v_cndmask_b32_e64 v128, 0x7f800000, v24, s6
	v_cmp_nlt_f32_e64 s6, 0x42b17218, v11
	v_cndmask_b32_e64 v129, 0x7f800000, v25, s6
	v_cmp_nlt_f32_e64 s6, 0x42b17218, v18
	;; [unrolled: 5-line block ×3, first 2 shown]
	s_delay_alu instid0(VALU_DEP_1) | instskip(SKIP_1) | instid1(VALU_DEP_2)
	v_cndmask_b32_e64 v133, 0x7f800000, v29, s6
	v_cmp_nlt_f32_e64 s6, 0x42b17218, v19
	v_cvt_pk_f16_f32 v11, v132, v133
	s_delay_alu instid0(VALU_DEP_2) | instskip(SKIP_2) | instid1(VALU_DEP_3)
	v_cndmask_b32_e64 v131, 0x7f800000, v27, s6
	v_cmp_nlt_f32_e64 s6, 0x42b17218, v9
	v_cvt_pk_f16_f32 v9, v128, v129
	v_cvt_pk_f16_f32 v10, v130, v131
	s_delay_alu instid0(VALU_DEP_3) | instskip(SKIP_1) | instid1(SALU_CYCLE_1)
	v_cndmask_b32_e64 v127, 0x7f800000, v23, s6
	s_mul_u64 s[6:7], s[22:23], s[36:37]
	s_lshl_b64 s[6:7], s[6:7], 2
	s_delay_alu instid0(VALU_DEP_1)
	v_cvt_pk_f16_f32 v8, v126, v127
	s_add_nc_u64 s[6:7], s[50:51], s[6:7]
	ds_store_b128 v163, v[8:11]
	s_wait_xcnt 0x0
	s_and_saveexec_b32 s8, s4
	s_cbranch_execz .LBB33_33
; %bb.32:                               ;   in Loop: Header=BB33_23 Depth=1
	v_lshl_add_u64 v[8:9], v[122:123], 2, s[6:7]
	v_mov_b32_e32 v117, v105
	s_delay_alu instid0(VALU_DEP_1)
	v_add_nc_u64_e32 v[8:9], v[8:9], v[116:117]
	global_load_b128 v[8:11], v[8:9], off offset:128
	s_wait_loadcnt 0x0
	ds_store_b128 v168, v[8:11]
.LBB33_33:                              ;   in Loop: Header=BB33_23 Depth=1
	s_or_b32 exec_lo, exec_lo, s8
	v_lshlrev_b32_e32 v134, 2, v114
	s_and_saveexec_b32 s8, s5
	s_cbranch_execz .LBB33_35
; %bb.34:                               ;   in Loop: Header=BB33_23 Depth=1
	v_lshl_add_u64 v[8:9], v[124:125], 2, s[6:7]
	v_mov_b32_e32 v135, v105
	s_delay_alu instid0(VALU_DEP_1)
	v_add_nc_u64_e32 v[8:9], v[8:9], v[134:135]
	global_load_b128 v[8:11], v[8:9], off
	s_wait_loadcnt 0x0
	ds_store_b128 v167, v[8:11]
.LBB33_35:                              ;   in Loop: Header=BB33_23 Depth=1
	s_or_b32 exec_lo, exec_lo, s8
	v_dual_sub_f32 v137, v137, v7 :: v_dual_add_nc_u32 v188, 0x4000, v150
	v_add_nc_u32_e32 v187, 0x4400, v150
	s_wait_dscnt 0x0
	s_barrier_signal -1
	s_barrier_wait -1
	ds_load_2addr_b64 v[36:39], v188 offset1:24
	ds_load_b128 v[100:103], v161
	ds_load_b128 v[96:99], v161 offset:16
	ds_load_b128 v[92:95], v161 offset:32
	;; [unrolled: 1-line block ×3, first 2 shown]
	ds_load_2addr_b64 v[32:35], v188 offset0:48 offset1:72
	ds_load_2addr_b64 v[28:31], v188 offset0:96 offset1:120
	ds_load_b128 v[84:87], v161 offset:64
	ds_load_b128 v[80:83], v161 offset:80
	ds_load_2addr_b64 v[24:27], v188 offset0:144 offset1:168
	ds_load_b128 v[76:79], v161 offset:96
	ds_load_b128 v[72:75], v161 offset:112
	v_dual_sub_f32 v189, v12, v0 :: v_dual_sub_f32 v190, v17, v1
	v_dual_sub_f32 v191, v16, v2 :: v_dual_sub_f32 v139, v15, v3
	v_dual_sub_f32 v140, v14, v4 :: v_dual_sub_f32 v138, v13, v5
	ds_load_2addr_b64 v[20:23], v188 offset0:192 offset1:216
	v_add_nc_u32_e32 v186, 0x4800, v150
	ds_load_b128 v[68:71], v161 offset:128
	ds_load_b128 v[64:67], v161 offset:144
	ds_load_2addr_b64 v[16:19], v187 offset0:112 offset1:136
	ds_load_b128 v[60:63], v161 offset:160
	ds_load_b128 v[56:59], v161 offset:176
	ds_load_2addr_b64 v[12:15], v186 offset0:32 offset1:56
	;; [unrolled: 3-line block ×3, first 2 shown]
	ds_load_b128 v[44:47], v161 offset:224
	ds_load_b128 v[40:43], v161 offset:240
	v_sub_f32_e32 v141, v136, v6
	s_or_b32 s52, s22, 16
	v_cmp_ngt_f32_e64 s19, 0xc2ce8ed0, v189
	s_ashr_i32 s53, s52, 31
	v_cmp_nlt_f32_e64 s14, 0x42b17218, v189
	s_mul_u64 s[52:53], s[52:53], s[36:37]
	v_cmp_ngt_f32_e64 s20, 0xc2ce8ed0, v190
	v_cmp_nlt_f32_e64 s16, 0x42b17218, v190
	v_cmp_ngt_f32_e64 s21, 0xc2ce8ed0, v191
	v_cmp_nlt_f32_e64 s18, 0x42b17218, v191
	;; [unrolled: 2-line block ×7, first 2 shown]
	s_lshl_b64 s[52:53], s[52:53], 2
	s_wait_dscnt 0x0
	s_add_nc_u64 s[52:53], s[50:51], s[52:53]
	s_barrier_signal -1
	s_barrier_wait -1
	s_and_saveexec_b32 s23, s4
	s_cbranch_execz .LBB33_37
; %bb.36:                               ;   in Loop: Header=BB33_23 Depth=1
	v_lshl_add_u64 v[192:193], v[122:123], 2, s[52:53]
	v_mov_b32_e32 v117, v105
	s_delay_alu instid0(VALU_DEP_1)
	v_add_nc_u64_e32 v[192:193], v[192:193], v[116:117]
	global_load_b128 v[192:195], v[192:193], off offset:128
	s_wait_loadcnt 0x0
	ds_store_b128 v168, v[192:195]
.LBB33_37:                              ;   in Loop: Header=BB33_23 Depth=1
	s_or_b32 exec_lo, exec_lo, s23
	s_and_saveexec_b32 s23, s5
	s_cbranch_execz .LBB33_39
; %bb.38:                               ;   in Loop: Header=BB33_23 Depth=1
	v_lshl_add_u64 v[192:193], v[124:125], 2, s[52:53]
	v_mov_b32_e32 v135, v105
	s_delay_alu instid0(VALU_DEP_1)
	v_add_nc_u64_e32 v[134:135], v[192:193], v[134:135]
	global_load_b128 v[192:195], v[134:135], off
	s_wait_loadcnt 0x0
	ds_store_b128 v167, v[192:195]
.LBB33_39:                              ;   in Loop: Header=BB33_23 Depth=1
	s_or_b32 exec_lo, exec_lo, s23
	v_dual_mul_f32 v117, 0x3fb8aa3b, v189 :: v_dual_mul_f32 v134, 0x3fb8aa3b, v190
	v_dual_lshrrev_b32 v201, 16, v97 :: v_dual_lshrrev_b32 v203, 16, v99
	v_and_b32_e32 v97, 0xffff, v97
	s_delay_alu instid0(VALU_DEP_3) | instskip(SKIP_4) | instid1(VALU_DEP_4)
	v_fma_f32 v136, 0x3fb8aa3b, v189, -v117
	v_rndne_f32_e32 v192, v117
	v_rndne_f32_e32 v194, v134
	v_mul_f32_e32 v135, 0x3fb8aa3b, v191
	v_fma_f32 v193, 0x3fb8aa3b, v190, -v134
	v_dual_fmac_f32 v136, 0x32a5705f, v189 :: v_dual_sub_f32 v117, v117, v192
	s_delay_alu instid0(VALU_DEP_4) | instskip(NEXT) | instid1(VALU_DEP_4)
	v_sub_f32_e32 v134, v134, v194
	v_fma_f32 v195, 0x3fb8aa3b, v191, -v135
	s_delay_alu instid0(VALU_DEP_4)
	v_fmac_f32_e32 v193, 0x32a5705f, v190
	v_rndne_f32_e32 v196, v135
	v_cvt_i32_f32_e32 v189, v194
	v_and_b32_e32 v99, 0xffff, v99
	v_fmac_f32_e32 v195, 0x32a5705f, v191
	v_add_f32_e32 v117, v117, v136
	v_cvt_i32_f32_e32 v136, v192
	v_cvt_i32_f32_e32 v190, v196
	v_dual_mul_f32 v191, 0x3fb8aa3b, v139 :: v_dual_mul_f32 v192, 0x3fb8aa3b, v140
	s_delay_alu instid0(VALU_DEP_4) | instskip(SKIP_1) | instid1(VALU_DEP_2)
	v_exp_f32_e32 v117, v117
	v_dual_lshrrev_b32 v204, 16, v92 :: v_dual_lshrrev_b32 v205, 16, v93
	v_rndne_f32_e32 v194, v191
	v_and_b32_e32 v92, 0xffff, v92
	v_mul_u32_u24_e32 v97, 0x10001, v97
	v_mul_u32_u24_e32 v201, 0x10001, v201
	s_delay_alu instid0(TRANS32_DEP_1) | instskip(SKIP_4) | instid1(VALU_DEP_4)
	v_ldexp_f32 v117, v117, v136
	v_sub_f32_e32 v135, v135, v196
	v_mul_u32_u24_e32 v99, 0x10001, v99
	v_mul_u32_u24_e32 v203, 0x10001, v203
	v_dual_lshrrev_b32 v206, 16, v94 :: v_dual_lshrrev_b32 v207, 16, v95
	v_dual_cndmask_b32 v117, 0, v117, s19 :: v_dual_add_f32 v135, v135, v195
	v_fma_f32 v195, 0x3fb8aa3b, v140, -v192
	v_and_b32_e32 v93, 0xffff, v93
	v_mul_u32_u24_e32 v92, 0x10001, v92
	v_and_b32_e32 v94, 0xffff, v94
	v_exp_f32_e32 v135, v135
	v_and_b32_e32 v95, 0xffff, v95
	v_dual_lshrrev_b32 v208, 16, v88 :: v_dual_lshrrev_b32 v209, 16, v89
	v_and_b32_e32 v88, 0xffff, v88
	v_mul_u32_u24_e32 v204, 0x10001, v204
	v_mul_u32_u24_e32 v93, 0x10001, v93
	s_delay_alu instid0(TRANS32_DEP_1)
	v_ldexp_f32 v135, v135, v190
	v_fma_f32 v190, 0x3fb8aa3b, v139, -v191
	v_sub_f32_e32 v191, v191, v194
	v_mul_u32_u24_e32 v205, 0x10001, v205
	v_mul_u32_u24_e32 v94, 0x10001, v94
	;; [unrolled: 1-line block ×3, first 2 shown]
	v_fmac_f32_e32 v190, 0x32a5705f, v139
	v_dual_add_f32 v134, v134, v193 :: v_dual_fmac_f32 v195, 0x32a5705f, v140
	v_mul_u32_u24_e32 v95, 0x10001, v95
	v_mul_u32_u24_e32 v207, 0x10001, v207
	s_delay_alu instid0(VALU_DEP_4) | instskip(NEXT) | instid1(VALU_DEP_4)
	v_add_f32_e32 v190, v191, v190
	v_exp_f32_e32 v134, v134
	v_dual_lshrrev_b32 v210, 16, v90 :: v_dual_lshrrev_b32 v211, 16, v91
	v_and_b32_e32 v89, 0xffff, v89
	v_cndmask_b32_e64 v193, 0, v135, s21
	v_mul_u32_u24_e32 v88, 0x10001, v88
	v_and_b32_e32 v90, 0xffff, v90
	s_delay_alu instid0(TRANS32_DEP_1) | instskip(SKIP_3) | instid1(VALU_DEP_4)
	v_ldexp_f32 v134, v134, v189
	v_and_b32_e32 v91, 0xffff, v91
	v_dual_lshrrev_b32 v212, 16, v84 :: v_dual_lshrrev_b32 v213, 16, v85
	v_and_b32_e32 v84, 0xffff, v84
	v_cndmask_b32_e64 v136, 0, v134, s20
	v_cndmask_b32_e64 v134, 0x7f800000, v117, s14
	v_rndne_f32_e32 v117, v192
	v_mul_f32_e32 v189, 0x3fb8aa3b, v138
	v_mul_u32_u24_e32 v208, 0x10001, v208
	v_cndmask_b32_e64 v135, 0x7f800000, v136, s16
	v_cvt_f16_f32_e64 v139, v134
	v_cndmask_b32_e64 v136, 0x7f800000, v193, s18
	v_sub_f32_e32 v192, v192, v117
	v_cvt_i32_f32_e32 v117, v117
	v_cvt_f16_f32_e64 v193, v135
	v_and_b32_e32 v139, 0xffff, v139
	v_cvt_f16_f32_e64 v196, v136
	v_dual_add_f32 v192, v192, v195 :: v_dual_mul_f32 v195, 0x3fb8aa3b, v137
	s_delay_alu instid0(VALU_DEP_4) | instskip(NEXT) | instid1(VALU_DEP_4)
	v_and_b32_e32 v140, 0xffff, v193
	v_mul_u32_u24_e32 v191, 0x10001, v139
	v_fma_f32 v139, 0x3fb8aa3b, v138, -v189
	v_and_b32_e32 v193, 0xffff, v196
	v_fma_f32 v199, 0x3fb8aa3b, v137, -v195
	v_mul_u32_u24_e32 v196, 0x10001, v140
	v_exp_f32_e32 v140, v190
	v_nop
	v_mul_f32_e32 v190, 0x3fb8aa3b, v141
	v_fmac_f32_e32 v139, 0x32a5705f, v138
	v_rndne_f32_e32 v138, v189
	v_rndne_f32_e32 v200, v195
	v_dual_fmac_f32 v199, 0x32a5705f, v137 :: v_dual_lshrrev_b32 v202, 16, v98
	v_fma_f32 v197, 0x3fb8aa3b, v141, -v190
	v_rndne_f32_e32 v198, v190
	s_delay_alu instid0(VALU_DEP_4) | instskip(SKIP_1) | instid1(VALU_DEP_4)
	v_dual_sub_f32 v189, v189, v138 :: v_dual_sub_f32 v137, v195, v200
	v_cvt_i32_f32_e32 v138, v138
	v_fmac_f32_e32 v197, 0x32a5705f, v141
	s_delay_alu instid0(VALU_DEP_4)
	v_sub_f32_e32 v141, v190, v198
	v_cvt_i32_f32_e32 v190, v194
	v_cvt_i32_f32_e32 v194, v200
	v_dual_add_f32 v139, v189, v139 :: v_dual_lshrrev_b32 v200, 16, v96
	v_exp_f32_e32 v189, v192
	v_nop
	v_cvt_i32_f32_e32 v192, v198
	v_ldexp_f32 v140, v140, v190
	v_dual_add_f32 v141, v141, v197 :: v_dual_lshrrev_b32 v198, 16, v102
	v_exp_f32_e32 v139, v139
	v_mul_u32_u24_e32 v193, 0x10001, v193
	v_ldexp_f32 v117, v189, v117
	v_dual_add_f32 v137, v137, v199 :: v_dual_cndmask_b32 v140, 0, v140, s7
	v_exp_f32_e32 v141, v141
	s_delay_alu instid0(VALU_DEP_2) | instskip(NEXT) | instid1(VALU_DEP_2)
	v_dual_lshrrev_b32 v195, 16, v100 :: v_dual_cndmask_b32 v117, 0, v117, s10
	v_exp_f32_e32 v137, v137
	v_ldexp_f32 v138, v139, v138
	v_and_b32_e32 v100, 0xffff, v100
	v_dual_lshrrev_b32 v197, 16, v101 :: v_dual_lshrrev_b32 v199, 16, v103
	s_delay_alu instid0(TRANS32_DEP_2) | instskip(NEXT) | instid1(VALU_DEP_4)
	v_ldexp_f32 v139, v141, v192
	v_cndmask_b32_e64 v141, 0, v138, s12
	s_delay_alu instid0(TRANS32_DEP_1)
	v_ldexp_f32 v137, v137, v194
	v_cndmask_b32_e64 v138, 0x7f800000, v117, s8
	v_and_b32_e32 v101, 0xffff, v101
	v_cndmask_b32_e64 v189, 0, v139, s13
	v_cndmask_b32_e64 v139, 0x7f800000, v141, s9
	;; [unrolled: 1-line block ×4, first 2 shown]
	v_mul_u32_u24_e32 v100, 0x10001, v100
	v_cndmask_b32_e64 v140, 0x7f800000, v189, s11
	v_cvt_f16_f32_e64 v189, v138
	v_cndmask_b32_e64 v141, 0x7f800000, v190, s17
	v_cvt_f16_f32_e64 v117, v137
	v_cvt_f16_f32_e64 v190, v139
	;; [unrolled: 1-line block ×3, first 2 shown]
	v_and_b32_e32 v189, 0xffff, v189
	v_cvt_f16_f32_e64 v194, v141
	v_and_b32_e32 v117, 0xffff, v117
	v_and_b32_e32 v190, 0xffff, v190
	;; [unrolled: 1-line block ×3, first 2 shown]
	v_mul_u32_u24_e32 v189, 0x10001, v189
	v_and_b32_e32 v194, 0xffff, v194
	v_mul_u32_u24_e32 v117, 0x10001, v117
	v_mul_u32_u24_e32 v190, 0x10001, v190
	;; [unrolled: 1-line block ×3, first 2 shown]
	v_and_b32_e32 v102, 0xffff, v102
	v_mul_u32_u24_e32 v194, 0x10001, v194
	v_and_b32_e32 v103, 0xffff, v103
	v_and_b32_e32 v96, 0xffff, v96
	v_pk_mul_f16 v179, v179, v191
	v_mul_u32_u24_e32 v195, 0x10001, v195
	v_mul_u32_u24_e32 v101, 0x10001, v101
	;; [unrolled: 1-line block ×8, first 2 shown]
	v_and_b32_e32 v98, 0xffff, v98
	v_pk_mul_f16 v180, v180, v191
	v_pk_mul_f16 v177, v177, v196
	;; [unrolled: 1-line block ×15, first 2 shown]
	v_pk_fma_f16 v170, v36, v100, v179
	v_mul_u32_u24_e32 v200, 0x10001, v200
	v_mul_u32_u24_e32 v98, 0x10001, v98
	;; [unrolled: 1-line block ×3, first 2 shown]
	v_pk_fma_f16 v177, v36, v195, v177
	v_pk_fma_f16 v175, v36, v101, v175
	;; [unrolled: 1-line block ×32, first 2 shown]
	v_mul_u32_u24_e32 v89, 0x10001, v89
	v_mul_u32_u24_e32 v209, 0x10001, v209
	v_mul_u32_u24_e32 v90, 0x10001, v90
	v_mul_u32_u24_e32 v210, 0x10001, v210
	v_mul_u32_u24_e32 v91, 0x10001, v91
	v_mul_u32_u24_e32 v211, 0x10001, v211
	v_dual_lshrrev_b32 v214, 16, v86 :: v_dual_lshrrev_b32 v215, 16, v87
	v_and_b32_e32 v85, 0xffff, v85
	v_mul_u32_u24_e32 v84, 0x10001, v84
	v_and_b32_e32 v86, 0xffff, v86
	v_and_b32_e32 v87, 0xffff, v87
	v_dual_lshrrev_b32 v216, 16, v80 :: v_dual_lshrrev_b32 v217, 16, v81
	v_and_b32_e32 v80, 0xffff, v80
	v_pk_fma_f16 v102, v32, v204, v155
	v_pk_fma_f16 v103, v32, v93, v162
	v_pk_fma_f16 v117, v32, v205, v169
	v_pk_fma_f16 v151, v32, v94, v164
	v_pk_fma_f16 v152, v32, v206, v157
	v_pk_fma_f16 v154, v32, v95, v154
	v_pk_fma_f16 v32, v32, v207, v36
	v_pk_fma_f16 v36, v33, v92, v38
	v_pk_fma_f16 v38, v33, v204, v96
	v_pk_fma_f16 v92, v33, v93, v97
	v_pk_fma_f16 v93, v33, v205, v100
	v_pk_fma_f16 v94, v33, v94, v98
	v_pk_fma_f16 v96, v33, v206, v101
	v_pk_fma_f16 v95, v33, v95, v99
	v_pk_fma_f16 v33, v33, v207, v37
	v_pk_fma_f16 v37, v34, v88, v39
	v_mul_u32_u24_e32 v212, 0x10001, v212
	v_mul_u32_u24_e32 v85, 0x10001, v85
	v_mul_u32_u24_e32 v213, 0x10001, v213
	v_mul_u32_u24_e32 v86, 0x10001, v86
	v_mul_u32_u24_e32 v214, 0x10001, v214
	v_mul_u32_u24_e32 v87, 0x10001, v87
	v_mul_u32_u24_e32 v215, 0x10001, v215
	v_dual_lshrrev_b32 v218, 16, v82 :: v_dual_lshrrev_b32 v219, 16, v83
	v_and_b32_e32 v81, 0xffff, v81
	v_mul_u32_u24_e32 v80, 0x10001, v80
	v_and_b32_e32 v82, 0xffff, v82
	v_and_b32_e32 v83, 0xffff, v83
	v_dual_lshrrev_b32 v220, 16, v76 :: v_dual_lshrrev_b32 v221, 16, v77
	v_and_b32_e32 v76, 0xffff, v76
	v_pk_fma_f16 v39, v34, v208, v102
	v_pk_fma_f16 v97, v34, v89, v103
	v_pk_fma_f16 v98, v34, v209, v117
	v_pk_fma_f16 v99, v34, v90, v151
	v_pk_fma_f16 v100, v34, v210, v152
	v_pk_fma_f16 v101, v34, v91, v154
	v_pk_fma_f16 v32, v34, v211, v32
	v_pk_fma_f16 v34, v35, v88, v36
	v_pk_fma_f16 v36, v35, v208, v38
	v_pk_fma_f16 v38, v35, v89, v92
	v_pk_fma_f16 v88, v35, v209, v93
	v_pk_fma_f16 v89, v35, v90, v94
	v_pk_fma_f16 v90, v35, v210, v96
	v_pk_fma_f16 v91, v35, v91, v95
	v_pk_fma_f16 v33, v35, v211, v33
	v_pk_fma_f16 v35, v28, v84, v37
	v_mul_u32_u24_e32 v216, 0x10001, v216
	;; [unrolled: 30-line block ×10, first 2 shown]
	v_mul_u32_u24_e32 v49, 0x10001, v49
	v_mul_u32_u24_e32 v249, 0x10001, v249
	;; [unrolled: 1-line block ×6, first 2 shown]
	v_dual_lshrrev_b32 v254, 16, v46 :: v_dual_lshrrev_b32 v255, 16, v47
	v_and_b32_e32 v45, 0xffff, v45
	v_mul_u32_u24_e32 v44, 0x10001, v44
	v_and_b32_e32 v46, 0xffff, v46
	v_and_b32_e32 v47, 0xffff, v47
	s_set_vgpr_msb 64                       ;  msbs: dst=1 src0=0 src1=0 src2=0
	v_dual_lshrrev_b32 v0 /*v256*/, 16, v40 :: v_dual_lshrrev_b32 v1 /*v257*/, 16, v41
	s_set_vgpr_msb 0                        ;  msbs: dst=0 src0=0 src1=0 src2=0
	v_and_b32_e32 v40, 0xffff, v40
	v_pk_fma_f16 v21, v12, v244, v23
	v_pk_fma_f16 v23, v12, v53, v25
	;; [unrolled: 1-line block ×16, first 2 shown]
	v_mul_u32_u24_e32 v252, 0x10001, v252
	v_mul_u32_u24_e32 v45, 0x10001, v45
	;; [unrolled: 1-line block ×8, first 2 shown]
	v_pk_fma_f16 v19, v14, v248, v21
	v_pk_fma_f16 v21, v14, v49, v23
	;; [unrolled: 1-line block ×32, first 2 shown]
	s_wait_dscnt 0x0
	s_barrier_signal -1
	s_barrier_wait -1
	ds_load_b128 v[12:15], v161 offset:256
	s_set_vgpr_msb 64                       ;  msbs: dst=1 src0=0 src1=0 src2=0
	v_dual_lshrrev_b32 v2 /*v258*/, 16, v42 :: v_dual_lshrrev_b32 v3 /*v259*/, 16, v43
	s_set_vgpr_msb 0                        ;  msbs: dst=0 src0=0 src1=0 src2=0
	v_and_b32_e32 v41, 0xffff, v41
	v_and_b32_e32 v42, 0xffff, v42
	;; [unrolled: 1-line block ×3, first 2 shown]
	s_set_vgpr_msb 0x44                     ;  msbs: dst=1 src0=0 src1=1 src2=0
	v_mul_u32_u24_e32 v0 /*v256*/, 0x10001, v0 /*v256*/
	v_mul_u32_u24_e32 v1 /*v257*/, 0x10001, v1 /*v257*/
	s_set_vgpr_msb 0                        ;  msbs: dst=0 src0=0 src1=0 src2=0
	v_mul_u32_u24_e32 v41, 0x10001, v41
	v_mul_u32_u24_e32 v42, 0x10001, v42
	s_set_vgpr_msb 0x44                     ;  msbs: dst=1 src0=0 src1=1 src2=0
	v_mul_u32_u24_e32 v2 /*v258*/, 0x10001, v2 /*v258*/
	s_set_vgpr_msb 0                        ;  msbs: dst=0 src0=0 src1=0 src2=0
	v_mul_u32_u24_e32 v43, 0x10001, v43
	s_set_vgpr_msb 0x44                     ;  msbs: dst=1 src0=0 src1=1 src2=0
	v_mul_u32_u24_e32 v3 /*v259*/, 0x10001, v3 /*v259*/
	s_set_vgpr_msb 4                        ;  msbs: dst=0 src0=0 src1=1 src2=0
	v_pk_fma_f16 v30, v10, v0 /*v256*/, v17
	s_set_vgpr_msb 0                        ;  msbs: dst=0 src0=0 src1=0 src2=0
	v_pk_fma_f16 v31, v10, v41, v19
	s_set_vgpr_msb 4                        ;  msbs: dst=0 src0=0 src1=1 src2=0
	v_pk_fma_f16 v32, v10, v1 /*v257*/, v21
	s_set_vgpr_msb 0                        ;  msbs: dst=0 src0=0 src1=0 src2=0
	v_pk_fma_f16 v33, v10, v42, v23
	;; [unrolled: 4-line block ×7, first 2 shown]
	s_set_vgpr_msb 4                        ;  msbs: dst=0 src0=0 src1=1 src2=0
	v_pk_fma_f16 v43, v11, v3 /*v259*/, v9
	ds_load_2addr_b64 v[8:11], v188 offset1:24
	ds_load_b128 v[16:19], v161 offset:272
	ds_load_b128 v[20:23], v161 offset:288
	;; [unrolled: 1-line block ×3, first 2 shown]
	s_wait_dscnt 0x4
	s_set_vgpr_msb 0                        ;  msbs: dst=0 src0=0 src1=0 src2=0
	v_dual_lshrrev_b32 v44, 16, v12 :: v_dual_lshrrev_b32 v45, 16, v13
	v_and_b32_e32 v12, 0xffff, v12
	v_dual_lshrrev_b32 v46, 16, v14 :: v_dual_lshrrev_b32 v47, 16, v15
	v_and_b32_e32 v13, 0xffff, v13
	v_and_b32_e32 v14, 0xffff, v14
	;; [unrolled: 1-line block ×3, first 2 shown]
	v_mul_u32_u24_e32 v12, 0x10001, v12
	v_mul_u32_u24_e32 v44, 0x10001, v44
	v_mul_u32_u24_e32 v13, 0x10001, v13
	v_mul_u32_u24_e32 v45, 0x10001, v45
	v_mul_u32_u24_e32 v14, 0x10001, v14
	v_mul_u32_u24_e32 v46, 0x10001, v46
	v_mul_u32_u24_e32 v15, 0x10001, v15
	v_mul_u32_u24_e32 v47, 0x10001, v47
	s_wait_dscnt 0x3
	v_pk_fma_f16 v29, v8, v12, v29
	v_pk_fma_f16 v30, v8, v44, v30
	;; [unrolled: 1-line block ×15, first 2 shown]
	s_wait_dscnt 0x2
	v_dual_lshrrev_b32 v15, 16, v16 :: v_dual_lshrrev_b32 v39, 16, v17
	v_and_b32_e32 v16, 0xffff, v16
	v_dual_lshrrev_b32 v40, 16, v18 :: v_dual_lshrrev_b32 v41, 16, v19
	v_and_b32_e32 v17, 0xffff, v17
	v_and_b32_e32 v18, 0xffff, v18
	;; [unrolled: 1-line block ×3, first 2 shown]
	v_mul_u32_u24_e32 v16, 0x10001, v16
	v_mul_u32_u24_e32 v15, 0x10001, v15
	v_mul_u32_u24_e32 v17, 0x10001, v17
	v_mul_u32_u24_e32 v39, 0x10001, v39
	v_mul_u32_u24_e32 v18, 0x10001, v18
	v_mul_u32_u24_e32 v40, 0x10001, v40
	v_mul_u32_u24_e32 v19, 0x10001, v19
	v_mul_u32_u24_e32 v41, 0x10001, v41
	v_pk_fma_f16 v29, v10, v16, v29
	v_pk_fma_f16 v30, v10, v15, v30
	;; [unrolled: 1-line block ×12, first 2 shown]
	ds_load_2addr_b64 v[12:15], v188 offset0:48 offset1:72
	v_pk_fma_f16 v9, v9, v47, v43
	v_pk_fma_f16 v28, v11, v39, v36
	;; [unrolled: 1-line block ×4, first 2 shown]
	s_wait_dscnt 0x2
	v_lshrrev_b32_e32 v37, 16, v21
	v_pk_fma_f16 v9, v11, v41, v9
	v_lshrrev_b32_e32 v11, 16, v20
	v_and_b32_e32 v20, 0xffff, v20
	v_dual_lshrrev_b32 v38, 16, v22 :: v_dual_lshrrev_b32 v39, 16, v23
	v_and_b32_e32 v21, 0xffff, v21
	v_and_b32_e32 v22, 0xffff, v22
	;; [unrolled: 1-line block ×3, first 2 shown]
	v_mul_u32_u24_e32 v20, 0x10001, v20
	v_mul_u32_u24_e32 v11, 0x10001, v11
	;; [unrolled: 1-line block ×8, first 2 shown]
	s_wait_dscnt 0x0
	v_pk_fma_f16 v29, v12, v20, v29
	v_pk_fma_f16 v30, v12, v11, v30
	;; [unrolled: 1-line block ×16, first 2 shown]
	v_dual_lshrrev_b32 v8, 16, v24 :: v_dual_lshrrev_b32 v10, 16, v25
	v_and_b32_e32 v9, 0xffff, v24
	v_dual_lshrrev_b32 v11, 16, v26 :: v_dual_lshrrev_b32 v19, 16, v27
	v_and_b32_e32 v24, 0xffff, v25
	v_pk_fma_f32 v[106:107], v[106:107], v[140:141], v[132:133]
	s_delay_alu instid0(VALU_DEP_4)
	v_mul_u32_u24_e32 v25, 0x10001, v9
	v_and_b32_e32 v9, 0xffff, v26
	v_mul_u32_u24_e32 v26, 0x10001, v8
	v_and_b32_e32 v8, 0xffff, v27
	v_mul_u32_u24_e32 v27, 0x10001, v10
	v_mul_u32_u24_e32 v36, 0x10001, v11
	v_mul_u32_u24_e32 v28, 0x10001, v9
	v_mul_u32_u24_e32 v24, 0x10001, v24
	v_mul_u32_u24_e32 v37, 0x10001, v8
	ds_load_b128 v[8:11], v161 offset:320
	v_mul_u32_u24_e32 v38, 0x10001, v19
	v_pk_fma_f16 v29, v14, v25, v29
	v_pk_fma_f16 v30, v14, v26, v30
	;; [unrolled: 1-line block ×14, first 2 shown]
	ds_load_2addr_b64 v[16:19], v188 offset0:96 offset1:120
	v_pk_fma_f16 v23, v15, v37, v23
	v_pk_fma_f16 v27, v15, v38, v13
	ds_load_b128 v[12:15], v161 offset:336
	s_wait_dscnt 0x2
	v_dual_lshrrev_b32 v28, 16, v8 :: v_dual_lshrrev_b32 v36, 16, v9
	v_and_b32_e32 v8, 0xffff, v8
	v_and_b32_e32 v9, 0xffff, v9
	v_dual_lshrrev_b32 v37, 16, v10 :: v_dual_lshrrev_b32 v38, 16, v11
	v_and_b32_e32 v10, 0xffff, v10
	s_delay_alu instid0(VALU_DEP_4)
	v_mul_u32_u24_e32 v8, 0x10001, v8
	v_and_b32_e32 v11, 0xffff, v11
	v_mul_u32_u24_e32 v9, 0x10001, v9
	v_mul_u32_u24_e32 v28, 0x10001, v28
	v_mul_u32_u24_e32 v36, 0x10001, v36
	v_mul_u32_u24_e32 v10, 0x10001, v10
	v_mul_u32_u24_e32 v37, 0x10001, v37
	v_mul_u32_u24_e32 v11, 0x10001, v11
	v_mul_u32_u24_e32 v38, 0x10001, v38
	s_wait_dscnt 0x1
	v_pk_fma_f16 v29, v16, v8, v29
	v_pk_fma_f16 v31, v16, v9, v31
	;; [unrolled: 1-line block ×4, first 2 shown]
	s_wait_dscnt 0x0
	v_lshrrev_b32_e32 v8, 16, v12
	v_and_b32_e32 v9, 0xffff, v12
	v_pk_fma_f16 v33, v16, v10, v33
	v_pk_fma_f16 v35, v16, v11, v35
	;; [unrolled: 1-line block ×8, first 2 shown]
	v_dual_lshrrev_b32 v10, 16, v13 :: v_dual_lshrrev_b32 v11, 16, v14
	v_lshrrev_b32_e32 v12, 16, v15
	v_mul_u32_u24_e32 v27, 0x10001, v9
	v_and_b32_e32 v9, 0xffff, v14
	v_mul_u32_u24_e32 v14, 0x10001, v8
	v_and_b32_e32 v8, 0xffff, v15
	v_pk_fma_f16 v30, v16, v28, v30
	v_pk_fma_f16 v32, v16, v36, v32
	;; [unrolled: 1-line block ×3, first 2 shown]
	v_and_b32_e32 v13, 0xffff, v13
	v_mul_u32_u24_e32 v15, 0x10001, v10
	v_mul_u32_u24_e32 v28, 0x10001, v9
	;; [unrolled: 1-line block ×4, first 2 shown]
	ds_load_b128 v[8:11], v161 offset:352
	v_pk_fma_f16 v16, v16, v38, v39
	v_mul_u32_u24_e32 v13, 0x10001, v13
	v_mul_u32_u24_e32 v38, 0x10001, v12
	v_pk_fma_f16 v29, v18, v27, v29
	v_pk_fma_f16 v30, v18, v14, v30
	;; [unrolled: 1-line block ×14, first 2 shown]
	ds_load_2addr_b64 v[12:15], v188 offset0:144 offset1:168
	v_pk_fma_f16 v23, v19, v37, v23
	v_pk_fma_f16 v27, v19, v38, v17
	ds_load_b128 v[16:19], v161 offset:368
	s_wait_dscnt 0x2
	v_dual_lshrrev_b32 v28, 16, v8 :: v_dual_lshrrev_b32 v36, 16, v9
	v_and_b32_e32 v8, 0xffff, v8
	v_and_b32_e32 v9, 0xffff, v9
	v_dual_lshrrev_b32 v37, 16, v10 :: v_dual_lshrrev_b32 v38, 16, v11
	v_and_b32_e32 v10, 0xffff, v10
	s_delay_alu instid0(VALU_DEP_4)
	v_mul_u32_u24_e32 v8, 0x10001, v8
	v_and_b32_e32 v11, 0xffff, v11
	v_mul_u32_u24_e32 v9, 0x10001, v9
	v_mul_u32_u24_e32 v28, 0x10001, v28
	;; [unrolled: 1-line block ×7, first 2 shown]
	s_wait_dscnt 0x1
	v_pk_fma_f16 v29, v12, v8, v29
	v_pk_fma_f16 v31, v12, v9, v31
	;; [unrolled: 1-line block ×4, first 2 shown]
	s_wait_dscnt 0x0
	v_lshrrev_b32_e32 v8, 16, v16
	v_and_b32_e32 v9, 0xffff, v16
	v_pk_fma_f16 v33, v12, v10, v33
	v_pk_fma_f16 v35, v12, v11, v35
	v_pk_fma_f16 v25, v13, v28, v25
	v_pk_fma_f16 v21, v13, v36, v21
	v_pk_fma_f16 v26, v13, v10, v26
	v_pk_fma_f16 v22, v13, v37, v22
	v_pk_fma_f16 v23, v13, v11, v23
	v_pk_fma_f16 v13, v13, v38, v27
	v_dual_lshrrev_b32 v10, 16, v17 :: v_dual_lshrrev_b32 v11, 16, v18
	v_lshrrev_b32_e32 v16, 16, v19
	v_mul_u32_u24_e32 v27, 0x10001, v9
	v_and_b32_e32 v9, 0xffff, v18
	v_mul_u32_u24_e32 v18, 0x10001, v8
	v_and_b32_e32 v8, 0xffff, v19
	v_pk_fma_f16 v30, v12, v28, v30
	v_pk_fma_f16 v32, v12, v36, v32
	;; [unrolled: 1-line block ×3, first 2 shown]
	v_and_b32_e32 v17, 0xffff, v17
	v_mul_u32_u24_e32 v19, 0x10001, v10
	v_mul_u32_u24_e32 v28, 0x10001, v9
	;; [unrolled: 1-line block ×4, first 2 shown]
	ds_load_b128 v[8:11], v161 offset:384
	v_pk_fma_f16 v12, v12, v38, v39
	v_mul_u32_u24_e32 v17, 0x10001, v17
	v_mul_u32_u24_e32 v38, 0x10001, v16
	v_pk_fma_f16 v29, v14, v27, v29
	v_pk_fma_f16 v30, v14, v18, v30
	;; [unrolled: 1-line block ×14, first 2 shown]
	ds_load_2addr_b64 v[16:19], v188 offset0:192 offset1:216
	v_pk_fma_f16 v23, v15, v37, v23
	v_pk_fma_f16 v27, v15, v38, v13
	ds_load_b128 v[12:15], v161 offset:400
	s_wait_dscnt 0x2
	v_dual_lshrrev_b32 v28, 16, v8 :: v_dual_lshrrev_b32 v36, 16, v9
	v_and_b32_e32 v8, 0xffff, v8
	v_and_b32_e32 v9, 0xffff, v9
	v_dual_lshrrev_b32 v37, 16, v10 :: v_dual_lshrrev_b32 v38, 16, v11
	v_and_b32_e32 v10, 0xffff, v10
	s_delay_alu instid0(VALU_DEP_4)
	v_mul_u32_u24_e32 v8, 0x10001, v8
	v_and_b32_e32 v11, 0xffff, v11
	v_mul_u32_u24_e32 v9, 0x10001, v9
	v_mul_u32_u24_e32 v28, 0x10001, v28
	;; [unrolled: 1-line block ×7, first 2 shown]
	s_wait_dscnt 0x1
	v_pk_fma_f16 v29, v16, v8, v29
	v_pk_fma_f16 v31, v16, v9, v31
	;; [unrolled: 1-line block ×4, first 2 shown]
	s_wait_dscnt 0x0
	v_lshrrev_b32_e32 v8, 16, v12
	v_and_b32_e32 v9, 0xffff, v12
	v_pk_fma_f16 v33, v16, v10, v33
	v_pk_fma_f16 v35, v16, v11, v35
	;; [unrolled: 1-line block ×8, first 2 shown]
	v_dual_lshrrev_b32 v10, 16, v13 :: v_dual_lshrrev_b32 v11, 16, v14
	v_lshrrev_b32_e32 v12, 16, v15
	v_mul_u32_u24_e32 v27, 0x10001, v9
	v_and_b32_e32 v9, 0xffff, v14
	v_mul_u32_u24_e32 v14, 0x10001, v8
	v_and_b32_e32 v8, 0xffff, v15
	v_pk_fma_f16 v30, v16, v28, v30
	v_pk_fma_f16 v32, v16, v36, v32
	;; [unrolled: 1-line block ×3, first 2 shown]
	v_and_b32_e32 v13, 0xffff, v13
	v_mul_u32_u24_e32 v15, 0x10001, v10
	v_mul_u32_u24_e32 v28, 0x10001, v9
	;; [unrolled: 1-line block ×4, first 2 shown]
	ds_load_b128 v[8:11], v161 offset:416
	v_pk_fma_f16 v16, v16, v38, v39
	v_mul_u32_u24_e32 v13, 0x10001, v13
	v_mul_u32_u24_e32 v38, 0x10001, v12
	v_pk_fma_f16 v29, v18, v27, v29
	v_pk_fma_f16 v30, v18, v14, v30
	;; [unrolled: 1-line block ×14, first 2 shown]
	ds_load_2addr_b64 v[12:15], v187 offset0:112 offset1:136
	v_pk_fma_f16 v23, v19, v37, v23
	v_pk_fma_f16 v27, v19, v38, v17
	ds_load_b128 v[16:19], v161 offset:432
	s_wait_dscnt 0x2
	v_dual_lshrrev_b32 v28, 16, v8 :: v_dual_lshrrev_b32 v36, 16, v9
	v_and_b32_e32 v8, 0xffff, v8
	v_and_b32_e32 v9, 0xffff, v9
	v_dual_lshrrev_b32 v37, 16, v10 :: v_dual_lshrrev_b32 v38, 16, v11
	v_and_b32_e32 v10, 0xffff, v10
	s_delay_alu instid0(VALU_DEP_4)
	v_mul_u32_u24_e32 v8, 0x10001, v8
	v_and_b32_e32 v11, 0xffff, v11
	v_mul_u32_u24_e32 v9, 0x10001, v9
	v_mul_u32_u24_e32 v28, 0x10001, v28
	v_mul_u32_u24_e32 v36, 0x10001, v36
	v_mul_u32_u24_e32 v10, 0x10001, v10
	v_mul_u32_u24_e32 v37, 0x10001, v37
	v_mul_u32_u24_e32 v11, 0x10001, v11
	v_mul_u32_u24_e32 v38, 0x10001, v38
	s_wait_dscnt 0x1
	v_pk_fma_f16 v29, v12, v8, v29
	v_pk_fma_f16 v31, v12, v9, v31
	;; [unrolled: 1-line block ×4, first 2 shown]
	s_wait_dscnt 0x0
	v_lshrrev_b32_e32 v8, 16, v16
	v_and_b32_e32 v9, 0xffff, v16
	v_pk_fma_f16 v33, v12, v10, v33
	v_pk_fma_f16 v35, v12, v11, v35
	;; [unrolled: 1-line block ×8, first 2 shown]
	v_dual_lshrrev_b32 v10, 16, v17 :: v_dual_lshrrev_b32 v11, 16, v18
	v_lshrrev_b32_e32 v16, 16, v19
	v_mul_u32_u24_e32 v27, 0x10001, v9
	v_and_b32_e32 v9, 0xffff, v18
	v_mul_u32_u24_e32 v18, 0x10001, v8
	v_and_b32_e32 v8, 0xffff, v19
	v_pk_fma_f16 v30, v12, v28, v30
	v_pk_fma_f16 v32, v12, v36, v32
	;; [unrolled: 1-line block ×3, first 2 shown]
	v_and_b32_e32 v17, 0xffff, v17
	v_mul_u32_u24_e32 v19, 0x10001, v10
	v_mul_u32_u24_e32 v28, 0x10001, v9
	;; [unrolled: 1-line block ×4, first 2 shown]
	ds_load_b128 v[8:11], v161 offset:448
	v_pk_fma_f16 v12, v12, v38, v39
	v_mul_u32_u24_e32 v17, 0x10001, v17
	v_mul_u32_u24_e32 v38, 0x10001, v16
	v_pk_fma_f16 v29, v14, v27, v29
	v_pk_fma_f16 v30, v14, v18, v30
	;; [unrolled: 1-line block ×14, first 2 shown]
	ds_load_2addr_b64 v[16:19], v186 offset0:32 offset1:56
	v_pk_fma_f16 v23, v15, v37, v23
	v_pk_fma_f16 v27, v15, v38, v13
	ds_load_b128 v[12:15], v161 offset:464
	s_wait_dscnt 0x2
	v_dual_lshrrev_b32 v28, 16, v8 :: v_dual_lshrrev_b32 v36, 16, v9
	v_and_b32_e32 v8, 0xffff, v8
	v_and_b32_e32 v9, 0xffff, v9
	v_dual_lshrrev_b32 v37, 16, v10 :: v_dual_lshrrev_b32 v38, 16, v11
	v_and_b32_e32 v10, 0xffff, v10
	s_delay_alu instid0(VALU_DEP_4)
	v_mul_u32_u24_e32 v8, 0x10001, v8
	v_and_b32_e32 v11, 0xffff, v11
	v_mul_u32_u24_e32 v9, 0x10001, v9
	v_mul_u32_u24_e32 v28, 0x10001, v28
	;; [unrolled: 1-line block ×7, first 2 shown]
	s_wait_dscnt 0x1
	v_pk_fma_f16 v29, v16, v8, v29
	v_pk_fma_f16 v31, v16, v9, v31
	;; [unrolled: 1-line block ×4, first 2 shown]
	s_wait_dscnt 0x0
	v_lshrrev_b32_e32 v8, 16, v12
	v_and_b32_e32 v9, 0xffff, v12
	v_pk_fma_f16 v33, v16, v10, v33
	v_pk_fma_f16 v35, v16, v11, v35
	;; [unrolled: 1-line block ×8, first 2 shown]
	v_dual_lshrrev_b32 v10, 16, v13 :: v_dual_lshrrev_b32 v11, 16, v14
	v_lshrrev_b32_e32 v12, 16, v15
	v_mul_u32_u24_e32 v27, 0x10001, v9
	v_and_b32_e32 v9, 0xffff, v14
	v_mul_u32_u24_e32 v14, 0x10001, v8
	v_and_b32_e32 v8, 0xffff, v15
	v_pk_fma_f16 v30, v16, v28, v30
	v_pk_fma_f16 v32, v16, v36, v32
	;; [unrolled: 1-line block ×3, first 2 shown]
	v_and_b32_e32 v13, 0xffff, v13
	v_mul_u32_u24_e32 v15, 0x10001, v10
	v_mul_u32_u24_e32 v28, 0x10001, v9
	;; [unrolled: 1-line block ×4, first 2 shown]
	ds_load_b128 v[8:11], v161 offset:480
	v_pk_fma_f16 v16, v16, v38, v39
	v_mul_u32_u24_e32 v13, 0x10001, v13
	v_mul_u32_u24_e32 v38, 0x10001, v12
	v_pk_fma_f16 v29, v18, v27, v29
	v_pk_fma_f16 v30, v18, v14, v30
	;; [unrolled: 1-line block ×14, first 2 shown]
	ds_load_2addr_b64 v[12:15], v186 offset0:80 offset1:104
	v_pk_fma_f16 v23, v19, v37, v23
	v_pk_fma_f16 v27, v19, v38, v17
	ds_load_b128 v[16:19], v161 offset:496
	s_wait_dscnt 0x0
	s_barrier_signal -1
	s_barrier_wait -1
	s_load_b32 s6, s[26:27], 0x4
	v_dual_lshrrev_b32 v28, 16, v8 :: v_dual_lshrrev_b32 v36, 16, v9
	v_and_b32_e32 v8, 0xffff, v8
	v_dual_lshrrev_b32 v37, 16, v10 :: v_dual_lshrrev_b32 v38, 16, v11
	v_and_b32_e32 v9, 0xffff, v9
	v_and_b32_e32 v10, 0xffff, v10
	;; [unrolled: 1-line block ×3, first 2 shown]
	v_mul_u32_u24_e32 v8, 0x10001, v8
	v_mul_u32_u24_e32 v28, 0x10001, v28
	;; [unrolled: 1-line block ×8, first 2 shown]
	v_pk_fma_f16 v29, v12, v8, v29
	v_pk_fma_f16 v31, v12, v9, v31
	v_pk_fma_f16 v33, v12, v10, v33
	v_pk_fma_f16 v35, v12, v11, v35
	v_pk_fma_f16 v8, v13, v8, v20
	v_pk_fma_f16 v20, v13, v28, v25
	v_pk_fma_f16 v9, v13, v9, v24
	v_pk_fma_f16 v10, v13, v10, v26
	v_pk_fma_f16 v11, v13, v11, v23
	v_dual_lshrrev_b32 v23, 16, v16 :: v_dual_lshrrev_b32 v24, 16, v17
	v_and_b32_e32 v16, 0xffff, v16
	v_and_b32_e32 v17, 0xffff, v17
	v_dual_lshrrev_b32 v25, 16, v18 :: v_dual_lshrrev_b32 v26, 16, v19
	v_and_b32_e32 v18, 0xffff, v18
	v_and_b32_e32 v19, 0xffff, v19
	v_pk_fma_f16 v30, v12, v28, v30
	v_pk_fma_f16 v32, v12, v36, v32
	v_pk_fma_f16 v34, v12, v37, v34
	v_pk_fma_f16 v12, v12, v38, v39
	v_pk_fma_f16 v21, v13, v36, v21
	v_pk_fma_f16 v22, v13, v37, v22
	v_pk_fma_f16 v13, v13, v38, v27
	v_mul_u32_u24_e32 v16, 0x10001, v16
	v_mul_u32_u24_e32 v23, 0x10001, v23
	;; [unrolled: 1-line block ×8, first 2 shown]
	s_wait_kmcnt 0x0
	s_lshl_b32 s6, s6, 5
	v_pk_fma_f32 v[108:109], v[108:109], v[138:139], v[130:131]
	v_pk_fma_f32 v[110:111], v[110:111], v[136:137], v[128:129]
	;; [unrolled: 1-line block ×3, first 2 shown]
	v_pk_fma_f16 v179, v14, v16, v29
	v_pk_fma_f16 v177, v14, v23, v30
	;; [unrolled: 1-line block ×16, first 2 shown]
	s_add_co_i32 s22, s6, s22
	s_delay_alu instid0(SALU_CYCLE_1)
	s_cmp_ge_i32 s22, s42
	s_cbranch_scc1 .LBB33_41
; %bb.40:                               ;   in Loop: Header=BB33_23 Depth=1
	v_dual_mov_b32 v12, v0 :: v_dual_mov_b32 v17, v1
	v_dual_mov_b32 v16, v2 :: v_dual_mov_b32 v15, v3
	;; [unrolled: 1-line block ×4, first 2 shown]
	s_branch .LBB33_23
.LBB33_41:
	v_mov_b32_e32 v8, v156
.LBB33_42:
	v_cmp_lt_i32_e32 vcc_lo, v184, v153
	s_cmp_lg_u64 s[24:25], 0
	s_cselect_b32 s3, -1, 0
	s_cmp_eq_u32 s43, 0
	v_cndmask_b32_e32 v9, v8, v184, vcc_lo
	v_cmp_lt_i32_e32 vcc_lo, v181, v153
	s_cselect_b32 s4, -1, 0
	s_delay_alu instid0(SALU_CYCLE_1) | instskip(NEXT) | instid1(VALU_DEP_2)
	s_and_b32 s3, s4, s3
	v_lshlrev_b32_e32 v9, 2, v9
	ds_bpermute_b32 v10, v9, v112
	ds_bpermute_b32 v11, v9, v113
	;; [unrolled: 1-line block ×8, first 2 shown]
	v_cndmask_b32_e32 v9, v8, v181, vcc_lo
	v_cmp_lt_i32_e32 vcc_lo, v182, v153
	s_delay_alu instid0(VALU_DEP_2)
	v_lshlrev_b32_e32 v9, 2, v9
	s_wait_dscnt 0x6
	v_pk_add_f32 v[10:11], v[112:113], v[10:11]
	s_wait_dscnt 0x4
	v_pk_add_f32 v[12:13], v[110:111], v[12:13]
	;; [unrolled: 2-line block ×3, first 2 shown]
	ds_bpermute_b32 v18, v9, v10
	s_wait_dscnt 0x1
	v_pk_add_f32 v[16:17], v[106:107], v[16:17]
	ds_bpermute_b32 v19, v9, v11
	ds_bpermute_b32 v20, v9, v12
	;; [unrolled: 1-line block ×7, first 2 shown]
	v_cndmask_b32_e32 v9, v8, v182, vcc_lo
	v_cmp_lt_i32_e32 vcc_lo, v183, v153
	s_delay_alu instid0(VALU_DEP_2)
	v_lshlrev_b32_e32 v9, 2, v9
	s_wait_dscnt 0x6
	v_pk_add_f32 v[10:11], v[10:11], v[18:19]
	s_wait_dscnt 0x4
	v_pk_add_f32 v[12:13], v[12:13], v[20:21]
	;; [unrolled: 2-line block ×3, first 2 shown]
	ds_bpermute_b32 v18, v9, v10
	s_wait_dscnt 0x1
	v_pk_add_f32 v[16:17], v[16:17], v[24:25]
	ds_bpermute_b32 v19, v9, v11
	ds_bpermute_b32 v20, v9, v12
	;; [unrolled: 1-line block ×7, first 2 shown]
	v_cndmask_b32_e32 v9, v8, v183, vcc_lo
	v_cmp_lt_i32_e32 vcc_lo, v185, v153
	s_delay_alu instid0(VALU_DEP_2) | instskip(SKIP_2) | instid1(VALU_DEP_1)
	v_lshlrev_b32_e32 v9, 2, v9
	v_cndmask_b32_e32 v8, v8, v185, vcc_lo
	s_and_b32 vcc_lo, exec_lo, s3
	v_lshlrev_b32_e32 v26, 2, v8
	s_wait_dscnt 0x6
	v_pk_add_f32 v[10:11], v[10:11], v[18:19]
	s_wait_dscnt 0x4
	v_pk_add_f32 v[12:13], v[12:13], v[20:21]
	;; [unrolled: 2-line block ×3, first 2 shown]
	ds_bpermute_b32 v18, v9, v10
	s_wait_dscnt 0x1
	v_pk_add_f32 v[16:17], v[16:17], v[24:25]
	ds_bpermute_b32 v19, v9, v11
	ds_bpermute_b32 v20, v9, v12
	;; [unrolled: 1-line block ×7, first 2 shown]
	s_wait_dscnt 0x6
	v_pk_add_f32 v[8:9], v[10:11], v[18:19]
	s_wait_dscnt 0x4
	v_pk_add_f32 v[10:11], v[12:13], v[20:21]
	s_wait_dscnt 0x2
	v_pk_add_f32 v[18:19], v[14:15], v[22:23]
	ds_bpermute_b32 v12, v26, v8
	s_wait_dscnt 0x1
	v_pk_add_f32 v[16:17], v[16:17], v[24:25]
	ds_bpermute_b32 v13, v26, v9
	ds_bpermute_b32 v20, v26, v10
	;; [unrolled: 1-line block ×7, first 2 shown]
	s_wait_dscnt 0x6
	v_pk_add_f32 v[14:15], v[8:9], v[12:13]
	s_wait_dscnt 0x4
	v_pk_add_f32 v[12:13], v[10:11], v[20:21]
	;; [unrolled: 2-line block ×4, first 2 shown]
	s_cbranch_vccz .LBB33_44
; %bb.43:
	s_ashr_i32 s35, s34, 31
	v_dual_mov_b32 v16, 0 :: v_dual_max_num_f32 v17, v1, v1
	s_lshl_b64 s[4:5], s[34:35], 2
	v_dual_max_num_f32 v19, v3, v3 :: v_dual_max_num_f32 v20, v4, v4
	s_add_nc_u64 s[4:5], s[24:25], s[4:5]
	v_max_num_f32_e32 v18, v2, v2
	global_load_b64 v[24:25], v16, s[4:5]
	s_wait_xcnt 0x0
	v_dual_max_num_f32 v16, v0, v0 :: v_dual_max_num_f32 v21, v5, v5
	s_wait_loadcnt 0x0
	v_dual_max_num_f32 v26, v6, v6 :: v_dual_max_num_f32 v22, v24, v24
	v_dual_max_num_f32 v23, v25, v25 :: v_dual_max_num_f32 v27, v7, v7
	s_delay_alu instid0(VALU_DEP_1) | instskip(SKIP_2) | instid1(VALU_DEP_4)
	v_dual_max_num_f32 v16, v16, v22 :: v_dual_max_num_f32 v17, v17, v23
	v_dual_max_num_f32 v18, v18, v22 :: v_dual_max_num_f32 v19, v19, v23
	;; [unrolled: 1-line block ×4, first 2 shown]
	s_delay_alu instid0(VALU_DEP_4) | instskip(SKIP_3) | instid1(VALU_DEP_4)
	v_sub_f32_e32 v0, v0, v16
	v_dual_sub_f32 v26, v24, v16 :: v_dual_sub_f32 v1, v1, v17
	v_dual_sub_f32 v27, v25, v17 :: v_dual_sub_f32 v28, v2, v18
	;; [unrolled: 1-line block ×3, first 2 shown]
	v_dual_sub_f32 v39, v25, v23 :: v_dual_mul_f32 v2, 0x3fb8aa3b, v0
	v_dual_sub_f32 v33, v24, v20 :: v_dual_sub_f32 v34, v5, v21
	v_dual_sub_f32 v37, v24, v22 :: v_dual_sub_f32 v38, v7, v23
	v_mul_f32_e32 v3, 0x3fb8aa3b, v26
	v_dual_mul_f32 v7, 0x3fb8aa3b, v29 :: v_dual_mul_f32 v24, 0x3fb8aa3b, v30
	v_fma_f32 v48, 0x3fb8aa3b, v0, -v2
	v_rndne_f32_e32 v49, v2
	v_dual_sub_f32 v31, v25, v19 :: v_dual_sub_f32 v32, v4, v20
	v_dual_mul_f32 v4, 0x3fb8aa3b, v1 :: v_dual_mul_f32 v5, 0x3fb8aa3b, v27
	s_delay_alu instid0(VALU_DEP_3)
	v_dual_mul_f32 v47, 0x3fb8aa3b, v39 :: v_dual_sub_f32 v2, v2, v49
	v_fma_f32 v50, 0x3fb8aa3b, v26, -v3
	v_rndne_f32_e32 v51, v3
	v_rndne_f32_e32 v61, v24
	v_dual_fmac_f32 v48, 0x32a5705f, v0 :: v_dual_sub_f32 v35, v25, v21
	v_sub_f32_e32 v36, v6, v22
	v_dual_mul_f32 v6, 0x3fb8aa3b, v28 :: v_dual_mul_f32 v25, 0x3fb8aa3b, v31
	v_dual_mul_f32 v40, 0x3fb8aa3b, v32 :: v_dual_mul_f32 v41, 0x3fb8aa3b, v33
	v_mul_f32_e32 v42, 0x3fb8aa3b, v34
	v_fma_f32 v52, 0x3fb8aa3b, v1, -v4
	v_rndne_f32_e32 v53, v4
	v_fma_f32 v54, 0x3fb8aa3b, v27, -v5
	v_rndne_f32_e32 v55, v5
	v_fma_f32 v60, 0x3fb8aa3b, v30, -v24
	v_dual_fmac_f32 v50, 0x32a5705f, v26 :: v_dual_sub_f32 v3, v3, v51
	v_dual_sub_f32 v24, v24, v61 :: v_dual_add_f32 v2, v2, v48
	v_dual_mul_f32 v43, 0x3fb8aa3b, v35 :: v_dual_mul_f32 v44, 0x3fb8aa3b, v36
	v_dual_mul_f32 v45, 0x3fb8aa3b, v37 :: v_dual_mul_f32 v46, 0x3fb8aa3b, v38
	v_rndne_f32_e32 v59, v7
	v_fma_f32 v62, 0x3fb8aa3b, v31, -v25
	v_rndne_f32_e32 v63, v25
	v_rndne_f32_e32 v69, v42
	v_fmac_f32_e32 v52, 0x32a5705f, v1
	v_dual_sub_f32 v4, v4, v53 :: v_dual_sub_f32 v5, v5, v55
	v_dual_fmac_f32 v54, 0x32a5705f, v27 :: v_dual_add_f32 v3, v3, v50
	v_exp_f32_e32 v2, v2
	v_fma_f32 v56, 0x3fb8aa3b, v28, -v6
	v_rndne_f32_e32 v57, v6
	v_fma_f32 v58, 0x3fb8aa3b, v29, -v7
	v_fma_f32 v64, 0x3fb8aa3b, v32, -v40
	v_rndne_f32_e32 v65, v40
	v_rndne_f32_e32 v67, v41
	;; [unrolled: 1-line block ×4, first 2 shown]
	v_cvt_i32_f32_e32 v49, v49
	v_fma_f32 v66, 0x3fb8aa3b, v33, -v41
	v_fma_f32 v68, 0x3fb8aa3b, v34, -v42
	v_sub_f32_e32 v7, v7, v59
	v_dual_fmac_f32 v62, 0x32a5705f, v31 :: v_dual_add_f32 v5, v5, v54
	v_dual_sub_f32 v25, v25, v63 :: v_dual_sub_f32 v42, v42, v69
	v_add_f32_e32 v4, v4, v52
	v_exp_f32_e32 v3, v3
	v_fma_f32 v70, 0x3fb8aa3b, v35, -v43
	v_fma_f32 v74, 0x3fb8aa3b, v37, -v45
	v_cvt_i32_f32_e32 v51, v51
	v_dual_fmac_f32 v56, 0x32a5705f, v28 :: v_dual_sub_f32 v41, v41, v67
	v_dual_sub_f32 v6, v6, v57 :: v_dual_sub_f32 v43, v43, v71
	v_dual_fmac_f32 v58, 0x32a5705f, v29 :: v_dual_sub_f32 v45, v45, v75
	v_fmac_f32_e32 v64, 0x32a5705f, v32
	s_delay_alu instid0(VALU_DEP_3)
	v_dual_sub_f32 v40, v40, v65 :: v_dual_add_f32 v6, v6, v56
	v_ldexp_f32 v2, v2, v49
	v_cmp_ngt_f32_e32 vcc_lo, 0xc2ce8ed0, v0
	v_dual_fmac_f32 v66, 0x32a5705f, v33 :: v_dual_add_f32 v25, v25, v62
	v_exp_f32_e32 v4, v4
	v_cvt_i32_f32_e32 v53, v53
	v_dual_add_f32 v7, v7, v58 :: v_dual_add_f32 v40, v40, v64
	v_cndmask_b32_e32 v2, 0, v2, vcc_lo
	v_ldexp_f32 v3, v3, v51
	v_cmp_ngt_f32_e32 vcc_lo, 0xc2ce8ed0, v26
	v_exp_f32_e32 v5, v5
	v_exp_f32_e32 v25, v25
	v_cvt_i32_f32_e32 v55, v55
	v_cvt_i32_f32_e32 v63, v63
	v_dual_fmac_f32 v68, 0x32a5705f, v34 :: v_dual_cndmask_b32 v3, 0, v3
	v_ldexp_f32 v4, v4, v53
	v_cmp_ngt_f32_e32 vcc_lo, 0xc2ce8ed0, v1
	v_rndne_f32_e32 v77, v46
	v_rndne_f32_e32 v79, v47
	v_fmac_f32_e32 v60, 0x32a5705f, v30
	v_exp_f32_e32 v6, v6
	v_fma_f32 v72, 0x3fb8aa3b, v36, -v44
	v_rndne_f32_e32 v73, v44
	v_fma_f32 v76, 0x3fb8aa3b, v38, -v46
	v_cvt_i32_f32_e32 v57, v57
	v_ldexp_f32 v5, v5, v55
	v_ldexp_f32 v25, v25, v63
	v_cndmask_b32_e32 v4, 0, v4, vcc_lo
	v_cmp_ngt_f32_e32 vcc_lo, 0xc2ce8ed0, v27
	v_fma_f32 v78, 0x3fb8aa3b, v39, -v47
	v_dual_sub_f32 v47, v47, v79 :: v_dual_sub_f32 v46, v46, v77
	v_add_f32_e32 v24, v24, v60
	v_exp_f32_e32 v7, v7
	v_cvt_i32_f32_e32 v59, v59
	v_dual_fmac_f32 v70, 0x32a5705f, v35 :: v_dual_add_f32 v41, v41, v66
	v_fmac_f32_e32 v72, 0x32a5705f, v36
	v_dual_sub_f32 v44, v44, v73 :: v_dual_add_f32 v42, v42, v68
	v_dual_fmac_f32 v76, 0x32a5705f, v38 :: v_dual_cndmask_b32 v5, 0, v5
	v_ldexp_f32 v6, v6, v57
	v_cmp_ngt_f32_e32 vcc_lo, 0xc2ce8ed0, v28
	v_exp_f32_e32 v24, v24
	v_cvt_i32_f32_e32 v61, v61
	v_dual_add_f32 v43, v43, v70 :: v_dual_add_f32 v44, v44, v72
	v_cndmask_b32_e32 v6, 0, v6, vcc_lo
	v_ldexp_f32 v7, v7, v59
	v_cmp_ngt_f32_e32 vcc_lo, 0xc2ce8ed0, v29
	v_exp_f32_e32 v41, v41
	v_cvt_i32_f32_e32 v67, v67
	v_add_f32_e32 v46, v46, v76
	v_ldexp_f32 v24, v24, v61
	v_cndmask_b32_e32 v7, 0, v7, vcc_lo
	v_cmp_ngt_f32_e32 vcc_lo, 0xc2ce8ed0, v30
	v_exp_f32_e32 v40, v40
	v_cvt_i32_f32_e32 v65, v65
	v_ldexp_f32 v41, v41, v67
	v_exp_f32_e32 v42, v42
	v_cndmask_b32_e32 v24, 0, v24, vcc_lo
	v_cmp_ngt_f32_e32 vcc_lo, 0xc2ce8ed0, v31
	v_cvt_i32_f32_e32 v69, v69
	v_ldexp_f32 v40, v40, v65
	v_fmac_f32_e32 v78, 0x32a5705f, v39
	v_fmac_f32_e32 v74, 0x32a5705f, v37
	v_cndmask_b32_e32 v25, 0, v25, vcc_lo
	v_cmp_ngt_f32_e32 vcc_lo, 0xc2ce8ed0, v32
	v_ldexp_f32 v42, v42, v69
	v_exp_f32_e32 v43, v43
	v_cvt_i32_f32_e32 v71, v71
	v_dual_add_f32 v47, v47, v78 :: v_dual_cndmask_b32 v40, 0, v40
	v_cmp_ngt_f32_e32 vcc_lo, 0xc2ce8ed0, v33
	v_add_f32_e32 v45, v45, v74
	v_exp_f32_e32 v44, v44
	v_cvt_i32_f32_e32 v73, v73
	v_ldexp_f32 v43, v43, v71
	v_cndmask_b32_e32 v41, 0, v41, vcc_lo
	v_cmp_ngt_f32_e32 vcc_lo, 0xc2ce8ed0, v34
	v_exp_f32_e32 v45, v45
	v_cvt_i32_f32_e32 v75, v75
	v_ldexp_f32 v44, v44, v73
	v_exp_f32_e32 v46, v46
	v_cndmask_b32_e32 v42, 0, v42, vcc_lo
	v_cmp_ngt_f32_e32 vcc_lo, 0xc2ce8ed0, v35
	v_cvt_i32_f32_e32 v77, v77
	v_ldexp_f32 v45, v45, v75
	v_exp_f32_e32 v47, v47
	v_cvt_i32_f32_e32 v79, v79
	v_cndmask_b32_e32 v43, 0, v43, vcc_lo
	v_cmp_ngt_f32_e32 vcc_lo, 0xc2ce8ed0, v36
	v_ldexp_f32 v46, v46, v77
	s_delay_alu instid0(TRANS32_DEP_1) | instid1(VALU_DEP_4)
	v_ldexp_f32 v47, v47, v79
	v_cndmask_b32_e32 v44, 0, v44, vcc_lo
	v_cmp_ngt_f32_e32 vcc_lo, 0xc2ce8ed0, v37
	v_cndmask_b32_e32 v45, 0, v45, vcc_lo
	v_cmp_ngt_f32_e32 vcc_lo, 0xc2ce8ed0, v38
	;; [unrolled: 2-line block ×3, first 2 shown]
	v_cndmask_b32_e32 v47, 0, v47, vcc_lo
	v_cmp_nlt_f32_e32 vcc_lo, 0x42b17218, v0
	v_cndmask_b32_e32 v0, 0x7f800000, v2, vcc_lo
	v_cmp_nlt_f32_e32 vcc_lo, 0x42b17218, v26
	;; [unrolled: 2-line block ×5, first 2 shown]
	s_delay_alu instid0(VALU_DEP_2)
	v_pk_fma_f32 v[14:15], v[14:15], v[0:1], v[2:3]
	v_cndmask_b32_e32 v4, 0x7f800000, v6, vcc_lo
	v_cmp_nlt_f32_e32 vcc_lo, 0x42b17218, v29
	v_cndmask_b32_e32 v6, 0x7f800000, v7, vcc_lo
	v_cmp_nlt_f32_e32 vcc_lo, 0x42b17218, v30
	;; [unrolled: 2-line block ×4, first 2 shown]
	v_cvt_f16_f32_e32 v32, v0
	s_delay_alu instid0(VALU_DEP_3)
	v_pk_fma_f32 v[12:13], v[12:13], v[4:5], v[6:7]
	v_cndmask_b32_e32 v24, 0x7f800000, v40, vcc_lo
	v_cmp_nlt_f32_e32 vcc_lo, 0x42b17218, v33
	v_cvt_f16_f32_e32 v33, v1
	v_and_b32_e32 v0, 0xffff, v32
	v_cndmask_b32_e32 v26, 0x7f800000, v41, vcc_lo
	v_cmp_nlt_f32_e32 vcc_lo, 0x42b17218, v34
	v_cvt_f16_f32_e32 v34, v4
	v_and_b32_e32 v1, 0xffff, v33
	v_mul_u32_u24_e32 v0, 0x10001, v0
	v_cndmask_b32_e32 v25, 0x7f800000, v42, vcc_lo
	v_cmp_nlt_f32_e32 vcc_lo, 0x42b17218, v35
	v_cvt_f16_f32_e32 v35, v5
	v_and_b32_e32 v2, 0xffff, v34
	v_mul_u32_u24_e32 v1, 0x10001, v1
	v_pk_mul_f16 v179, v179, v0
	v_cndmask_b32_e32 v27, 0x7f800000, v43, vcc_lo
	v_cmp_nlt_f32_e32 vcc_lo, 0x42b17218, v36
	v_cvt_f16_f32_e32 v36, v24
	v_and_b32_e32 v3, 0xffff, v35
	v_mul_u32_u24_e32 v2, 0x10001, v2
	v_pk_mul_f16 v180, v180, v0
	;; [unrolled: 6-line block ×4, first 2 shown]
	v_cndmask_b32_e32 v29, 0x7f800000, v46, vcc_lo
	v_cmp_nlt_f32_e32 vcc_lo, 0x42b17218, v39
	v_and_b32_e32 v6, 0xffff, v38
	v_mul_u32_u24_e32 v5, 0x10001, v5
	v_pk_mul_f16 v175, v175, v2
	v_cvt_f16_f32_e32 v39, v29
	v_cndmask_b32_e32 v31, 0x7f800000, v47, vcc_lo
	v_mul_u32_u24_e32 v6, 0x10001, v6
	v_pk_mul_f16 v176, v176, v2
	v_pk_mul_f16 v169, v169, v3
	v_and_b32_e32 v7, 0xffff, v39
	v_pk_mul_f16 v170, v170, v3
	v_pk_mul_f16 v164, v164, v4
	;; [unrolled: 1-line block ×4, first 2 shown]
	v_mul_u32_u24_e32 v7, 0x10001, v7
	v_pk_mul_f16 v158, v158, v5
	v_pk_mul_f16 v154, v154, v6
	;; [unrolled: 1-line block ×3, first 2 shown]
	v_pk_fma_f32 v[10:11], v[10:11], v[24:25], v[26:27]
	v_pk_mul_f16 v151, v151, v7
	v_pk_mul_f16 v152, v152, v7
	v_mov_b64_e32 v[0:1], v[16:17]
	v_mov_b64_e32 v[2:3], v[18:19]
	;; [unrolled: 1-line block ×4, first 2 shown]
	v_pk_fma_f32 v[8:9], v[8:9], v[28:29], v[30:31]
.LBB33_44:
	v_add_nc_u32_e32 v16, s33, v149
	s_mov_b32 s3, exec_lo
	s_delay_alu instid0(VALU_DEP_1)
	v_cmpx_gt_i32_e64 s38, v16
	s_cbranch_execz .LBB33_99
; %bb.45:
	s_load_b32 s0, s[0:1], 0xd4
	v_mov_b32_e32 v16, 1.0
	s_wait_kmcnt 0x0
	s_cmp_lg_u32 s0, 1
	s_cselect_b32 s3, -1, 0
	s_cmp_eq_u32 s0, 1
	s_cselect_b32 s4, -1, 0
	s_and_b32 vcc_lo, exec_lo, s3
	s_cbranch_vccnz .LBB33_47
; %bb.46:
	v_div_scale_f32 v16, null, v14, v14, 1.0
	s_delay_alu instid0(VALU_DEP_1) | instskip(SKIP_1) | instid1(TRANS32_DEP_1)
	v_rcp_f32_e32 v17, v16
	v_nop
	v_fma_f32 v18, -v16, v17, 1.0
	s_delay_alu instid0(VALU_DEP_1) | instskip(SKIP_1) | instid1(VALU_DEP_1)
	v_fmac_f32_e32 v17, v18, v17
	v_div_scale_f32 v18, vcc_lo, 1.0, v14, 1.0
	v_mul_f32_e32 v19, v18, v17
	s_delay_alu instid0(VALU_DEP_1) | instskip(NEXT) | instid1(VALU_DEP_1)
	v_fma_f32 v20, -v16, v19, v18
	v_fmac_f32_e32 v19, v20, v17
	s_delay_alu instid0(VALU_DEP_1) | instskip(NEXT) | instid1(VALU_DEP_1)
	v_fma_f32 v16, -v16, v19, v18
	v_div_fmas_f32 v16, v16, v17, v19
	s_delay_alu instid0(VALU_DEP_1)
	v_div_fixup_f32 v16, v16, v14, 1.0
.LBB33_47:
	s_mul_i32 s1, s40, s38
	s_delay_alu instid0(SALU_CYCLE_1) | instskip(NEXT) | instid1(SALU_CYCLE_1)
	s_add_co_i32 s1, s1, s33
	v_add_nc_u32_e32 v17, s1, v149
	s_delay_alu instid0(VALU_DEP_1) | instskip(NEXT) | instid1(VALU_DEP_1)
	v_mul_lo_u32 v17, v17, s39
	v_add_nc_u32_e32 v18, s34, v17
	s_delay_alu instid0(VALU_DEP_1)
	v_mad_u32 v18, s0, v18, s43
	s_and_saveexec_b32 s5, s2
	s_cbranch_execz .LBB33_49
; %bb.48:
	s_delay_alu instid0(VALU_DEP_1) | instskip(SKIP_4) | instid1(VALU_DEP_4)
	v_mad_u32 v22, 0x60, v18, v115
	v_dual_lshrrev_b32 v19, 16, v179 :: v_dual_lshrrev_b32 v25, 16, v180
	v_mov_b32_e32 v23, 0
	v_cvt_f32_f16_e64 v20, v179
	v_cvt_f32_f16_e64 v24, v180
	v_cvt_f32_f16_e32 v21, v19
	v_cvt_f32_f16_e32 v25, v25
	s_delay_alu instid0(VALU_DEP_2) | instskip(SKIP_1) | instid1(VALU_DEP_3)
	v_pk_mul_f32 v[20:21], v[16:17], v[20:21] op_sel_hi:[0,1]
	v_lshl_add_u64 v[26:27], v[22:23], 2, s[28:29]
	v_pk_mul_f32 v[22:23], v[16:17], v[24:25] op_sel_hi:[0,1]
	global_store_b128 v[26:27], v[20:23], off
.LBB33_49:
	s_wait_xcnt 0x0
	s_or_b32 exec_lo, exec_lo, s5
	v_cmp_eq_u32_e32 vcc_lo, 0, v148
	s_and_b32 s3, vcc_lo, s3
	s_delay_alu instid0(SALU_CYCLE_1)
	s_and_saveexec_b32 s5, s3
	s_cbranch_execz .LBB33_51
; %bb.50:
	v_dual_mov_b32 v20, v0 :: v_dual_mov_b32 v21, v14
	global_store_b64 v18, v[20:21], s[30:31] scale_offset
.LBB33_51:
	s_wait_xcnt 0x0
	s_or_b32 exec_lo, exec_lo, s5
	v_cndmask_b32_e64 v16, 0, 1, s4
	v_mov_b32_e32 v0, 1.0
	s_and_not1_b32 vcc_lo, exec_lo, s4
	s_cbranch_vccnz .LBB33_53
; %bb.52:
	v_div_scale_f32 v0, null, v15, v15, 1.0
	s_delay_alu instid0(VALU_DEP_1) | instskip(SKIP_1) | instid1(TRANS32_DEP_1)
	v_rcp_f32_e32 v14, v0
	v_nop
	v_fma_f32 v18, -v0, v14, 1.0
	s_delay_alu instid0(VALU_DEP_1) | instskip(SKIP_1) | instid1(VALU_DEP_1)
	v_fmac_f32_e32 v14, v18, v14
	v_div_scale_f32 v18, vcc_lo, 1.0, v15, 1.0
	v_mul_f32_e32 v19, v18, v14
	s_delay_alu instid0(VALU_DEP_1) | instskip(NEXT) | instid1(VALU_DEP_1)
	v_fma_f32 v20, -v0, v19, v18
	v_fmac_f32_e32 v19, v20, v14
	s_delay_alu instid0(VALU_DEP_1) | instskip(NEXT) | instid1(VALU_DEP_1)
	v_fma_f32 v0, -v0, v19, v18
	v_div_fmas_f32 v0, v0, v14, v19
	s_delay_alu instid0(VALU_DEP_1)
	v_div_fixup_f32 v0, v0, v15, 1.0
.LBB33_53:
	s_add_co_i32 s4, s34, 1
	s_delay_alu instid0(SALU_CYCLE_1) | instskip(NEXT) | instid1(VALU_DEP_1)
	v_add_nc_u32_e32 v14, s4, v17
	v_mad_u32 v17, s0, v14, s43
	s_and_saveexec_b32 s5, s2
	s_cbranch_execz .LBB33_55
; %bb.54:
	s_delay_alu instid0(VALU_DEP_1) | instskip(SKIP_4) | instid1(VALU_DEP_4)
	v_mad_u32 v20, 0x60, v17, v115
	v_dual_lshrrev_b32 v14, 16, v177 :: v_dual_lshrrev_b32 v23, 16, v178
	v_mov_b32_e32 v21, 0
	v_cvt_f32_f16_e64 v18, v177
	v_cvt_f32_f16_e64 v22, v178
	v_cvt_f32_f16_e32 v19, v14
	v_cvt_f32_f16_e32 v23, v23
	s_delay_alu instid0(VALU_DEP_2) | instskip(SKIP_1) | instid1(VALU_DEP_3)
	v_pk_mul_f32 v[18:19], v[0:1], v[18:19] op_sel_hi:[0,1]
	v_lshl_add_u64 v[24:25], v[20:21], 2, s[28:29]
	v_pk_mul_f32 v[20:21], v[0:1], v[22:23] op_sel_hi:[0,1]
	global_store_b128 v[24:25], v[18:21], off
.LBB33_55:
	s_wait_xcnt 0x0
	s_or_b32 exec_lo, exec_lo, s5
	s_and_saveexec_b32 s5, s3
	s_cbranch_execz .LBB33_57
; %bb.56:
	v_mov_b32_e32 v14, v1
	global_store_b64 v17, v[14:15], s[30:31] scale_offset
.LBB33_57:
	s_wait_xcnt 0x0
	s_or_b32 exec_lo, exec_lo, s5
	v_add_nc_u32_e32 v0, s33, v147
	s_delay_alu instid0(VALU_DEP_1)
	v_cmp_gt_i32_e32 vcc_lo, s38, v0
	s_and_b32 exec_lo, exec_lo, vcc_lo
	s_cbranch_execz .LBB33_99
; %bb.58:
	v_cmp_ne_u32_e32 vcc_lo, 1, v16
	v_mov_b32_e32 v0, 1.0
	s_cbranch_vccnz .LBB33_60
; %bb.59:
	v_div_scale_f32 v0, null, v12, v12, 1.0
	s_delay_alu instid0(VALU_DEP_1) | instskip(SKIP_1) | instid1(TRANS32_DEP_1)
	v_rcp_f32_e32 v1, v0
	v_nop
	v_fma_f32 v14, -v0, v1, 1.0
	s_delay_alu instid0(VALU_DEP_1) | instskip(SKIP_1) | instid1(VALU_DEP_1)
	v_fmac_f32_e32 v1, v14, v1
	v_div_scale_f32 v14, vcc_lo, 1.0, v12, 1.0
	v_mul_f32_e32 v15, v14, v1
	s_delay_alu instid0(VALU_DEP_1) | instskip(NEXT) | instid1(VALU_DEP_1)
	v_fma_f32 v17, -v0, v15, v14
	v_fmac_f32_e32 v15, v17, v1
	s_delay_alu instid0(VALU_DEP_1) | instskip(NEXT) | instid1(VALU_DEP_1)
	v_fma_f32 v0, -v0, v15, v14
	v_div_fmas_f32 v0, v0, v1, v15
	s_delay_alu instid0(VALU_DEP_1)
	v_div_fixup_f32 v0, v0, v12, 1.0
.LBB33_60:
	v_add_nc_u32_e32 v1, s1, v147
	s_delay_alu instid0(VALU_DEP_1) | instskip(NEXT) | instid1(VALU_DEP_1)
	v_mad_u32 v1, v1, s39, s34
	v_mad_u32 v1, s0, v1, s43
	s_and_saveexec_b32 s5, s2
	s_cbranch_execz .LBB33_62
; %bb.61:
	s_delay_alu instid0(VALU_DEP_1) | instskip(SKIP_4) | instid1(VALU_DEP_4)
	v_mad_u32 v14, 0x60, v1, v115
	v_dual_lshrrev_b32 v17, 16, v175 :: v_dual_lshrrev_b32 v21, 16, v176
	v_mov_b32_e32 v15, 0
	v_cvt_f32_f16_e64 v18, v175
	v_cvt_f32_f16_e64 v20, v176
	v_cvt_f32_f16_e32 v19, v17
	v_cvt_f32_f16_e32 v21, v21
	s_delay_alu instid0(VALU_DEP_2) | instskip(SKIP_1) | instid1(VALU_DEP_3)
	v_pk_mul_f32 v[18:19], v[0:1], v[18:19] op_sel_hi:[0,1]
	v_lshl_add_u64 v[14:15], v[14:15], 2, s[28:29]
	v_pk_mul_f32 v[20:21], v[0:1], v[20:21] op_sel_hi:[0,1]
	global_store_b128 v[14:15], v[18:21], off
.LBB33_62:
	s_wait_xcnt 0x0
	s_or_b32 exec_lo, exec_lo, s5
	s_and_saveexec_b32 s5, s3
	s_cbranch_execz .LBB33_64
; %bb.63:
	v_dual_mov_b32 v14, v2 :: v_dual_mov_b32 v15, v12
	global_store_b64 v1, v[14:15], s[30:31] scale_offset
.LBB33_64:
	s_wait_xcnt 0x0
	s_or_b32 exec_lo, exec_lo, s5
	v_lshrrev_b32_e32 v1, 1, v146
	s_delay_alu instid0(VALU_DEP_1) | instskip(NEXT) | instid1(VALU_DEP_1)
	v_add_nc_u32_e32 v0, s33, v1
	v_cmp_gt_i32_e32 vcc_lo, s38, v0
	s_and_b32 exec_lo, exec_lo, vcc_lo
	s_cbranch_execz .LBB33_99
; %bb.65:
	v_cmp_ne_u32_e32 vcc_lo, 1, v16
	v_mov_b32_e32 v0, 1.0
	s_cbranch_vccnz .LBB33_67
; %bb.66:
	v_div_scale_f32 v0, null, v13, v13, 1.0
	s_delay_alu instid0(VALU_DEP_1) | instskip(SKIP_1) | instid1(TRANS32_DEP_1)
	v_rcp_f32_e32 v2, v0
	v_nop
	v_fma_f32 v12, -v0, v2, 1.0
	s_delay_alu instid0(VALU_DEP_1) | instskip(SKIP_1) | instid1(VALU_DEP_1)
	v_fmac_f32_e32 v2, v12, v2
	v_div_scale_f32 v12, vcc_lo, 1.0, v13, 1.0
	v_mul_f32_e32 v14, v12, v2
	s_delay_alu instid0(VALU_DEP_1) | instskip(NEXT) | instid1(VALU_DEP_1)
	v_fma_f32 v15, -v0, v14, v12
	v_fmac_f32_e32 v14, v15, v2
	s_delay_alu instid0(VALU_DEP_1) | instskip(NEXT) | instid1(VALU_DEP_1)
	v_fma_f32 v0, -v0, v14, v12
	v_div_fmas_f32 v0, v0, v2, v14
	s_delay_alu instid0(VALU_DEP_1)
	v_div_fixup_f32 v0, v0, v13, 1.0
.LBB33_67:
	v_add_nc_u32_e32 v1, s1, v1
	s_delay_alu instid0(VALU_DEP_1) | instskip(NEXT) | instid1(VALU_DEP_1)
	v_mad_u32 v1, v1, s39, s4
	v_mad_u32 v1, s0, v1, s43
	s_and_saveexec_b32 s5, s2
	s_cbranch_execz .LBB33_69
; %bb.68:
	s_delay_alu instid0(VALU_DEP_1) | instskip(SKIP_4) | instid1(VALU_DEP_4)
	v_mad_u32 v14, 0x60, v1, v115
	v_dual_lshrrev_b32 v2, 16, v169 :: v_dual_lshrrev_b32 v12, 16, v170
	v_mov_b32_e32 v15, 0
	v_cvt_f32_f16_e64 v18, v169
	v_cvt_f32_f16_e64 v20, v170
	v_cvt_f32_f16_e32 v19, v2
	v_cvt_f32_f16_e32 v21, v12
	s_delay_alu instid0(VALU_DEP_2) | instskip(SKIP_1) | instid1(VALU_DEP_3)
	v_pk_mul_f32 v[18:19], v[0:1], v[18:19] op_sel_hi:[0,1]
	v_lshl_add_u64 v[14:15], v[14:15], 2, s[28:29]
	v_pk_mul_f32 v[20:21], v[0:1], v[20:21] op_sel_hi:[0,1]
	global_store_b128 v[14:15], v[18:21], off
.LBB33_69:
	s_wait_xcnt 0x0
	s_or_b32 exec_lo, exec_lo, s5
	s_and_saveexec_b32 s5, s3
	s_cbranch_execz .LBB33_71
; %bb.70:
	v_mov_b32_e32 v12, v3
	global_store_b64 v1, v[12:13], s[30:31] scale_offset
.LBB33_71:
	s_wait_xcnt 0x0
	s_or_b32 exec_lo, exec_lo, s5
	v_lshrrev_b32_e32 v1, 1, v145
	s_delay_alu instid0(VALU_DEP_1) | instskip(NEXT) | instid1(VALU_DEP_1)
	v_add_nc_u32_e32 v0, s33, v1
	v_cmp_gt_i32_e32 vcc_lo, s38, v0
	s_and_b32 exec_lo, exec_lo, vcc_lo
	s_cbranch_execz .LBB33_99
; %bb.72:
	v_cmp_ne_u32_e32 vcc_lo, 1, v16
	v_mov_b32_e32 v0, 1.0
	s_cbranch_vccnz .LBB33_74
; %bb.73:
	v_div_scale_f32 v0, null, v10, v10, 1.0
	s_delay_alu instid0(VALU_DEP_1) | instskip(SKIP_1) | instid1(TRANS32_DEP_1)
	v_rcp_f32_e32 v2, v0
	v_nop
	v_fma_f32 v3, -v0, v2, 1.0
	s_delay_alu instid0(VALU_DEP_1) | instskip(SKIP_1) | instid1(VALU_DEP_1)
	v_fmac_f32_e32 v2, v3, v2
	v_div_scale_f32 v3, vcc_lo, 1.0, v10, 1.0
	v_mul_f32_e32 v12, v3, v2
	s_delay_alu instid0(VALU_DEP_1) | instskip(NEXT) | instid1(VALU_DEP_1)
	v_fma_f32 v13, -v0, v12, v3
	v_fmac_f32_e32 v12, v13, v2
	s_delay_alu instid0(VALU_DEP_1) | instskip(NEXT) | instid1(VALU_DEP_1)
	v_fma_f32 v0, -v0, v12, v3
	v_div_fmas_f32 v0, v0, v2, v12
	s_delay_alu instid0(VALU_DEP_1)
	v_div_fixup_f32 v0, v0, v10, 1.0
.LBB33_74:
	v_add_nc_u32_e32 v1, s1, v1
	s_delay_alu instid0(VALU_DEP_1) | instskip(NEXT) | instid1(VALU_DEP_1)
	v_mad_u32 v1, v1, s39, s34
	v_mad_u32 v1, s0, v1, s43
	s_and_saveexec_b32 s5, s2
	s_cbranch_execz .LBB33_76
; %bb.75:
	s_delay_alu instid0(VALU_DEP_1) | instskip(SKIP_4) | instid1(VALU_DEP_4)
	v_mad_u32 v2, 0x60, v1, v115
	v_dual_lshrrev_b32 v13, 16, v164 :: v_dual_lshrrev_b32 v15, 16, v162
	v_mov_b32_e32 v3, 0
	v_cvt_f32_f16_e64 v12, v164
	v_cvt_f32_f16_e64 v14, v162
	v_cvt_f32_f16_e32 v13, v13
	v_cvt_f32_f16_e32 v15, v15
	s_delay_alu instid0(VALU_DEP_2) | instskip(SKIP_1) | instid1(VALU_DEP_3)
	v_pk_mul_f32 v[12:13], v[0:1], v[12:13] op_sel_hi:[0,1]
	v_lshl_add_u64 v[2:3], v[2:3], 2, s[28:29]
	v_pk_mul_f32 v[14:15], v[0:1], v[14:15] op_sel_hi:[0,1]
	global_store_b128 v[2:3], v[12:15], off
.LBB33_76:
	s_wait_xcnt 0x0
	s_or_b32 exec_lo, exec_lo, s5
	s_and_saveexec_b32 s5, s3
	s_cbranch_execz .LBB33_78
; %bb.77:
	v_dual_mov_b32 v2, v4 :: v_dual_mov_b32 v3, v10
	global_store_b64 v1, v[2:3], s[30:31] scale_offset
.LBB33_78:
	s_wait_xcnt 0x0
	s_or_b32 exec_lo, exec_lo, s5
	v_lshrrev_b32_e32 v1, 1, v144
	s_delay_alu instid0(VALU_DEP_1) | instskip(NEXT) | instid1(VALU_DEP_1)
	v_add_nc_u32_e32 v0, s33, v1
	v_cmp_gt_i32_e32 vcc_lo, s38, v0
	s_and_b32 exec_lo, exec_lo, vcc_lo
	s_cbranch_execz .LBB33_99
; %bb.79:
	v_cmp_ne_u32_e32 vcc_lo, 1, v16
	v_mov_b32_e32 v0, 1.0
	s_cbranch_vccnz .LBB33_81
; %bb.80:
	v_div_scale_f32 v0, null, v11, v11, 1.0
	s_delay_alu instid0(VALU_DEP_1) | instskip(SKIP_1) | instid1(TRANS32_DEP_1)
	v_rcp_f32_e32 v2, v0
	v_nop
	v_fma_f32 v3, -v0, v2, 1.0
	s_delay_alu instid0(VALU_DEP_1) | instskip(SKIP_1) | instid1(VALU_DEP_1)
	v_fmac_f32_e32 v2, v3, v2
	v_div_scale_f32 v3, vcc_lo, 1.0, v11, 1.0
	v_mul_f32_e32 v4, v3, v2
	s_delay_alu instid0(VALU_DEP_1) | instskip(NEXT) | instid1(VALU_DEP_1)
	v_fma_f32 v10, -v0, v4, v3
	v_fmac_f32_e32 v4, v10, v2
	s_delay_alu instid0(VALU_DEP_1) | instskip(NEXT) | instid1(VALU_DEP_1)
	v_fma_f32 v0, -v0, v4, v3
	v_div_fmas_f32 v0, v0, v2, v4
	s_delay_alu instid0(VALU_DEP_1)
	v_div_fixup_f32 v0, v0, v11, 1.0
.LBB33_81:
	v_add_nc_u32_e32 v1, s1, v1
	s_delay_alu instid0(VALU_DEP_1) | instskip(NEXT) | instid1(VALU_DEP_1)
	v_mad_u32 v1, v1, s39, s4
	v_mad_u32 v1, s0, v1, s43
	s_and_saveexec_b32 s5, s2
	s_cbranch_execz .LBB33_83
; %bb.82:
	s_delay_alu instid0(VALU_DEP_1) | instskip(SKIP_4) | instid1(VALU_DEP_4)
	v_mad_u32 v2, 0x60, v1, v115
	v_dual_lshrrev_b32 v4, 16, v157 :: v_dual_lshrrev_b32 v10, 16, v158
	v_mov_b32_e32 v3, 0
	v_cvt_f32_f16_e64 v12, v157
	v_cvt_f32_f16_e64 v14, v158
	v_cvt_f32_f16_e32 v13, v4
	v_cvt_f32_f16_e32 v15, v10
	s_delay_alu instid0(VALU_DEP_2) | instskip(SKIP_1) | instid1(VALU_DEP_3)
	v_pk_mul_f32 v[12:13], v[0:1], v[12:13] op_sel_hi:[0,1]
	v_lshl_add_u64 v[2:3], v[2:3], 2, s[28:29]
	v_pk_mul_f32 v[14:15], v[0:1], v[14:15] op_sel_hi:[0,1]
	global_store_b128 v[2:3], v[12:15], off
.LBB33_83:
	s_wait_xcnt 0x0
	s_or_b32 exec_lo, exec_lo, s5
	s_and_saveexec_b32 s5, s3
	s_cbranch_execz .LBB33_85
; %bb.84:
	v_mov_b32_e32 v10, v5
	global_store_b64 v1, v[10:11], s[30:31] scale_offset
.LBB33_85:
	s_wait_xcnt 0x0
	s_or_b32 exec_lo, exec_lo, s5
	v_lshrrev_b32_e32 v1, 1, v143
	s_delay_alu instid0(VALU_DEP_1) | instskip(NEXT) | instid1(VALU_DEP_1)
	v_add_nc_u32_e32 v0, s33, v1
	v_cmp_gt_i32_e32 vcc_lo, s38, v0
	s_and_b32 exec_lo, exec_lo, vcc_lo
	s_cbranch_execz .LBB33_99
; %bb.86:
	v_cmp_ne_u32_e32 vcc_lo, 1, v16
	v_mov_b32_e32 v0, 1.0
	s_cbranch_vccnz .LBB33_88
; %bb.87:
	v_div_scale_f32 v0, null, v8, v8, 1.0
	s_delay_alu instid0(VALU_DEP_1) | instskip(SKIP_1) | instid1(TRANS32_DEP_1)
	v_rcp_f32_e32 v2, v0
	v_nop
	v_fma_f32 v3, -v0, v2, 1.0
	s_delay_alu instid0(VALU_DEP_1) | instskip(SKIP_1) | instid1(VALU_DEP_1)
	v_fmac_f32_e32 v2, v3, v2
	v_div_scale_f32 v3, vcc_lo, 1.0, v8, 1.0
	v_mul_f32_e32 v4, v3, v2
	s_delay_alu instid0(VALU_DEP_1) | instskip(NEXT) | instid1(VALU_DEP_1)
	v_fma_f32 v5, -v0, v4, v3
	v_fmac_f32_e32 v4, v5, v2
	s_delay_alu instid0(VALU_DEP_1) | instskip(NEXT) | instid1(VALU_DEP_1)
	v_fma_f32 v0, -v0, v4, v3
	v_div_fmas_f32 v0, v0, v2, v4
	s_delay_alu instid0(VALU_DEP_1)
	v_div_fixup_f32 v0, v0, v8, 1.0
.LBB33_88:
	v_add_nc_u32_e32 v1, s1, v1
	s_delay_alu instid0(VALU_DEP_1) | instskip(NEXT) | instid1(VALU_DEP_1)
	v_mad_u32 v1, v1, s39, s34
	v_mad_u32 v1, s0, v1, s43
	s_and_saveexec_b32 s5, s2
	s_cbranch_execz .LBB33_90
; %bb.89:
	s_delay_alu instid0(VALU_DEP_1) | instskip(SKIP_4) | instid1(VALU_DEP_4)
	v_mad_u32 v4, 0x60, v1, v115
	v_dual_lshrrev_b32 v3, 16, v154 :: v_dual_lshrrev_b32 v11, 16, v155
	v_mov_b32_e32 v5, 0
	v_cvt_f32_f16_e64 v2, v154
	v_cvt_f32_f16_e64 v10, v155
	v_cvt_f32_f16_e32 v3, v3
	v_cvt_f32_f16_e32 v11, v11
	s_delay_alu instid0(VALU_DEP_2) | instskip(SKIP_1) | instid1(VALU_DEP_3)
	v_pk_mul_f32 v[2:3], v[0:1], v[2:3] op_sel_hi:[0,1]
	v_lshl_add_u64 v[12:13], v[4:5], 2, s[28:29]
	v_pk_mul_f32 v[4:5], v[0:1], v[10:11] op_sel_hi:[0,1]
	global_store_b128 v[12:13], v[2:5], off
.LBB33_90:
	s_wait_xcnt 0x0
	s_or_b32 exec_lo, exec_lo, s5
	s_and_saveexec_b32 s5, s3
	s_cbranch_execz .LBB33_92
; %bb.91:
	v_dual_mov_b32 v2, v6 :: v_dual_mov_b32 v3, v8
	global_store_b64 v1, v[2:3], s[30:31] scale_offset
.LBB33_92:
	s_wait_xcnt 0x0
	s_or_b32 exec_lo, exec_lo, s5
	v_lshrrev_b32_e32 v1, 1, v142
	s_delay_alu instid0(VALU_DEP_1) | instskip(NEXT) | instid1(VALU_DEP_1)
	v_add_nc_u32_e32 v0, s33, v1
	v_cmp_gt_i32_e32 vcc_lo, s38, v0
	s_and_b32 exec_lo, exec_lo, vcc_lo
	s_cbranch_execz .LBB33_99
; %bb.93:
	v_cmp_ne_u32_e32 vcc_lo, 1, v16
	v_mov_b32_e32 v0, 1.0
	s_cbranch_vccnz .LBB33_95
; %bb.94:
	v_div_scale_f32 v0, null, v9, v9, 1.0
	s_delay_alu instid0(VALU_DEP_1) | instskip(SKIP_1) | instid1(TRANS32_DEP_1)
	v_rcp_f32_e32 v2, v0
	v_nop
	v_fma_f32 v3, -v0, v2, 1.0
	s_delay_alu instid0(VALU_DEP_1) | instskip(SKIP_1) | instid1(VALU_DEP_1)
	v_fmac_f32_e32 v2, v3, v2
	v_div_scale_f32 v3, vcc_lo, 1.0, v9, 1.0
	v_mul_f32_e32 v4, v3, v2
	s_delay_alu instid0(VALU_DEP_1) | instskip(NEXT) | instid1(VALU_DEP_1)
	v_fma_f32 v5, -v0, v4, v3
	v_fmac_f32_e32 v4, v5, v2
	s_delay_alu instid0(VALU_DEP_1) | instskip(NEXT) | instid1(VALU_DEP_1)
	v_fma_f32 v0, -v0, v4, v3
	v_div_fmas_f32 v0, v0, v2, v4
	s_delay_alu instid0(VALU_DEP_1)
	v_div_fixup_f32 v0, v0, v9, 1.0
.LBB33_95:
	v_add_nc_u32_e32 v1, s1, v1
	s_delay_alu instid0(VALU_DEP_1) | instskip(NEXT) | instid1(VALU_DEP_1)
	v_mad_u32 v1, v1, s39, s4
	v_mad_u32 v1, s0, v1, s43
	s_and_saveexec_b32 s0, s2
	s_cbranch_execz .LBB33_97
; %bb.96:
	s_delay_alu instid0(VALU_DEP_1) | instskip(SKIP_4) | instid1(VALU_DEP_4)
	v_mad_u32 v4, 0x60, v1, v115
	v_dual_lshrrev_b32 v3, 16, v151 :: v_dual_lshrrev_b32 v6, 16, v152
	v_mov_b32_e32 v5, 0
	v_cvt_f32_f16_e64 v2, v151
	v_cvt_f32_f16_e64 v10, v152
	v_cvt_f32_f16_e32 v3, v3
	v_cvt_f32_f16_e32 v11, v6
	s_delay_alu instid0(VALU_DEP_2) | instskip(SKIP_1) | instid1(VALU_DEP_3)
	v_pk_mul_f32 v[2:3], v[0:1], v[2:3] op_sel_hi:[0,1]
	v_lshl_add_u64 v[12:13], v[4:5], 2, s[28:29]
	v_pk_mul_f32 v[4:5], v[0:1], v[10:11] op_sel_hi:[0,1]
	global_store_b128 v[12:13], v[2:5], off
.LBB33_97:
	s_wait_xcnt 0x0
	s_or_b32 exec_lo, exec_lo, s0
	s_delay_alu instid0(SALU_CYCLE_1)
	s_and_b32 exec_lo, exec_lo, s3
	s_cbranch_execz .LBB33_99
; %bb.98:
	v_mov_b32_e32 v8, v7
	global_store_b64 v1, v[8:9], s[30:31] scale_offset
.LBB33_99:
	s_sendmsg sendmsg(MSG_DEALLOC_VGPRS)
	s_endpgm
	.section	.rodata,"a",@progbits
	.p2align	6, 0x0
	.amdhsa_kernel _ZL15flash_attn_tileILi96ELi96ELi32ELi2ELb0EEvPKcS1_S1_S1_S1_PKiPfP15HIP_vector_typeIfLj2EEffffjfiS5_IjLj3EEiiiiiiiiiiiliiliiiiil
		.amdhsa_group_segment_fixed_size 20096
		.amdhsa_private_segment_fixed_size 0
		.amdhsa_kernarg_size 464
		.amdhsa_user_sgpr_count 2
		.amdhsa_user_sgpr_dispatch_ptr 0
		.amdhsa_user_sgpr_queue_ptr 0
		.amdhsa_user_sgpr_kernarg_segment_ptr 1
		.amdhsa_user_sgpr_dispatch_id 0
		.amdhsa_user_sgpr_kernarg_preload_length 0
		.amdhsa_user_sgpr_kernarg_preload_offset 0
		.amdhsa_user_sgpr_private_segment_size 0
		.amdhsa_wavefront_size32 1
		.amdhsa_uses_dynamic_stack 0
		.amdhsa_enable_private_segment 0
		.amdhsa_system_sgpr_workgroup_id_x 1
		.amdhsa_system_sgpr_workgroup_id_y 1
		.amdhsa_system_sgpr_workgroup_id_z 1
		.amdhsa_system_sgpr_workgroup_info 0
		.amdhsa_system_vgpr_workitem_id 1
		.amdhsa_next_free_vgpr 260
		.amdhsa_next_free_sgpr 54
		.amdhsa_named_barrier_count 0
		.amdhsa_reserve_vcc 1
		.amdhsa_float_round_mode_32 0
		.amdhsa_float_round_mode_16_64 0
		.amdhsa_float_denorm_mode_32 3
		.amdhsa_float_denorm_mode_16_64 3
		.amdhsa_fp16_overflow 0
		.amdhsa_memory_ordered 1
		.amdhsa_forward_progress 1
		.amdhsa_inst_pref_size 177
		.amdhsa_round_robin_scheduling 0
		.amdhsa_exception_fp_ieee_invalid_op 0
		.amdhsa_exception_fp_denorm_src 0
		.amdhsa_exception_fp_ieee_div_zero 0
		.amdhsa_exception_fp_ieee_overflow 0
		.amdhsa_exception_fp_ieee_underflow 0
		.amdhsa_exception_fp_ieee_inexact 0
		.amdhsa_exception_int_div_zero 0
	.end_amdhsa_kernel
	.section	.text._ZL15flash_attn_tileILi96ELi96ELi32ELi2ELb0EEvPKcS1_S1_S1_S1_PKiPfP15HIP_vector_typeIfLj2EEffffjfiS5_IjLj3EEiiiiiiiiiiiliiliiiiil,"axG",@progbits,_ZL15flash_attn_tileILi96ELi96ELi32ELi2ELb0EEvPKcS1_S1_S1_S1_PKiPfP15HIP_vector_typeIfLj2EEffffjfiS5_IjLj3EEiiiiiiiiiiiliiliiiiil,comdat
.Lfunc_end33:
	.size	_ZL15flash_attn_tileILi96ELi96ELi32ELi2ELb0EEvPKcS1_S1_S1_S1_PKiPfP15HIP_vector_typeIfLj2EEffffjfiS5_IjLj3EEiiiiiiiiiiiliiliiiiil, .Lfunc_end33-_ZL15flash_attn_tileILi96ELi96ELi32ELi2ELb0EEvPKcS1_S1_S1_S1_PKiPfP15HIP_vector_typeIfLj2EEffffjfiS5_IjLj3EEiiiiiiiiiiiliiliiiiil
                                        ; -- End function
	.set _ZL15flash_attn_tileILi96ELi96ELi32ELi2ELb0EEvPKcS1_S1_S1_S1_PKiPfP15HIP_vector_typeIfLj2EEffffjfiS5_IjLj3EEiiiiiiiiiiiliiliiiiil.num_vgpr, 260
	.set _ZL15flash_attn_tileILi96ELi96ELi32ELi2ELb0EEvPKcS1_S1_S1_S1_PKiPfP15HIP_vector_typeIfLj2EEffffjfiS5_IjLj3EEiiiiiiiiiiiliiliiiiil.num_agpr, 0
	.set _ZL15flash_attn_tileILi96ELi96ELi32ELi2ELb0EEvPKcS1_S1_S1_S1_PKiPfP15HIP_vector_typeIfLj2EEffffjfiS5_IjLj3EEiiiiiiiiiiiliiliiiiil.numbered_sgpr, 54
	.set _ZL15flash_attn_tileILi96ELi96ELi32ELi2ELb0EEvPKcS1_S1_S1_S1_PKiPfP15HIP_vector_typeIfLj2EEffffjfiS5_IjLj3EEiiiiiiiiiiiliiliiiiil.num_named_barrier, 0
	.set _ZL15flash_attn_tileILi96ELi96ELi32ELi2ELb0EEvPKcS1_S1_S1_S1_PKiPfP15HIP_vector_typeIfLj2EEffffjfiS5_IjLj3EEiiiiiiiiiiiliiliiiiil.private_seg_size, 0
	.set _ZL15flash_attn_tileILi96ELi96ELi32ELi2ELb0EEvPKcS1_S1_S1_S1_PKiPfP15HIP_vector_typeIfLj2EEffffjfiS5_IjLj3EEiiiiiiiiiiiliiliiiiil.uses_vcc, 1
	.set _ZL15flash_attn_tileILi96ELi96ELi32ELi2ELb0EEvPKcS1_S1_S1_S1_PKiPfP15HIP_vector_typeIfLj2EEffffjfiS5_IjLj3EEiiiiiiiiiiiliiliiiiil.uses_flat_scratch, 0
	.set _ZL15flash_attn_tileILi96ELi96ELi32ELi2ELb0EEvPKcS1_S1_S1_S1_PKiPfP15HIP_vector_typeIfLj2EEffffjfiS5_IjLj3EEiiiiiiiiiiiliiliiiiil.has_dyn_sized_stack, 0
	.set _ZL15flash_attn_tileILi96ELi96ELi32ELi2ELb0EEvPKcS1_S1_S1_S1_PKiPfP15HIP_vector_typeIfLj2EEffffjfiS5_IjLj3EEiiiiiiiiiiiliiliiiiil.has_recursion, 0
	.set _ZL15flash_attn_tileILi96ELi96ELi32ELi2ELb0EEvPKcS1_S1_S1_S1_PKiPfP15HIP_vector_typeIfLj2EEffffjfiS5_IjLj3EEiiiiiiiiiiiliiliiiiil.has_indirect_call, 0
	.section	.AMDGPU.csdata,"",@progbits
; Kernel info:
; codeLenInByte = 22560
; TotalNumSgprs: 56
; NumVgprs: 260
; ScratchSize: 0
; MemoryBound: 0
; FloatMode: 240
; IeeeMode: 1
; LDSByteSize: 20096 bytes/workgroup (compile time only)
; SGPRBlocks: 0
; VGPRBlocks: 16
; NumSGPRsForWavesPerEU: 56
; NumVGPRsForWavesPerEU: 260
; NamedBarCnt: 0
; Occupancy: 3
; WaveLimiterHint : 1
; COMPUTE_PGM_RSRC2:SCRATCH_EN: 0
; COMPUTE_PGM_RSRC2:USER_SGPR: 2
; COMPUTE_PGM_RSRC2:TRAP_HANDLER: 0
; COMPUTE_PGM_RSRC2:TGID_X_EN: 1
; COMPUTE_PGM_RSRC2:TGID_Y_EN: 1
; COMPUTE_PGM_RSRC2:TGID_Z_EN: 1
; COMPUTE_PGM_RSRC2:TIDIG_COMP_CNT: 1
	.section	.text._ZL25flash_attn_mask_to_KV_maxILi32EEvPK7__half2Piiii,"axG",@progbits,_ZL25flash_attn_mask_to_KV_maxILi32EEvPK7__half2Piiii,comdat
	.globl	_ZL25flash_attn_mask_to_KV_maxILi32EEvPK7__half2Piiii ; -- Begin function _ZL25flash_attn_mask_to_KV_maxILi32EEvPK7__half2Piiii
	.p2align	8
	.type	_ZL25flash_attn_mask_to_KV_maxILi32EEvPK7__half2Piiii,@function
_ZL25flash_attn_mask_to_KV_maxILi32EEvPK7__half2Piiii: ; @_ZL25flash_attn_mask_to_KV_maxILi32EEvPK7__half2Piiii
; %bb.0:
	s_load_b128 s[4:7], s[0:1], 0x0
	s_mov_b32 s2, exec_lo
	v_cmpx_gt_u32_e32 32, v0
; %bb.1:
	v_dual_mov_b32 v2, 1 :: v_dual_lshlrev_b32 v1, 2, v0
	ds_store_b32 v1, v2
; %bb.2:
	s_or_b32 exec_lo, exec_lo, s2
	s_clause 0x1
	s_load_b96 s[8:10], s[0:1], 0x10
	s_load_b32 s11, s[0:1], 0x20
	s_wait_xcnt 0x0
	s_bfe_u32 s1, ttmp6, 0x4000c
	s_bfe_u32 s2, ttmp6, 0x40010
	s_add_co_i32 s1, s1, 1
	s_add_co_i32 s2, s2, 1
	s_and_b32 s0, ttmp6, 15
	s_bfe_u32 s3, ttmp6, 0x40004
	s_mul_i32 s1, ttmp9, s1
	s_mul_i32 s2, ttmp7, s2
	s_getreg_b32 s12, hwreg(HW_REG_IB_STS2, 6, 4)
	s_add_co_i32 s0, s0, s1
	s_add_co_i32 s3, s3, s2
	s_cmp_eq_u32 s12, 0
	v_dual_lshrrev_b32 v1, 3, v0 :: v_dual_bitop2_b32 v2, 31, v0 bitop3:0x40
	s_cselect_b32 s1, ttmp9, s0
	s_cselect_b32 s12, ttmp7, s3
	s_wait_dscnt 0x0
	s_barrier_signal -1
	s_wait_kmcnt 0x0
	s_mul_i32 s0, s1, s9
	s_mul_i32 s2, s10, s12
	s_lshl_b32 s0, s0, 5
	s_barrier_wait -1
	s_add_co_i32 s2, s2, s0
	v_cmp_eq_u32_e64 s0, 0, v2
	s_ashr_i32 s3, s2, 31
	v_lshlrev_b32_e32 v2, 2, v2
	s_lshl_b64 s[2:3], s[2:3], 2
	s_delay_alu instid0(SALU_CYCLE_1)
	s_add_nc_u64 s[2:3], s[4:5], s[2:3]
	s_lshl_b32 s5, s8, 8
	s_branch .LBB34_4
.LBB34_3:                               ;   in Loop: Header=BB34_4 Depth=1
	s_or_b32 exec_lo, exec_lo, s8
	s_wait_dscnt 0x0
	s_barrier_signal -1
	s_barrier_wait -1
	ds_load_b32 v3, v2
	s_wait_dscnt 0x0
	s_barrier_signal -1
	s_barrier_wait -1
	v_cmp_ne_u32_e32 vcc_lo, 0, v3
	s_cmp_lg_u32 vcc_lo, exec_lo
	s_cselect_b32 s8, -1, 0
	s_delay_alu instid0(SALU_CYCLE_1)
	s_and_b32 vcc_lo, exec_lo, s8
	s_cbranch_vccnz .LBB34_132
.LBB34_4:                               ; =>This Inner Loop Header: Depth=1
	s_mov_b32 s4, s5
	s_addk_co_i32 s5, 0xff00
	s_delay_alu instid0(SALU_CYCLE_1)
	s_cmp_lt_i32 s5, 0
	s_cbranch_scc1 .LBB34_131
; %bb.5:                                ;   in Loop: Header=BB34_4 Depth=1
	s_lshr_b32 s8, s5, 1
	s_delay_alu instid0(SALU_CYCLE_1) | instskip(SKIP_4) | instid1(VALU_DEP_2)
	v_add_nc_u32_e32 v3, s8, v0
	global_load_b32 v4, v3, s[2:3] scale_offset
	s_wait_loadcnt 0x0
	v_lshrrev_b32_e32 v5, 16, v4
	v_cmp_class_f16_e64 s8, v4, 0x204
	v_cmp_class_f16_e64 s10, v5, 0x204
	s_and_b32 s13, s8, s10
	s_mov_b32 s10, 0
	s_and_saveexec_b32 s8, s13
	s_cbranch_execz .LBB34_129
; %bb.6:                                ;   in Loop: Header=BB34_4 Depth=1
	v_add_nc_u32_e32 v3, s9, v3
	s_mov_b32 s13, 0
	global_load_b32 v4, v3, s[2:3] scale_offset
	s_wait_loadcnt 0x0
	v_cmp_class_f16_e64 s14, v4, 0x204
	s_and_saveexec_b32 s10, s14
	s_cbranch_execz .LBB34_128
; %bb.7:                                ;   in Loop: Header=BB34_4 Depth=1
	v_lshrrev_b32_e32 v4, 16, v4
	s_mov_b32 s14, 0
	s_delay_alu instid0(VALU_DEP_1)
	v_cmp_class_f16_e64 s15, v4, 0x204
	s_and_saveexec_b32 s13, s15
	s_cbranch_execz .LBB34_127
; %bb.8:                                ;   in Loop: Header=BB34_4 Depth=1
	v_add_nc_u32_e32 v3, s9, v3
	s_mov_b32 s15, 0
	global_load_b32 v4, v3, s[2:3] scale_offset
	s_wait_loadcnt 0x0
	v_cmp_class_f16_e64 s16, v4, 0x204
	s_and_saveexec_b32 s14, s16
	s_cbranch_execz .LBB34_126
; %bb.9:                                ;   in Loop: Header=BB34_4 Depth=1
	v_lshrrev_b32_e32 v4, 16, v4
	s_mov_b32 s16, 0
	s_delay_alu instid0(VALU_DEP_1)
	v_cmp_class_f16_e64 s17, v4, 0x204
	s_and_saveexec_b32 s15, s17
	s_cbranch_execz .LBB34_125
; %bb.10:                               ;   in Loop: Header=BB34_4 Depth=1
	v_add_nc_u32_e32 v3, s9, v3
	s_mov_b32 s17, 0
	global_load_b32 v4, v3, s[2:3] scale_offset
	s_wait_loadcnt 0x0
	v_cmp_class_f16_e64 s18, v4, 0x204
	s_and_saveexec_b32 s16, s18
	s_cbranch_execz .LBB34_124
; %bb.11:                               ;   in Loop: Header=BB34_4 Depth=1
	v_lshrrev_b32_e32 v4, 16, v4
	s_mov_b32 s18, 0
	s_delay_alu instid0(VALU_DEP_1)
	v_cmp_class_f16_e64 s19, v4, 0x204
	s_and_saveexec_b32 s17, s19
	s_cbranch_execz .LBB34_123
; %bb.12:                               ;   in Loop: Header=BB34_4 Depth=1
	v_add_nc_u32_e32 v3, s9, v3
	s_mov_b32 s19, 0
	global_load_b32 v4, v3, s[2:3] scale_offset
	s_wait_loadcnt 0x0
	v_cmp_class_f16_e64 s20, v4, 0x204
	s_and_saveexec_b32 s18, s20
	s_cbranch_execz .LBB34_122
; %bb.13:                               ;   in Loop: Header=BB34_4 Depth=1
	;; [unrolled: 15-line block ×28, first 2 shown]
	v_lshrrev_b32_e32 v4, 16, v4
	s_mov_b32 s73, 0
	s_delay_alu instid0(VALU_DEP_1)
	v_cmp_class_f16_e64 s74, v4, 0x204
	s_and_saveexec_b32 s72, s74
	s_cbranch_execz .LBB34_69
; %bb.66:                               ;   in Loop: Header=BB34_4 Depth=1
	v_add_nc_u32_e32 v3, s9, v3
	global_load_b32 v3, v3, s[2:3] scale_offset
	s_wait_loadcnt 0x0
	v_cmp_class_f16_e64 s75, v3, 0x204
	s_and_saveexec_b32 s74, s75
; %bb.67:                               ;   in Loop: Header=BB34_4 Depth=1
	v_lshrrev_b32_e32 v3, 16, v3
	s_delay_alu instid0(VALU_DEP_1)
	v_cmp_class_f16_e64 s73, v3, 0x204
	s_and_b32 s73, s73, exec_lo
; %bb.68:                               ;   in Loop: Header=BB34_4 Depth=1
	s_or_b32 exec_lo, exec_lo, s74
	s_delay_alu instid0(SALU_CYCLE_1)
	s_and_b32 s73, s73, exec_lo
.LBB34_69:                              ;   in Loop: Header=BB34_4 Depth=1
	s_or_b32 exec_lo, exec_lo, s72
	s_delay_alu instid0(SALU_CYCLE_1)
	s_and_b32 s72, s73, exec_lo
.LBB34_70:                              ;   in Loop: Header=BB34_4 Depth=1
	s_or_b32 exec_lo, exec_lo, s71
	s_delay_alu instid0(SALU_CYCLE_1)
	s_and_b32 s71, s72, exec_lo
.LBB34_71:                              ;   in Loop: Header=BB34_4 Depth=1
	s_or_b32 exec_lo, exec_lo, s70
	s_delay_alu instid0(SALU_CYCLE_1)
	s_and_b32 s70, s71, exec_lo
.LBB34_72:                              ;   in Loop: Header=BB34_4 Depth=1
	s_or_b32 exec_lo, exec_lo, s69
	s_delay_alu instid0(SALU_CYCLE_1)
	s_and_b32 s69, s70, exec_lo
.LBB34_73:                              ;   in Loop: Header=BB34_4 Depth=1
	s_or_b32 exec_lo, exec_lo, s68
	s_delay_alu instid0(SALU_CYCLE_1)
	s_and_b32 s68, s69, exec_lo
.LBB34_74:                              ;   in Loop: Header=BB34_4 Depth=1
	s_or_b32 exec_lo, exec_lo, s67
	s_delay_alu instid0(SALU_CYCLE_1)
	s_and_b32 s67, s68, exec_lo
.LBB34_75:                              ;   in Loop: Header=BB34_4 Depth=1
	s_or_b32 exec_lo, exec_lo, s66
	s_delay_alu instid0(SALU_CYCLE_1)
	s_and_b32 s66, s67, exec_lo
.LBB34_76:                              ;   in Loop: Header=BB34_4 Depth=1
	s_or_b32 exec_lo, exec_lo, s65
	s_delay_alu instid0(SALU_CYCLE_1)
	s_and_b32 s65, s66, exec_lo
.LBB34_77:                              ;   in Loop: Header=BB34_4 Depth=1
	s_or_b32 exec_lo, exec_lo, s64
	s_delay_alu instid0(SALU_CYCLE_1)
	s_and_b32 s64, s65, exec_lo
.LBB34_78:                              ;   in Loop: Header=BB34_4 Depth=1
	s_or_b32 exec_lo, exec_lo, s63
	s_delay_alu instid0(SALU_CYCLE_1)
	s_and_b32 s63, s64, exec_lo
.LBB34_79:                              ;   in Loop: Header=BB34_4 Depth=1
	s_or_b32 exec_lo, exec_lo, s62
	s_delay_alu instid0(SALU_CYCLE_1)
	s_and_b32 s62, s63, exec_lo
.LBB34_80:                              ;   in Loop: Header=BB34_4 Depth=1
	s_or_b32 exec_lo, exec_lo, s61
	s_delay_alu instid0(SALU_CYCLE_1)
	s_and_b32 s61, s62, exec_lo
.LBB34_81:                              ;   in Loop: Header=BB34_4 Depth=1
	s_or_b32 exec_lo, exec_lo, s60
	s_delay_alu instid0(SALU_CYCLE_1)
	s_and_b32 s60, s61, exec_lo
.LBB34_82:                              ;   in Loop: Header=BB34_4 Depth=1
	s_or_b32 exec_lo, exec_lo, s59
	s_delay_alu instid0(SALU_CYCLE_1)
	s_and_b32 s59, s60, exec_lo
.LBB34_83:                              ;   in Loop: Header=BB34_4 Depth=1
	s_or_b32 exec_lo, exec_lo, s58
	s_delay_alu instid0(SALU_CYCLE_1)
	s_and_b32 s58, s59, exec_lo
.LBB34_84:                              ;   in Loop: Header=BB34_4 Depth=1
	s_or_b32 exec_lo, exec_lo, s57
	s_delay_alu instid0(SALU_CYCLE_1)
	s_and_b32 s57, s58, exec_lo
.LBB34_85:                              ;   in Loop: Header=BB34_4 Depth=1
	s_or_b32 exec_lo, exec_lo, s56
	s_delay_alu instid0(SALU_CYCLE_1)
	s_and_b32 s56, s57, exec_lo
.LBB34_86:                              ;   in Loop: Header=BB34_4 Depth=1
	s_or_b32 exec_lo, exec_lo, s55
	s_delay_alu instid0(SALU_CYCLE_1)
	s_and_b32 s55, s56, exec_lo
.LBB34_87:                              ;   in Loop: Header=BB34_4 Depth=1
	s_or_b32 exec_lo, exec_lo, s54
	s_delay_alu instid0(SALU_CYCLE_1)
	s_and_b32 s54, s55, exec_lo
.LBB34_88:                              ;   in Loop: Header=BB34_4 Depth=1
	s_or_b32 exec_lo, exec_lo, s53
	s_delay_alu instid0(SALU_CYCLE_1)
	s_and_b32 s53, s54, exec_lo
.LBB34_89:                              ;   in Loop: Header=BB34_4 Depth=1
	s_or_b32 exec_lo, exec_lo, s52
	s_delay_alu instid0(SALU_CYCLE_1)
	s_and_b32 s52, s53, exec_lo
.LBB34_90:                              ;   in Loop: Header=BB34_4 Depth=1
	s_or_b32 exec_lo, exec_lo, s51
	s_delay_alu instid0(SALU_CYCLE_1)
	s_and_b32 s51, s52, exec_lo
.LBB34_91:                              ;   in Loop: Header=BB34_4 Depth=1
	s_or_b32 exec_lo, exec_lo, s50
	s_delay_alu instid0(SALU_CYCLE_1)
	s_and_b32 s50, s51, exec_lo
.LBB34_92:                              ;   in Loop: Header=BB34_4 Depth=1
	s_or_b32 exec_lo, exec_lo, s49
	s_delay_alu instid0(SALU_CYCLE_1)
	s_and_b32 s49, s50, exec_lo
.LBB34_93:                              ;   in Loop: Header=BB34_4 Depth=1
	s_or_b32 exec_lo, exec_lo, s48
	s_delay_alu instid0(SALU_CYCLE_1)
	s_and_b32 s48, s49, exec_lo
.LBB34_94:                              ;   in Loop: Header=BB34_4 Depth=1
	s_or_b32 exec_lo, exec_lo, s47
	s_delay_alu instid0(SALU_CYCLE_1)
	s_and_b32 s47, s48, exec_lo
.LBB34_95:                              ;   in Loop: Header=BB34_4 Depth=1
	s_or_b32 exec_lo, exec_lo, s46
	s_delay_alu instid0(SALU_CYCLE_1)
	s_and_b32 s46, s47, exec_lo
.LBB34_96:                              ;   in Loop: Header=BB34_4 Depth=1
	s_or_b32 exec_lo, exec_lo, s45
	s_delay_alu instid0(SALU_CYCLE_1)
	s_and_b32 s45, s46, exec_lo
.LBB34_97:                              ;   in Loop: Header=BB34_4 Depth=1
	s_or_b32 exec_lo, exec_lo, s44
	s_delay_alu instid0(SALU_CYCLE_1)
	s_and_b32 s44, s45, exec_lo
.LBB34_98:                              ;   in Loop: Header=BB34_4 Depth=1
	s_or_b32 exec_lo, exec_lo, s43
	s_delay_alu instid0(SALU_CYCLE_1)
	s_and_b32 s43, s44, exec_lo
.LBB34_99:                              ;   in Loop: Header=BB34_4 Depth=1
	s_or_b32 exec_lo, exec_lo, s42
	s_delay_alu instid0(SALU_CYCLE_1)
	s_and_b32 s42, s43, exec_lo
.LBB34_100:                             ;   in Loop: Header=BB34_4 Depth=1
	s_or_b32 exec_lo, exec_lo, s41
	s_delay_alu instid0(SALU_CYCLE_1)
	s_and_b32 s41, s42, exec_lo
.LBB34_101:                             ;   in Loop: Header=BB34_4 Depth=1
	s_or_b32 exec_lo, exec_lo, s40
	s_delay_alu instid0(SALU_CYCLE_1)
	s_and_b32 s40, s41, exec_lo
.LBB34_102:                             ;   in Loop: Header=BB34_4 Depth=1
	s_or_b32 exec_lo, exec_lo, s39
	s_delay_alu instid0(SALU_CYCLE_1)
	s_and_b32 s39, s40, exec_lo
.LBB34_103:                             ;   in Loop: Header=BB34_4 Depth=1
	s_or_b32 exec_lo, exec_lo, s38
	s_delay_alu instid0(SALU_CYCLE_1)
	s_and_b32 s38, s39, exec_lo
.LBB34_104:                             ;   in Loop: Header=BB34_4 Depth=1
	s_or_b32 exec_lo, exec_lo, s37
	s_delay_alu instid0(SALU_CYCLE_1)
	s_and_b32 s37, s38, exec_lo
.LBB34_105:                             ;   in Loop: Header=BB34_4 Depth=1
	s_or_b32 exec_lo, exec_lo, s36
	s_delay_alu instid0(SALU_CYCLE_1)
	s_and_b32 s36, s37, exec_lo
.LBB34_106:                             ;   in Loop: Header=BB34_4 Depth=1
	s_or_b32 exec_lo, exec_lo, s35
	s_delay_alu instid0(SALU_CYCLE_1)
	s_and_b32 s35, s36, exec_lo
.LBB34_107:                             ;   in Loop: Header=BB34_4 Depth=1
	s_or_b32 exec_lo, exec_lo, s34
	s_delay_alu instid0(SALU_CYCLE_1)
	s_and_b32 s34, s35, exec_lo
.LBB34_108:                             ;   in Loop: Header=BB34_4 Depth=1
	s_or_b32 exec_lo, exec_lo, s33
	s_delay_alu instid0(SALU_CYCLE_1)
	s_and_b32 s33, s34, exec_lo
.LBB34_109:                             ;   in Loop: Header=BB34_4 Depth=1
	s_or_b32 exec_lo, exec_lo, s31
	s_delay_alu instid0(SALU_CYCLE_1)
	s_and_b32 s31, s33, exec_lo
.LBB34_110:                             ;   in Loop: Header=BB34_4 Depth=1
	s_or_b32 exec_lo, exec_lo, s30
	s_delay_alu instid0(SALU_CYCLE_1)
	s_and_b32 s30, s31, exec_lo
.LBB34_111:                             ;   in Loop: Header=BB34_4 Depth=1
	s_or_b32 exec_lo, exec_lo, s29
	s_delay_alu instid0(SALU_CYCLE_1)
	s_and_b32 s29, s30, exec_lo
.LBB34_112:                             ;   in Loop: Header=BB34_4 Depth=1
	s_or_b32 exec_lo, exec_lo, s28
	s_delay_alu instid0(SALU_CYCLE_1)
	s_and_b32 s28, s29, exec_lo
.LBB34_113:                             ;   in Loop: Header=BB34_4 Depth=1
	s_or_b32 exec_lo, exec_lo, s27
	s_delay_alu instid0(SALU_CYCLE_1)
	s_and_b32 s27, s28, exec_lo
.LBB34_114:                             ;   in Loop: Header=BB34_4 Depth=1
	s_or_b32 exec_lo, exec_lo, s26
	s_delay_alu instid0(SALU_CYCLE_1)
	s_and_b32 s26, s27, exec_lo
.LBB34_115:                             ;   in Loop: Header=BB34_4 Depth=1
	s_or_b32 exec_lo, exec_lo, s25
	s_delay_alu instid0(SALU_CYCLE_1)
	s_and_b32 s25, s26, exec_lo
.LBB34_116:                             ;   in Loop: Header=BB34_4 Depth=1
	s_or_b32 exec_lo, exec_lo, s24
	s_delay_alu instid0(SALU_CYCLE_1)
	s_and_b32 s24, s25, exec_lo
.LBB34_117:                             ;   in Loop: Header=BB34_4 Depth=1
	s_or_b32 exec_lo, exec_lo, s23
	s_delay_alu instid0(SALU_CYCLE_1)
	s_and_b32 s23, s24, exec_lo
.LBB34_118:                             ;   in Loop: Header=BB34_4 Depth=1
	s_or_b32 exec_lo, exec_lo, s22
	s_delay_alu instid0(SALU_CYCLE_1)
	s_and_b32 s22, s23, exec_lo
.LBB34_119:                             ;   in Loop: Header=BB34_4 Depth=1
	s_or_b32 exec_lo, exec_lo, s21
	s_delay_alu instid0(SALU_CYCLE_1)
	s_and_b32 s21, s22, exec_lo
.LBB34_120:                             ;   in Loop: Header=BB34_4 Depth=1
	s_or_b32 exec_lo, exec_lo, s20
	s_delay_alu instid0(SALU_CYCLE_1)
	s_and_b32 s20, s21, exec_lo
.LBB34_121:                             ;   in Loop: Header=BB34_4 Depth=1
	s_or_b32 exec_lo, exec_lo, s19
	s_delay_alu instid0(SALU_CYCLE_1)
	s_and_b32 s19, s20, exec_lo
.LBB34_122:                             ;   in Loop: Header=BB34_4 Depth=1
	s_or_b32 exec_lo, exec_lo, s18
	s_delay_alu instid0(SALU_CYCLE_1)
	s_and_b32 s18, s19, exec_lo
.LBB34_123:                             ;   in Loop: Header=BB34_4 Depth=1
	s_or_b32 exec_lo, exec_lo, s17
	s_delay_alu instid0(SALU_CYCLE_1)
	s_and_b32 s17, s18, exec_lo
.LBB34_124:                             ;   in Loop: Header=BB34_4 Depth=1
	s_or_b32 exec_lo, exec_lo, s16
	s_delay_alu instid0(SALU_CYCLE_1)
	s_and_b32 s16, s17, exec_lo
.LBB34_125:                             ;   in Loop: Header=BB34_4 Depth=1
	s_or_b32 exec_lo, exec_lo, s15
	s_delay_alu instid0(SALU_CYCLE_1)
	s_and_b32 s15, s16, exec_lo
.LBB34_126:                             ;   in Loop: Header=BB34_4 Depth=1
	s_or_b32 exec_lo, exec_lo, s14
	s_delay_alu instid0(SALU_CYCLE_1)
	s_and_b32 s14, s15, exec_lo
.LBB34_127:                             ;   in Loop: Header=BB34_4 Depth=1
	s_or_b32 exec_lo, exec_lo, s13
	s_delay_alu instid0(SALU_CYCLE_1)
	s_and_b32 s13, s14, exec_lo
.LBB34_128:                             ;   in Loop: Header=BB34_4 Depth=1
	s_or_b32 exec_lo, exec_lo, s10
	s_delay_alu instid0(SALU_CYCLE_1)
	s_and_b32 s10, s13, exec_lo
.LBB34_129:                             ;   in Loop: Header=BB34_4 Depth=1
	s_or_b32 exec_lo, exec_lo, s8
	v_cndmask_b32_e64 v3, 0, 1, s10
	s_mov_b32 s13, exec_lo
	s_delay_alu instid0(VALU_DEP_1)
	v_cmp_ne_u32_e32 vcc_lo, 0, v3
	s_and_saveexec_b32 s8, s0
	s_cbranch_execz .LBB34_3
; %bb.130:                              ;   in Loop: Header=BB34_4 Depth=1
	s_cmp_eq_u32 vcc_lo, s13
	s_cselect_b32 s10, -1, 0
	s_delay_alu instid0(SALU_CYCLE_1)
	v_cndmask_b32_e64 v3, 0, 1, s10
	ds_store_b32 v1, v3
	s_branch .LBB34_3
.LBB34_131:                             ;   in Loop: Header=BB34_4 Depth=1
	s_cbranch_execz .LBB34_4
.LBB34_132:
	s_mov_b32 s0, exec_lo
	v_cmpx_eq_u32_e32 0, v0
	s_cbranch_execz .LBB34_134
; %bb.133:
	s_mul_i32 s0, s11, s12
	v_mov_b32_e32 v1, s4
	s_add_co_i32 s0, s0, s1
	s_delay_alu instid0(SALU_CYCLE_1)
	v_mov_b32_e32 v0, s0
	global_store_b32 v0, v1, s[6:7] scale_offset
.LBB34_134:
	s_endpgm
	.section	.rodata,"a",@progbits
	.p2align	6, 0x0
	.amdhsa_kernel _ZL25flash_attn_mask_to_KV_maxILi32EEvPK7__half2Piiii
		.amdhsa_group_segment_fixed_size 128
		.amdhsa_private_segment_fixed_size 0
		.amdhsa_kernarg_size 288
		.amdhsa_user_sgpr_count 2
		.amdhsa_user_sgpr_dispatch_ptr 0
		.amdhsa_user_sgpr_queue_ptr 0
		.amdhsa_user_sgpr_kernarg_segment_ptr 1
		.amdhsa_user_sgpr_dispatch_id 0
		.amdhsa_user_sgpr_kernarg_preload_length 0
		.amdhsa_user_sgpr_kernarg_preload_offset 0
		.amdhsa_user_sgpr_private_segment_size 0
		.amdhsa_wavefront_size32 1
		.amdhsa_uses_dynamic_stack 0
		.amdhsa_enable_private_segment 0
		.amdhsa_system_sgpr_workgroup_id_x 1
		.amdhsa_system_sgpr_workgroup_id_y 1
		.amdhsa_system_sgpr_workgroup_id_z 0
		.amdhsa_system_sgpr_workgroup_info 0
		.amdhsa_system_vgpr_workitem_id 0
		.amdhsa_next_free_vgpr 6
		.amdhsa_next_free_sgpr 76
		.amdhsa_named_barrier_count 0
		.amdhsa_reserve_vcc 1
		.amdhsa_float_round_mode_32 0
		.amdhsa_float_round_mode_16_64 0
		.amdhsa_float_denorm_mode_32 3
		.amdhsa_float_denorm_mode_16_64 3
		.amdhsa_fp16_overflow 0
		.amdhsa_memory_ordered 1
		.amdhsa_forward_progress 1
		.amdhsa_inst_pref_size 28
		.amdhsa_round_robin_scheduling 0
		.amdhsa_exception_fp_ieee_invalid_op 0
		.amdhsa_exception_fp_denorm_src 0
		.amdhsa_exception_fp_ieee_div_zero 0
		.amdhsa_exception_fp_ieee_overflow 0
		.amdhsa_exception_fp_ieee_underflow 0
		.amdhsa_exception_fp_ieee_inexact 0
		.amdhsa_exception_int_div_zero 0
	.end_amdhsa_kernel
	.section	.text._ZL25flash_attn_mask_to_KV_maxILi32EEvPK7__half2Piiii,"axG",@progbits,_ZL25flash_attn_mask_to_KV_maxILi32EEvPK7__half2Piiii,comdat
.Lfunc_end34:
	.size	_ZL25flash_attn_mask_to_KV_maxILi32EEvPK7__half2Piiii, .Lfunc_end34-_ZL25flash_attn_mask_to_KV_maxILi32EEvPK7__half2Piiii
                                        ; -- End function
	.set _ZL25flash_attn_mask_to_KV_maxILi32EEvPK7__half2Piiii.num_vgpr, 6
	.set _ZL25flash_attn_mask_to_KV_maxILi32EEvPK7__half2Piiii.num_agpr, 0
	.set _ZL25flash_attn_mask_to_KV_maxILi32EEvPK7__half2Piiii.numbered_sgpr, 76
	.set _ZL25flash_attn_mask_to_KV_maxILi32EEvPK7__half2Piiii.num_named_barrier, 0
	.set _ZL25flash_attn_mask_to_KV_maxILi32EEvPK7__half2Piiii.private_seg_size, 0
	.set _ZL25flash_attn_mask_to_KV_maxILi32EEvPK7__half2Piiii.uses_vcc, 1
	.set _ZL25flash_attn_mask_to_KV_maxILi32EEvPK7__half2Piiii.uses_flat_scratch, 0
	.set _ZL25flash_attn_mask_to_KV_maxILi32EEvPK7__half2Piiii.has_dyn_sized_stack, 0
	.set _ZL25flash_attn_mask_to_KV_maxILi32EEvPK7__half2Piiii.has_recursion, 0
	.set _ZL25flash_attn_mask_to_KV_maxILi32EEvPK7__half2Piiii.has_indirect_call, 0
	.section	.AMDGPU.csdata,"",@progbits
; Kernel info:
; codeLenInByte = 3548
; TotalNumSgprs: 78
; NumVgprs: 6
; ScratchSize: 0
; MemoryBound: 0
; FloatMode: 240
; IeeeMode: 1
; LDSByteSize: 128 bytes/workgroup (compile time only)
; SGPRBlocks: 0
; VGPRBlocks: 0
; NumSGPRsForWavesPerEU: 78
; NumVGPRsForWavesPerEU: 6
; NamedBarCnt: 0
; Occupancy: 16
; WaveLimiterHint : 0
; COMPUTE_PGM_RSRC2:SCRATCH_EN: 0
; COMPUTE_PGM_RSRC2:USER_SGPR: 2
; COMPUTE_PGM_RSRC2:TRAP_HANDLER: 0
; COMPUTE_PGM_RSRC2:TGID_X_EN: 1
; COMPUTE_PGM_RSRC2:TGID_Y_EN: 1
; COMPUTE_PGM_RSRC2:TGID_Z_EN: 0
; COMPUTE_PGM_RSRC2:TIDIG_COMP_CNT: 0
	.section	.text._ZL33flash_attn_stream_k_fixup_uniformILi96ELi32ELi2EEvPfPK15HIP_vector_typeIfLj2EEiiiiiiS1_IjLj3EES5_S5_,"axG",@progbits,_ZL33flash_attn_stream_k_fixup_uniformILi96ELi32ELi2EEvPfPK15HIP_vector_typeIfLj2EEiiiiiiS1_IjLj3EES5_S5_,comdat
	.globl	_ZL33flash_attn_stream_k_fixup_uniformILi96ELi32ELi2EEvPfPK15HIP_vector_typeIfLj2EEiiiiiiS1_IjLj3EES5_S5_ ; -- Begin function _ZL33flash_attn_stream_k_fixup_uniformILi96ELi32ELi2EEvPfPK15HIP_vector_typeIfLj2EEiiiiiiS1_IjLj3EES5_S5_
	.p2align	8
	.type	_ZL33flash_attn_stream_k_fixup_uniformILi96ELi32ELi2EEvPfPK15HIP_vector_typeIfLj2EEiiiiiiS1_IjLj3EES5_S5_,@function
_ZL33flash_attn_stream_k_fixup_uniformILi96ELi32ELi2EEvPfPK15HIP_vector_typeIfLj2EEiiiiiiS1_IjLj3EES5_S5_: ; @_ZL33flash_attn_stream_k_fixup_uniformILi96ELi32ELi2EEvPfPK15HIP_vector_typeIfLj2EEiiiiiiS1_IjLj3EES5_S5_
; %bb.0:
	s_load_b256 s[4:11], s[0:1], 0x1c
	s_bfe_u32 s2, ttmp6, 0x40014
	s_lshr_b32 s3, ttmp7, 16
	s_add_co_i32 s2, s2, 1
	s_bfe_u32 s13, ttmp6, 0x40010
	s_mul_i32 s2, s3, s2
	s_bfe_u32 s12, ttmp6, 0x40008
	s_and_b32 s15, ttmp7, 0xffff
	s_add_co_i32 s13, s13, 1
	s_bfe_u32 s14, ttmp6, 0x4000c
	s_add_co_i32 s2, s12, s2
	s_mul_i32 s12, s15, s13
	s_bfe_u32 s13, ttmp6, 0x40004
	s_add_co_i32 s14, s14, 1
	s_add_co_i32 s13, s13, s12
	s_and_b32 s12, ttmp6, 15
	s_mul_i32 s14, ttmp9, s14
	s_getreg_b32 s20, hwreg(HW_REG_IB_STS2, 6, 4)
	s_add_co_i32 s12, s12, s14
	s_load_b128 s[16:19], s[0:1], 0x3c
	s_cmp_eq_u32 s20, 0
	s_cselect_b32 s14, ttmp9, s12
	s_cselect_b32 s12, s15, s13
	s_wait_kmcnt 0x0
	s_mul_hi_u32 s7, s7, s14
	s_cselect_b32 s13, s3, s2
	s_add_co_i32 s2, s14, s7
	s_delay_alu instid0(SALU_CYCLE_1) | instskip(NEXT) | instid1(SALU_CYCLE_1)
	s_lshr_b32 s7, s2, s8
	s_mul_i32 s2, s7, s9
	s_delay_alu instid0(SALU_CYCLE_1) | instskip(NEXT) | instid1(SALU_CYCLE_1)
	s_sub_co_i32 s8, s14, s2
	s_mul_hi_u32 s2, s8, s10
	s_delay_alu instid0(SALU_CYCLE_1) | instskip(SKIP_2) | instid1(SALU_CYCLE_1)
	s_add_co_i32 s9, s8, s2
	s_load_b64 s[2:3], s[0:1], 0x10
	s_lshr_b32 s15, s9, s11
	s_mul_i32 s9, s15, s16
	s_delay_alu instid0(SALU_CYCLE_1) | instskip(NEXT) | instid1(SALU_CYCLE_1)
	s_sub_co_i32 s8, s8, s9
	s_mul_hi_u32 s9, s8, s17
	s_delay_alu instid0(SALU_CYCLE_1) | instskip(NEXT) | instid1(SALU_CYCLE_1)
	s_add_co_i32 s9, s8, s9
	s_lshr_b32 s9, s9, s18
	s_delay_alu instid0(SALU_CYCLE_1) | instskip(SKIP_2) | instid1(SALU_CYCLE_1)
	s_mul_i32 s10, s9, s19
	s_lshl_b32 s16, s9, 1
	s_sub_co_i32 s17, s8, s10
	s_lshl_b32 s8, s17, 5
	s_delay_alu instid0(SALU_CYCLE_1) | instskip(SKIP_4) | instid1(SALU_CYCLE_1)
	s_add_co_i32 s8, s8, s12
	s_wait_kmcnt 0x0
	s_cmp_lt_i32 s8, s2
	s_cselect_b32 s8, -1, 0
	s_add_co_i32 s16, s16, s13
	s_cmp_lt_i32 s16, s5
	s_cselect_b32 s9, -1, 0
	s_delay_alu instid0(SALU_CYCLE_1) | instskip(NEXT) | instid1(SALU_CYCLE_1)
	s_and_b32 s8, s8, s9
	s_and_not1_b32 vcc_lo, exec_lo, s8
	s_cbranch_vccnz .LBB35_6
; %bb.1:
	s_load_b128 s[8:11], s[0:1], 0x0
	s_wait_xcnt 0x0
	s_mul_i32 s1, s3, s17
	s_mul_i32 s0, s7, s2
	s_mulk_i32 s1, 0xc00
	s_mul_i32 s15, s15, s5
	s_add_co_i32 s0, s0, s12
	v_or_b32_e32 v1, s1, v0
	s_mul_i32 s0, s0, s3
	s_add_co_i32 s1, s16, s15
	s_mul_i32 s7, s6, s14
	s_add_co_i32 s1, s1, s0
	s_lshl_b32 s5, s12, 1
	v_mad_u32 v4, 0x60, s1, v1
	s_add_co_i32 s15, s7, s6
	s_add_co_i32 s0, s5, s13
	s_lshl_b32 s1, s15, 6
	s_add_co_i32 s2, s15, -2
	s_add_co_i32 s0, s0, s1
	s_delay_alu instid0(SALU_CYCLE_1) | instskip(NEXT) | instid1(SALU_CYCLE_1)
	s_sub_co_i32 s0, s0, 64
	s_ashr_i32 s1, s0, 31
	s_wait_kmcnt 0x0
	global_load_b32 v3, v4, s[8:9] scale_offset
	s_lshl_b64 s[0:1], s[0:1], 3
	v_ashrrev_i32_e32 v5, 31, v4
	s_add_nc_u64 s[0:1], s[10:11], s[0:1]
	s_cmp_lt_i32 s2, s7
	s_load_b32 s16, s[0:1], 0x4
	s_cbranch_scc1 .LBB35_4
; %bb.2:
	s_wait_xcnt 0x0
	s_load_b32 s0, s[0:1], 0x0
	s_add_co_i32 s14, s14, 1
	s_mulk_i32 s12, 0xc0
	s_wait_xcnt 0x0
	s_mul_i32 s1, s6, s14
	s_lshl_b32 s2, s4, 8
	s_lshl_b32 s6, s1, 6
	s_mulk_i32 s1, 0x1800
	s_add_co_i32 s6, s13, s6
	s_mulk_i32 s13, 0x60
	s_lshl_b32 s4, s4, 6
	s_add_co_i32 s12, s13, s12
	s_ashr_i32 s3, s2, 31
	s_add_co_i32 s12, s12, s1
	s_add_co_i32 s1, s6, s4
	v_add3_u32 v0, s12, v0, 0xffffd000
	s_wait_kmcnt 0x0
	v_mov_b32_e32 v2, s16
	s_lshl_b64 s[2:3], s[2:3], 2
	s_add_co_i32 s4, s1, s5
	s_add_nc_u64 s[2:3], s[10:11], s[2:3]
	s_add_co_i32 s1, s15, -1
	s_addk_co_i32 s4, 0xff80
.LBB35_3:                               ; =>This Inner Loop Header: Depth=1
	global_load_b32 v7, v0, s[2:3] scale_offset
	s_ashr_i32 s5, s4, 31
	v_max_num_f32_e64 v1, s0, s0
	s_lshl_b64 s[12:13], s[4:5], 3
	s_delay_alu instid0(SALU_CYCLE_1) | instskip(SKIP_1) | instid1(VALU_DEP_1)
	s_add_nc_u64 s[12:13], s[10:11], s[12:13]
	s_load_b64 s[12:13], s[12:13], 0x0
	v_readfirstlane_b32 s5, v1
	v_add_nc_u32_e32 v0, 0xffffe800, v0
	s_wait_kmcnt 0x0
	v_max_num_f32_e64 v1, s12, s12
	s_delay_alu instid0(VALU_DEP_1) | instskip(SKIP_1) | instid1(SALU_CYCLE_3)
	v_readfirstlane_b32 s6, v1
	s_max_num_f32 s5, s5, s6
	s_sub_f32 s0, s0, s5
	s_sub_f32 s6, s12, s5
	s_delay_alu instid0(SALU_CYCLE_2) | instskip(NEXT) | instid1(SALU_CYCLE_2)
	s_mul_f32 s12, s0, 0x3fb8aa3b
	s_mul_f32 s14, s6, 0x3fb8aa3b
	s_delay_alu instid0(SALU_CYCLE_2)
	s_xor_b32 s15, s12, 0x80000000
	s_rndne_f32 s16, s12
	s_fmamk_f32 s15, s0, 0x3fb8aa3b, s15
	s_cmp_nlt_f32 s0, 0xc2ce8ed0
	s_rndne_f32 s17, s14
	s_sub_f32 s12, s12, s16
	s_fmamk_f32 s15, s0, 0x32a5705f, s15
	s_cselect_b32 vcc_lo, -1, 0
	s_cmp_ngt_f32 s0, 0x42b17218
	s_delay_alu instid0(SALU_CYCLE_1) | instskip(SKIP_2) | instid1(SALU_CYCLE_1)
	s_add_f32 s12, s12, s15
	s_cvt_i32_f32 s15, s16
	s_sub_f32 s16, s14, s17
	v_s_exp_f32 s12, s12
	v_nop
	s_delay_alu instid0(TRANS32_DEP_1) | instskip(SKIP_1) | instid1(VALU_DEP_1)
	v_ldexp_f32 v1, s12, s15
	s_cvt_i32_f32 s12, s17
	v_cndmask_b32_e32 v1, 0, v1, vcc_lo
	s_cselect_b32 vcc_lo, -1, 0
	s_cmp_ge_f32 s0, 0xc1a00000
	s_delay_alu instid0(VALU_DEP_1)
	v_cndmask_b32_e32 v1, 0x7f800000, v1, vcc_lo
	s_cselect_b32 vcc_lo, -1, 0
	s_xor_b32 s0, s14, 0x80000000
	s_cmp_nlt_f32 s6, 0xc2ce8ed0
	s_fmamk_f32 s0, s6, 0x3fb8aa3b, s0
	v_cndmask_b32_e32 v10, 0, v1, vcc_lo
	s_delay_alu instid0(SALU_CYCLE_2) | instskip(NEXT) | instid1(SALU_CYCLE_3)
	s_fmamk_f32 s0, s6, 0x32a5705f, s0
	s_add_f32 s0, s16, s0
	s_delay_alu instid0(SALU_CYCLE_3) | instskip(SKIP_1) | instid1(TRANS32_DEP_1)
	v_s_exp_f32 s0, s0
	v_nop
	v_ldexp_f32 v6, s0, s12
	s_cselect_b32 s0, -1, 0
	s_cmp_ngt_f32 s6, 0x42b17218
	s_delay_alu instid0(VALU_DEP_1) | instskip(SKIP_2) | instid1(VALU_DEP_1)
	v_cndmask_b32_e64 v6, 0, v6, s0
	s_cselect_b32 s0, -1, 0
	s_cmp_ge_f32 s6, 0xc1a00000
	v_cndmask_b32_e64 v8, 0x7f800000, v6, s0
	s_cselect_b32 s0, -1, 0
	v_mov_b32_e32 v6, s13
	s_add_co_i32 s1, s1, -1
	s_sub_co_i32 s4, s4, 64
	v_cndmask_b32_e64 v8, 0, v8, s0
	s_cmp_le_i32 s1, s7
	s_mov_b32 s0, s5
	s_wait_loadcnt 0x0
	s_delay_alu instid0(VALU_DEP_1) | instskip(NEXT) | instid1(VALU_DEP_1)
	v_pk_mul_f32 v[6:7], v[6:7], v[8:9] op_sel_hi:[1,0]
	v_pk_fma_f32 v[2:3], v[2:3], v[10:11], v[6:7] op_sel_hi:[1,0,1]
	s_cbranch_scc0 .LBB35_3
	s_branch .LBB35_5
.LBB35_4:
	s_wait_kmcnt 0x0
	v_mov_b32_e32 v2, s16
.LBB35_5:
	v_lshl_add_u64 v[0:1], v[4:5], 2, s[8:9]
	s_wait_loadcnt 0x0
	s_delay_alu instid0(VALU_DEP_2) | instskip(NEXT) | instid1(VALU_DEP_1)
	v_div_scale_f32 v4, null, v2, v2, v3
	v_rcp_f32_e32 v5, v4
	v_nop
	s_delay_alu instid0(TRANS32_DEP_1) | instskip(NEXT) | instid1(VALU_DEP_1)
	v_fma_f32 v6, -v4, v5, 1.0
	v_fmac_f32_e32 v5, v6, v5
	v_div_scale_f32 v6, vcc_lo, v3, v2, v3
	s_delay_alu instid0(VALU_DEP_1) | instskip(NEXT) | instid1(VALU_DEP_1)
	v_mul_f32_e32 v7, v6, v5
	v_fma_f32 v8, -v4, v7, v6
	s_delay_alu instid0(VALU_DEP_1) | instskip(NEXT) | instid1(VALU_DEP_1)
	v_fmac_f32_e32 v7, v8, v5
	v_fma_f32 v4, -v4, v7, v6
	s_delay_alu instid0(VALU_DEP_1) | instskip(NEXT) | instid1(VALU_DEP_1)
	v_div_fmas_f32 v4, v4, v5, v7
	v_div_fixup_f32 v2, v4, v2, v3
	global_store_b32 v[0:1], v2, off
.LBB35_6:
	s_endpgm
	.section	.rodata,"a",@progbits
	.p2align	6, 0x0
	.amdhsa_kernel _ZL33flash_attn_stream_k_fixup_uniformILi96ELi32ELi2EEvPfPK15HIP_vector_typeIfLj2EEiiiiiiS1_IjLj3EES5_S5_
		.amdhsa_group_segment_fixed_size 0
		.amdhsa_private_segment_fixed_size 0
		.amdhsa_kernarg_size 76
		.amdhsa_user_sgpr_count 2
		.amdhsa_user_sgpr_dispatch_ptr 0
		.amdhsa_user_sgpr_queue_ptr 0
		.amdhsa_user_sgpr_kernarg_segment_ptr 1
		.amdhsa_user_sgpr_dispatch_id 0
		.amdhsa_user_sgpr_kernarg_preload_length 0
		.amdhsa_user_sgpr_kernarg_preload_offset 0
		.amdhsa_user_sgpr_private_segment_size 0
		.amdhsa_wavefront_size32 1
		.amdhsa_uses_dynamic_stack 0
		.amdhsa_enable_private_segment 0
		.amdhsa_system_sgpr_workgroup_id_x 1
		.amdhsa_system_sgpr_workgroup_id_y 1
		.amdhsa_system_sgpr_workgroup_id_z 1
		.amdhsa_system_sgpr_workgroup_info 0
		.amdhsa_system_vgpr_workitem_id 0
		.amdhsa_next_free_vgpr 12
		.amdhsa_next_free_sgpr 21
		.amdhsa_named_barrier_count 0
		.amdhsa_reserve_vcc 1
		.amdhsa_float_round_mode_32 0
		.amdhsa_float_round_mode_16_64 0
		.amdhsa_float_denorm_mode_32 3
		.amdhsa_float_denorm_mode_16_64 3
		.amdhsa_fp16_overflow 0
		.amdhsa_memory_ordered 1
		.amdhsa_forward_progress 1
		.amdhsa_inst_pref_size 9
		.amdhsa_round_robin_scheduling 0
		.amdhsa_exception_fp_ieee_invalid_op 0
		.amdhsa_exception_fp_denorm_src 0
		.amdhsa_exception_fp_ieee_div_zero 0
		.amdhsa_exception_fp_ieee_overflow 0
		.amdhsa_exception_fp_ieee_underflow 0
		.amdhsa_exception_fp_ieee_inexact 0
		.amdhsa_exception_int_div_zero 0
	.end_amdhsa_kernel
	.section	.text._ZL33flash_attn_stream_k_fixup_uniformILi96ELi32ELi2EEvPfPK15HIP_vector_typeIfLj2EEiiiiiiS1_IjLj3EES5_S5_,"axG",@progbits,_ZL33flash_attn_stream_k_fixup_uniformILi96ELi32ELi2EEvPfPK15HIP_vector_typeIfLj2EEiiiiiiS1_IjLj3EES5_S5_,comdat
.Lfunc_end35:
	.size	_ZL33flash_attn_stream_k_fixup_uniformILi96ELi32ELi2EEvPfPK15HIP_vector_typeIfLj2EEiiiiiiS1_IjLj3EES5_S5_, .Lfunc_end35-_ZL33flash_attn_stream_k_fixup_uniformILi96ELi32ELi2EEvPfPK15HIP_vector_typeIfLj2EEiiiiiiS1_IjLj3EES5_S5_
                                        ; -- End function
	.set _ZL33flash_attn_stream_k_fixup_uniformILi96ELi32ELi2EEvPfPK15HIP_vector_typeIfLj2EEiiiiiiS1_IjLj3EES5_S5_.num_vgpr, 12
	.set _ZL33flash_attn_stream_k_fixup_uniformILi96ELi32ELi2EEvPfPK15HIP_vector_typeIfLj2EEiiiiiiS1_IjLj3EES5_S5_.num_agpr, 0
	.set _ZL33flash_attn_stream_k_fixup_uniformILi96ELi32ELi2EEvPfPK15HIP_vector_typeIfLj2EEiiiiiiS1_IjLj3EES5_S5_.numbered_sgpr, 21
	.set _ZL33flash_attn_stream_k_fixup_uniformILi96ELi32ELi2EEvPfPK15HIP_vector_typeIfLj2EEiiiiiiS1_IjLj3EES5_S5_.num_named_barrier, 0
	.set _ZL33flash_attn_stream_k_fixup_uniformILi96ELi32ELi2EEvPfPK15HIP_vector_typeIfLj2EEiiiiiiS1_IjLj3EES5_S5_.private_seg_size, 0
	.set _ZL33flash_attn_stream_k_fixup_uniformILi96ELi32ELi2EEvPfPK15HIP_vector_typeIfLj2EEiiiiiiS1_IjLj3EES5_S5_.uses_vcc, 1
	.set _ZL33flash_attn_stream_k_fixup_uniformILi96ELi32ELi2EEvPfPK15HIP_vector_typeIfLj2EEiiiiiiS1_IjLj3EES5_S5_.uses_flat_scratch, 0
	.set _ZL33flash_attn_stream_k_fixup_uniformILi96ELi32ELi2EEvPfPK15HIP_vector_typeIfLj2EEiiiiiiS1_IjLj3EES5_S5_.has_dyn_sized_stack, 0
	.set _ZL33flash_attn_stream_k_fixup_uniformILi96ELi32ELi2EEvPfPK15HIP_vector_typeIfLj2EEiiiiiiS1_IjLj3EES5_S5_.has_recursion, 0
	.set _ZL33flash_attn_stream_k_fixup_uniformILi96ELi32ELi2EEvPfPK15HIP_vector_typeIfLj2EEiiiiiiS1_IjLj3EES5_S5_.has_indirect_call, 0
	.section	.AMDGPU.csdata,"",@progbits
; Kernel info:
; codeLenInByte = 1088
; TotalNumSgprs: 23
; NumVgprs: 12
; ScratchSize: 0
; MemoryBound: 0
; FloatMode: 240
; IeeeMode: 1
; LDSByteSize: 0 bytes/workgroup (compile time only)
; SGPRBlocks: 0
; VGPRBlocks: 0
; NumSGPRsForWavesPerEU: 23
; NumVGPRsForWavesPerEU: 12
; NamedBarCnt: 0
; Occupancy: 16
; WaveLimiterHint : 0
; COMPUTE_PGM_RSRC2:SCRATCH_EN: 0
; COMPUTE_PGM_RSRC2:USER_SGPR: 2
; COMPUTE_PGM_RSRC2:TRAP_HANDLER: 0
; COMPUTE_PGM_RSRC2:TGID_X_EN: 1
; COMPUTE_PGM_RSRC2:TGID_Y_EN: 1
; COMPUTE_PGM_RSRC2:TGID_Z_EN: 1
; COMPUTE_PGM_RSRC2:TIDIG_COMP_CNT: 0
	.section	.text._ZL33flash_attn_stream_k_fixup_generalILi96ELi32ELi2EEvPfPK15HIP_vector_typeIfLj2EEiiiiS1_IjLj3EES5_S5_S5_,"axG",@progbits,_ZL33flash_attn_stream_k_fixup_generalILi96ELi32ELi2EEvPfPK15HIP_vector_typeIfLj2EEiiiiS1_IjLj3EES5_S5_S5_,comdat
	.globl	_ZL33flash_attn_stream_k_fixup_generalILi96ELi32ELi2EEvPfPK15HIP_vector_typeIfLj2EEiiiiS1_IjLj3EES5_S5_S5_ ; -- Begin function _ZL33flash_attn_stream_k_fixup_generalILi96ELi32ELi2EEvPfPK15HIP_vector_typeIfLj2EEiiiiS1_IjLj3EES5_S5_S5_
	.p2align	8
	.type	_ZL33flash_attn_stream_k_fixup_generalILi96ELi32ELi2EEvPfPK15HIP_vector_typeIfLj2EEiiiiS1_IjLj3EES5_S5_S5_,@function
_ZL33flash_attn_stream_k_fixup_generalILi96ELi32ELi2EEvPfPK15HIP_vector_typeIfLj2EEiiiiS1_IjLj3EES5_S5_S5_: ; @_ZL33flash_attn_stream_k_fixup_generalILi96ELi32ELi2EEvPfPK15HIP_vector_typeIfLj2EEiiiiS1_IjLj3EES5_S5_S5_
; %bb.0:
	s_clause 0x1
	s_load_b128 s[4:7], s[0:1], 0x10
	s_load_b32 s16, s[0:1], 0x50
	s_bfe_u32 s2, ttmp6, 0x4000c
	s_and_b32 s3, ttmp6, 15
	s_add_co_i32 s2, s2, 1
	s_getreg_b32 s15, hwreg(HW_REG_IB_STS2, 6, 4)
	s_mul_i32 s2, ttmp9, s2
	s_mov_b32 s17, 0
	s_add_co_i32 s3, s3, s2
	s_cmp_eq_u32 s15, 0
	s_cselect_b32 s2, ttmp9, s3
	s_delay_alu instid0(SALU_CYCLE_1) | instskip(SKIP_3) | instid1(SALU_CYCLE_1)
	s_ashr_i32 s3, s2, 31
	s_wait_kmcnt 0x0
	s_ashr_i32 s19, s7, 31
	s_mov_b32 s18, s7
	s_mul_u64 s[8:9], s[18:19], s[2:3]
	s_delay_alu instid0(SALU_CYCLE_1) | instskip(NEXT) | instid1(SALU_CYCLE_1)
	s_and_b64 s[10:11], s[8:9], 0xffffffff00000000
	s_cmp_lg_u64 s[10:11], 0
	s_cbranch_scc0 .LBB36_21
; %bb.1:
	s_add_nc_u64 s[10:11], s[16:17], 0
	s_mov_b32 s23, s17
	s_xor_b64 s[10:11], s[10:11], 0
	s_mov_b32 s27, s17
	s_cvt_f32_u32 s3, s10
	s_cvt_f32_u32 s7, s11
	s_sub_nc_u64 s[20:21], 0, s[10:11]
	s_delay_alu instid0(SALU_CYCLE_2) | instskip(NEXT) | instid1(SALU_CYCLE_3)
	s_fmamk_f32 s3, s7, 0x4f800000, s3
	v_s_rcp_f32 s3, s3
	s_delay_alu instid0(TRANS32_DEP_1) | instskip(NEXT) | instid1(SALU_CYCLE_3)
	s_mul_f32 s3, s3, 0x5f7ffffc
	s_mul_f32 s7, s3, 0x2f800000
	s_delay_alu instid0(SALU_CYCLE_3) | instskip(NEXT) | instid1(SALU_CYCLE_3)
	s_trunc_f32 s7, s7
	s_fmamk_f32 s3, s7, 0xcf800000, s3
	s_cvt_u32_f32 s13, s7
	s_delay_alu instid0(SALU_CYCLE_2) | instskip(NEXT) | instid1(SALU_CYCLE_3)
	s_cvt_u32_f32 s12, s3
	s_mul_u64 s[24:25], s[20:21], s[12:13]
	s_delay_alu instid0(SALU_CYCLE_1)
	s_mul_hi_u32 s29, s12, s25
	s_mul_i32 s28, s12, s25
	s_mul_hi_u32 s22, s12, s24
	s_mul_i32 s7, s13, s24
	s_add_nc_u64 s[22:23], s[22:23], s[28:29]
	s_mul_hi_u32 s3, s13, s24
	s_mul_hi_u32 s14, s13, s25
	s_add_co_u32 s7, s22, s7
	s_add_co_ci_u32 s26, s23, s3
	s_mul_i32 s24, s13, s25
	s_add_co_ci_u32 s25, s14, 0
	s_delay_alu instid0(SALU_CYCLE_1) | instskip(SKIP_3) | instid1(SALU_CYCLE_1)
	s_add_nc_u64 s[22:23], s[26:27], s[24:25]
	s_mov_b32 s25, s17
	s_add_co_u32 s12, s12, s22
	s_cselect_b32 s3, -1, 0
	s_cmp_lg_u32 s3, 0
	s_add_co_ci_u32 s13, s13, s23
	s_mov_b32 s23, s17
	s_mul_u64 s[20:21], s[20:21], s[12:13]
	s_delay_alu instid0(SALU_CYCLE_1)
	s_mul_hi_u32 s27, s12, s21
	s_mul_i32 s26, s12, s21
	s_mul_hi_u32 s22, s12, s20
	s_mul_i32 s7, s13, s20
	s_add_nc_u64 s[22:23], s[22:23], s[26:27]
	s_mul_hi_u32 s3, s13, s20
	s_mul_hi_u32 s14, s13, s21
	s_add_co_u32 s7, s22, s7
	s_add_co_ci_u32 s24, s23, s3
	s_mul_i32 s20, s13, s21
	s_add_co_ci_u32 s21, s14, 0
	s_mov_b32 s23, s17
	s_add_nc_u64 s[20:21], s[24:25], s[20:21]
	s_delay_alu instid0(SALU_CYCLE_1) | instskip(SKIP_1) | instid1(SALU_CYCLE_1)
	s_add_co_u32 s3, s12, s20
	s_cselect_b32 s7, -1, 0
	s_cmp_lg_u32 s7, 0
	s_add_co_ci_u32 s7, s13, s21
	s_ashr_i32 s12, s9, 31
	s_delay_alu instid0(SALU_CYCLE_1) | instskip(NEXT) | instid1(SALU_CYCLE_1)
	s_mov_b32 s13, s12
	s_add_nc_u64 s[20:21], s[8:9], s[12:13]
	s_delay_alu instid0(SALU_CYCLE_1) | instskip(NEXT) | instid1(SALU_CYCLE_1)
	s_xor_b64 s[20:21], s[20:21], s[12:13]
	s_mul_hi_u32 s27, s20, s7
	s_mul_i32 s26, s20, s7
	s_mul_hi_u32 s22, s20, s3
	s_mul_hi_u32 s14, s21, s3
	s_mul_i32 s3, s21, s3
	s_add_nc_u64 s[22:23], s[22:23], s[26:27]
	s_mul_hi_u32 s9, s21, s7
	s_add_co_u32 s3, s22, s3
	s_add_co_ci_u32 s24, s23, s14
	s_mul_i32 s26, s21, s7
	s_add_co_ci_u32 s27, s9, 0
	s_delay_alu instid0(SALU_CYCLE_1) | instskip(NEXT) | instid1(SALU_CYCLE_1)
	s_add_nc_u64 s[22:23], s[24:25], s[26:27]
	s_and_b64 s[24:25], s[22:23], 0xffffffff00000000
	s_delay_alu instid0(SALU_CYCLE_1) | instskip(NEXT) | instid1(SALU_CYCLE_1)
	s_or_b32 s24, s24, s22
	s_mul_u64 s[22:23], s[10:11], s[24:25]
	s_add_nc_u64 s[26:27], s[24:25], 1
	s_sub_co_u32 s3, s20, s22
	s_cselect_b32 s7, -1, 0
	s_sub_co_i32 s9, s21, s23
	s_cmp_lg_u32 s7, 0
	s_add_nc_u64 s[28:29], s[24:25], 2
	s_sub_co_ci_u32 s9, s9, s11
	s_sub_co_u32 s14, s3, s10
	s_cselect_b32 s20, -1, 0
	s_delay_alu instid0(SALU_CYCLE_1) | instskip(SKIP_1) | instid1(SALU_CYCLE_1)
	s_cmp_lg_u32 s20, 0
	s_sub_co_ci_u32 s9, s9, 0
	s_cmp_ge_u32 s9, s11
	s_cselect_b32 s20, -1, 0
	s_cmp_ge_u32 s14, s10
	s_cselect_b32 s14, -1, 0
	s_cmp_eq_u32 s9, s11
	s_cselect_b32 s9, s14, s20
	s_delay_alu instid0(SALU_CYCLE_1) | instskip(SKIP_4) | instid1(SALU_CYCLE_1)
	s_cmp_lg_u32 s9, 0
	s_cselect_b32 s9, s28, s26
	s_cselect_b32 s14, s29, s27
	s_cmp_lg_u32 s7, 0
	s_sub_co_ci_u32 s7, s21, s23
	s_cmp_ge_u32 s7, s11
	s_cselect_b32 s20, -1, 0
	s_cmp_ge_u32 s3, s10
	s_cselect_b32 s3, -1, 0
	s_cmp_eq_u32 s7, s11
	s_cselect_b32 s3, s3, s20
	s_delay_alu instid0(SALU_CYCLE_1) | instskip(SKIP_4) | instid1(SALU_CYCLE_1)
	s_cmp_lg_u32 s3, 0
	s_mov_b32 s3, s17
	s_cselect_b32 s11, s14, s25
	s_cselect_b32 s10, s9, s24
	s_xor_b64 s[12:13], s[12:13], 0
	s_xor_b64 s[10:11], s[10:11], s[12:13]
	s_delay_alu instid0(SALU_CYCLE_1)
	s_sub_nc_u64 s[20:21], s[10:11], s[12:13]
	s_and_not1_b32 vcc_lo, exec_lo, s3
	s_cbranch_vccnz .LBB36_3
.LBB36_2:
	v_cvt_f32_u32_e32 v1, s16
	s_sub_co_i32 s7, 0, s16
	s_mov_b32 s21, 0
	s_delay_alu instid0(VALU_DEP_1) | instskip(SKIP_1) | instid1(TRANS32_DEP_1)
	v_rcp_iflag_f32_e32 v1, v1
	v_nop
	v_mul_f32_e32 v1, 0x4f7ffffe, v1
	s_delay_alu instid0(VALU_DEP_1) | instskip(NEXT) | instid1(VALU_DEP_1)
	v_cvt_u32_f32_e32 v1, v1
	v_readfirstlane_b32 s3, v1
	s_mul_i32 s7, s7, s3
	s_delay_alu instid0(SALU_CYCLE_1) | instskip(NEXT) | instid1(SALU_CYCLE_1)
	s_mul_hi_u32 s7, s3, s7
	s_add_co_i32 s3, s3, s7
	s_delay_alu instid0(SALU_CYCLE_1) | instskip(NEXT) | instid1(SALU_CYCLE_1)
	s_mul_hi_u32 s3, s8, s3
	s_mul_i32 s7, s3, s16
	s_delay_alu instid0(SALU_CYCLE_1)
	s_sub_co_i32 s7, s8, s7
	s_add_co_i32 s8, s3, 1
	s_sub_co_i32 s9, s7, s16
	s_cmp_ge_u32 s7, s16
	s_cselect_b32 s3, s8, s3
	s_cselect_b32 s7, s9, s7
	s_add_co_i32 s8, s3, 1
	s_cmp_ge_u32 s7, s16
	s_cselect_b32 s20, s8, s3
.LBB36_3:
	s_add_co_i32 s8, s2, 1
	s_delay_alu instid0(SALU_CYCLE_1) | instskip(NEXT) | instid1(SALU_CYCLE_1)
	s_ashr_i32 s9, s8, 31
	s_mul_u64 s[8:9], s[18:19], s[8:9]
	s_delay_alu instid0(SALU_CYCLE_1) | instskip(NEXT) | instid1(SALU_CYCLE_1)
	s_and_b64 s[10:11], s[8:9], 0xffffffff00000000
	s_cmp_lg_u64 s[10:11], 0
	s_cbranch_scc0 .LBB36_22
; %bb.4:
	s_add_nc_u64 s[10:11], s[16:17], 0
	s_delay_alu instid0(SALU_CYCLE_1) | instskip(SKIP_4) | instid1(SALU_CYCLE_2)
	s_xor_b64 s[12:13], s[10:11], 0
	s_mov_b32 s11, 0
	s_cvt_f32_u32 s3, s12
	s_cvt_f32_u32 s7, s13
	s_sub_nc_u64 s[24:25], 0, s[12:13]
	s_fmamk_f32 s3, s7, 0x4f800000, s3
	s_delay_alu instid0(SALU_CYCLE_3) | instskip(NEXT) | instid1(TRANS32_DEP_1)
	v_s_rcp_f32 s3, s3
	s_mul_f32 s3, s3, 0x5f7ffffc
	s_delay_alu instid0(SALU_CYCLE_3) | instskip(NEXT) | instid1(SALU_CYCLE_3)
	s_mul_f32 s7, s3, 0x2f800000
	s_trunc_f32 s7, s7
	s_delay_alu instid0(SALU_CYCLE_3) | instskip(SKIP_1) | instid1(SALU_CYCLE_2)
	s_fmamk_f32 s3, s7, 0xcf800000, s3
	s_cvt_u32_f32 s23, s7
	s_cvt_u32_f32 s22, s3
	s_delay_alu instid0(SALU_CYCLE_3) | instskip(NEXT) | instid1(SALU_CYCLE_1)
	s_mul_u64 s[26:27], s[24:25], s[22:23]
	s_mul_hi_u32 s29, s22, s27
	s_mul_i32 s28, s22, s27
	s_mul_hi_u32 s10, s22, s26
	s_mul_i32 s7, s23, s26
	s_add_nc_u64 s[28:29], s[10:11], s[28:29]
	s_mul_hi_u32 s3, s23, s26
	s_mul_hi_u32 s14, s23, s27
	s_add_co_u32 s7, s28, s7
	s_add_co_ci_u32 s10, s29, s3
	s_mul_i32 s26, s23, s27
	s_add_co_ci_u32 s27, s14, 0
	s_delay_alu instid0(SALU_CYCLE_1) | instskip(NEXT) | instid1(SALU_CYCLE_1)
	s_add_nc_u64 s[26:27], s[10:11], s[26:27]
	s_add_co_u32 s22, s22, s26
	s_cselect_b32 s3, -1, 0
	s_delay_alu instid0(SALU_CYCLE_1) | instskip(SKIP_1) | instid1(SALU_CYCLE_1)
	s_cmp_lg_u32 s3, 0
	s_add_co_ci_u32 s23, s23, s27
	s_mul_u64 s[24:25], s[24:25], s[22:23]
	s_delay_alu instid0(SALU_CYCLE_1)
	s_mul_hi_u32 s27, s22, s25
	s_mul_i32 s26, s22, s25
	s_mul_hi_u32 s10, s22, s24
	s_mul_i32 s7, s23, s24
	s_add_nc_u64 s[26:27], s[10:11], s[26:27]
	s_mul_hi_u32 s3, s23, s24
	s_mul_hi_u32 s14, s23, s25
	s_add_co_u32 s7, s26, s7
	s_add_co_ci_u32 s10, s27, s3
	s_mul_i32 s24, s23, s25
	s_add_co_ci_u32 s25, s14, 0
	s_delay_alu instid0(SALU_CYCLE_1) | instskip(NEXT) | instid1(SALU_CYCLE_1)
	s_add_nc_u64 s[24:25], s[10:11], s[24:25]
	s_add_co_u32 s3, s22, s24
	s_cselect_b32 s7, -1, 0
	s_delay_alu instid0(SALU_CYCLE_1) | instskip(SKIP_2) | instid1(SALU_CYCLE_1)
	s_cmp_lg_u32 s7, 0
	s_add_co_ci_u32 s7, s23, s25
	s_ashr_i32 s22, s9, 31
	s_mov_b32 s23, s22
	s_delay_alu instid0(SALU_CYCLE_1) | instskip(NEXT) | instid1(SALU_CYCLE_1)
	s_add_nc_u64 s[24:25], s[8:9], s[22:23]
	s_xor_b64 s[24:25], s[24:25], s[22:23]
	s_delay_alu instid0(SALU_CYCLE_1)
	s_mul_hi_u32 s27, s24, s7
	s_mul_i32 s26, s24, s7
	s_mul_hi_u32 s10, s24, s3
	s_mul_hi_u32 s14, s25, s3
	s_mul_i32 s3, s25, s3
	s_add_nc_u64 s[26:27], s[10:11], s[26:27]
	s_mul_hi_u32 s9, s25, s7
	s_add_co_u32 s3, s26, s3
	s_add_co_ci_u32 s10, s27, s14
	s_mul_i32 s28, s25, s7
	s_add_co_ci_u32 s29, s9, 0
	s_delay_alu instid0(SALU_CYCLE_1) | instskip(NEXT) | instid1(SALU_CYCLE_1)
	s_add_nc_u64 s[26:27], s[10:11], s[28:29]
	s_and_b64 s[28:29], s[26:27], 0xffffffff00000000
	s_delay_alu instid0(SALU_CYCLE_1) | instskip(NEXT) | instid1(SALU_CYCLE_1)
	s_or_b32 s28, s28, s26
	s_mul_u64 s[26:27], s[12:13], s[28:29]
	s_add_nc_u64 s[30:31], s[28:29], 1
	s_sub_co_u32 s3, s24, s26
	s_cselect_b32 s7, -1, 0
	s_sub_co_i32 s9, s25, s27
	s_cmp_lg_u32 s7, 0
	s_add_nc_u64 s[34:35], s[28:29], 2
	s_sub_co_ci_u32 s9, s9, s13
	s_sub_co_u32 s10, s3, s12
	s_cselect_b32 s14, -1, 0
	s_delay_alu instid0(SALU_CYCLE_1) | instskip(SKIP_1) | instid1(SALU_CYCLE_1)
	s_cmp_lg_u32 s14, 0
	s_sub_co_ci_u32 s9, s9, 0
	s_cmp_ge_u32 s9, s13
	s_cselect_b32 s14, -1, 0
	s_cmp_ge_u32 s10, s12
	s_cselect_b32 s10, -1, 0
	s_cmp_eq_u32 s9, s13
	s_cselect_b32 s9, s10, s14
	s_delay_alu instid0(SALU_CYCLE_1) | instskip(SKIP_4) | instid1(SALU_CYCLE_1)
	s_cmp_lg_u32 s9, 0
	s_cselect_b32 s9, s34, s30
	s_cselect_b32 s10, s35, s31
	s_cmp_lg_u32 s7, 0
	s_sub_co_ci_u32 s7, s25, s27
	s_cmp_ge_u32 s7, s13
	s_cselect_b32 s14, -1, 0
	s_cmp_ge_u32 s3, s12
	s_cselect_b32 s3, -1, 0
	s_cmp_eq_u32 s7, s13
	s_cselect_b32 s3, s3, s14
	s_delay_alu instid0(SALU_CYCLE_1) | instskip(SKIP_3) | instid1(SALU_CYCLE_1)
	s_cmp_lg_u32 s3, 0
	s_cselect_b32 s13, s10, s29
	s_cselect_b32 s12, s9, s28
	s_xor_b64 s[22:23], s[22:23], 0
	s_xor_b64 s[12:13], s[12:13], s[22:23]
	s_delay_alu instid0(SALU_CYCLE_1)
	s_sub_nc_u64 s[24:25], s[12:13], s[22:23]
	s_load_b96 s[12:14], s[0:1], 0x44
	s_cbranch_execnz .LBB36_6
.LBB36_5:
	v_cvt_f32_u32_e32 v1, s16
	s_sub_co_i32 s7, 0, s16
	s_delay_alu instid0(VALU_DEP_1) | instskip(SKIP_1) | instid1(TRANS32_DEP_1)
	v_rcp_iflag_f32_e32 v1, v1
	v_nop
	v_mul_f32_e32 v1, 0x4f7ffffe, v1
	s_delay_alu instid0(VALU_DEP_1) | instskip(NEXT) | instid1(VALU_DEP_1)
	v_cvt_u32_f32_e32 v1, v1
	v_readfirstlane_b32 s3, v1
	s_mul_i32 s7, s7, s3
	s_delay_alu instid0(SALU_CYCLE_1) | instskip(NEXT) | instid1(SALU_CYCLE_1)
	s_mul_hi_u32 s7, s3, s7
	s_add_co_i32 s3, s3, s7
	s_delay_alu instid0(SALU_CYCLE_1) | instskip(NEXT) | instid1(SALU_CYCLE_1)
	s_mul_hi_u32 s3, s8, s3
	s_mul_i32 s7, s3, s16
	s_delay_alu instid0(SALU_CYCLE_1)
	s_sub_co_i32 s7, s8, s7
	s_add_co_i32 s8, s3, 1
	s_sub_co_i32 s9, s7, s16
	s_cmp_ge_u32 s7, s16
	s_cselect_b32 s3, s8, s3
	s_cselect_b32 s7, s9, s7
	s_add_co_i32 s8, s3, 1
	s_cmp_ge_u32 s7, s16
	s_cselect_b32 s24, s8, s3
.LBB36_6:
	s_delay_alu instid0(SALU_CYCLE_1)
	s_cmp_eq_u32 s20, s24
	s_mov_b64 s[8:9], 0xffffffff
	s_cselect_b32 s3, -1, 0
	s_and_b64 s[8:9], s[20:21], s[8:9]
	s_mov_b32 s23, 0
	s_wait_kmcnt 0x0
	s_mov_b32 s22, s12
	s_mov_b32 s25, s23
	s_mul_u64 s[10:11], s[8:9], s[22:23]
	s_delay_alu instid0(SALU_CYCLE_1) | instskip(SKIP_2) | instid1(SALU_CYCLE_1)
	s_add_co_i32 s7, s11, s20
	s_mul_u64 s[10:11], s[24:25], s[22:23]
	s_lshr_b32 s12, s7, s13
	s_mul_i32 s7, s12, s14
	s_delay_alu instid0(SALU_CYCLE_1) | instskip(SKIP_2) | instid1(SALU_CYCLE_1)
	s_cmp_eq_u32 s7, s20
	s_cselect_b32 s7, -1, 0
	s_add_co_i32 s10, s11, s24
	s_lshr_b32 s10, s10, s13
	s_delay_alu instid0(SALU_CYCLE_1)
	s_cmp_eq_u32 s12, s10
	s_mul_i32 s10, s10, s14
	s_cselect_b32 s11, -1, 0
	s_cmp_lg_u32 s10, s24
	s_cselect_b32 s10, -1, 0
	s_or_b32 s3, s3, s7
	s_and_b32 s10, s11, s10
	s_delay_alu instid0(SALU_CYCLE_1) | instskip(NEXT) | instid1(SALU_CYCLE_1)
	s_or_b32 s3, s3, s10
	s_and_b32 vcc_lo, exec_lo, s3
	s_cbranch_vccnz .LBB36_24
; %bb.7:
	s_load_b256 s[24:31], s[0:1], 0x20
	s_bfe_u32 s7, ttmp6, 0x40014
	s_bfe_u32 s33, ttmp6, 0x40010
	s_lshr_b32 s3, ttmp7, 16
	s_add_co_i32 s7, s7, 1
	s_and_b32 s21, ttmp7, 0xffff
	s_add_co_i32 s33, s33, 1
	s_bfe_u32 s10, ttmp6, 0x40008
	s_mul_i32 s7, s3, s7
	s_bfe_u32 s34, ttmp6, 0x40004
	s_mul_i32 s33, s21, s33
	s_mov_b32 s11, s23
	s_add_co_i32 s35, s10, s7
	s_add_co_i32 s34, s34, s33
	s_cmp_eq_u32 s15, 0
	s_cselect_b32 s7, s21, s34
	s_cselect_b32 s3, s3, s35
	s_wait_kmcnt 0x0
	s_mov_b32 s10, s24
	s_delay_alu instid0(SALU_CYCLE_1) | instskip(NEXT) | instid1(SALU_CYCLE_1)
	s_mul_u64 s[8:9], s[8:9], s[10:11]
	s_add_co_i32 s8, s9, s20
	s_delay_alu instid0(SALU_CYCLE_1) | instskip(SKIP_2) | instid1(SALU_CYCLE_1)
	s_lshr_b32 s15, s8, s25
	s_load_b32 s8, s[0:1], 0x40
	s_mul_i32 s9, s15, s26
	s_sub_co_i32 s9, s20, s9
	s_delay_alu instid0(SALU_CYCLE_1) | instskip(NEXT) | instid1(SALU_CYCLE_1)
	s_mul_hi_u32 s10, s9, s27
	s_add_co_i32 s10, s9, s10
	s_delay_alu instid0(SALU_CYCLE_1) | instskip(NEXT) | instid1(SALU_CYCLE_1)
	s_lshr_b32 s21, s10, s28
	s_mul_i32 s10, s21, s29
	s_delay_alu instid0(SALU_CYCLE_1) | instskip(NEXT) | instid1(SALU_CYCLE_1)
	s_sub_co_i32 s10, s9, s10
	s_mul_hi_u32 s9, s10, s30
	s_delay_alu instid0(SALU_CYCLE_1) | instskip(NEXT) | instid1(SALU_CYCLE_1)
	s_add_co_i32 s9, s10, s9
	s_lshr_b32 s25, s9, s31
	s_mov_b32 s9, s23
	s_wait_kmcnt 0x0
	s_mul_i32 s8, s25, s8
	s_lshl_b32 s25, s25, 1
	s_sub_co_i32 s8, s10, s8
	s_delay_alu instid0(SALU_CYCLE_1) | instskip(NEXT) | instid1(SALU_CYCLE_1)
	s_mul_u64 s[10:11], s[8:9], s[22:23]
	s_add_co_i32 s8, s8, s11
	s_delay_alu instid0(SALU_CYCLE_1) | instskip(NEXT) | instid1(SALU_CYCLE_1)
	s_lshr_b32 s24, s8, s13
	s_lshl_b32 s8, s24, 5
	s_delay_alu instid0(SALU_CYCLE_1) | instskip(NEXT) | instid1(SALU_CYCLE_1)
	s_add_co_i32 s8, s8, s7
	s_cmp_lt_i32 s8, s4
	s_cselect_b32 s8, -1, 0
	s_add_co_i32 s25, s25, s3
	s_delay_alu instid0(SALU_CYCLE_1) | instskip(SKIP_1) | instid1(SALU_CYCLE_1)
	s_cmp_lt_i32 s25, s6
	s_cselect_b32 s9, -1, 0
	s_and_b32 s8, s8, s9
	s_delay_alu instid0(SALU_CYCLE_1)
	s_and_not1_b32 vcc_lo, exec_lo, s8
	s_cbranch_vccnz .LBB36_24
; %bb.8:
	s_load_b128 s[8:11], s[0:1], 0x0
	s_wait_xcnt 0x0
	s_mul_i32 s0, s15, s4
	s_mul_i32 s21, s21, s6
	s_add_co_i32 s0, s0, s7
	s_add_co_i32 s1, s25, s21
	s_mul_i32 s0, s0, s5
	s_mul_i32 s4, s5, s24
	s_add_co_i32 s0, s1, s0
	s_mulk_i32 s4, 0xc00
	s_mulk_i32 s0, 0x60
	s_lshl_b32 s15, s7, 1
	v_add3_u32 v2, s4, s0, v0
	s_add_nc_u64 s[0:1], s[16:17], 0
	s_add_co_i32 s15, s15, s3
	s_xor_b64 s[6:7], s[0:1], 0
	s_lshl_b32 s0, s2, 6
	s_cvt_f32_u32 s3, s6
	s_cvt_f32_u32 s4, s7
	s_add_co_i32 s0, s15, s0
	v_cvt_f32_u32_e32 v4, s16
	s_wait_kmcnt 0x0
	global_load_b32 v1, v2, s[8:9] scale_offset
	s_fmamk_f32 s3, s4, 0x4f800000, s3
	s_ashr_i32 s1, s0, 31
	s_lshl_b32 s24, s16, 8
	s_lshl_b64 s[0:1], s[0:1], 3
	v_s_rcp_f32 s3, s3
	s_add_nc_u64 s[0:1], s[10:11], s[0:1]
	v_rcp_iflag_f32_e32 v4, v4
	s_load_b64 s[28:29], s[0:1], 0x0
	s_mov_b32 s25, 0
	v_mad_u32 v6, 0x60, s15, v0
	v_ashrrev_i32_e32 v3, 31, v2
	s_wait_xcnt 0x0
	s_lshl_b64 s[0:1], s[24:25], 2
	s_mul_f32 s3, s3, 0x5f7ffffc
	v_mul_f32_e32 v4, 0x4f7ffffe, v4
	s_add_nc_u64 s[26:27], s[10:11], s[0:1]
	v_lshl_add_u64 v[2:3], v[2:3], 2, s[8:9]
	s_mul_f32 s4, s3, 0x2f800000
	s_mov_b64 s[8:9], 0xffffffff
	v_cvt_u32_f32_e32 v7, v4
	s_add_co_i32 s36, s2, -1
	s_trunc_f32 s4, s4
	s_sub_nc_u64 s[34:35], 0, s[6:7]
	s_delay_alu instid0(SALU_CYCLE_2)
	s_fmamk_f32 s0, s4, 0xcf800000, s3
	s_cvt_u32_f32 s31, s4
	s_wait_kmcnt 0x0
	v_mov_b32_e32 v0, s29
	s_cvt_u32_f32 s30, s0
.LBB36_9:                               ; =>This Inner Loop Header: Depth=1
	s_ashr_i32 s37, s36, 31
                                        ; implicit-def: $sgpr40_sgpr41
	s_delay_alu instid0(SALU_CYCLE_1) | instskip(NEXT) | instid1(SALU_CYCLE_1)
	s_mul_u64 s[0:1], s[36:37], s[18:19]
	s_and_b64 s[2:3], s[0:1], 0xffffffff00000000
	s_delay_alu instid0(SALU_CYCLE_1)
	s_cmp_lg_u64 s[2:3], 0
	s_mov_b32 s2, -1
	s_cbranch_scc0 .LBB36_11
; %bb.10:                               ;   in Loop: Header=BB36_9 Depth=1
	s_mul_u64 s[2:3], s[34:35], s[30:31]
	s_delay_alu instid0(SALU_CYCLE_1)
	s_mul_hi_u32 s5, s30, s3
	s_mul_i32 s4, s30, s3
	s_mul_hi_u32 s24, s30, s2
	s_mul_hi_u32 s17, s31, s2
	s_add_nc_u64 s[4:5], s[24:25], s[4:5]
	s_mul_i32 s2, s31, s2
	s_mul_hi_u32 s21, s31, s3
	s_add_co_u32 s2, s4, s2
	s_add_co_ci_u32 s24, s5, s17
	s_add_co_ci_u32 s5, s21, 0
	s_mul_i32 s4, s31, s3
	s_delay_alu instid0(SALU_CYCLE_1) | instskip(NEXT) | instid1(SALU_CYCLE_1)
	s_add_nc_u64 s[2:3], s[24:25], s[4:5]
	s_add_co_u32 s2, s30, s2
	s_cselect_b32 s4, -1, 0
	s_delay_alu instid0(SALU_CYCLE_1) | instskip(SKIP_1) | instid1(SALU_CYCLE_1)
	s_cmp_lg_u32 s4, 0
	s_add_co_ci_u32 s3, s31, s3
	s_mul_u64 s[4:5], s[34:35], s[2:3]
	s_delay_alu instid0(SALU_CYCLE_1)
	s_mul_hi_u32 s39, s2, s5
	s_mul_i32 s38, s2, s5
	s_mul_hi_u32 s24, s2, s4
	s_mul_hi_u32 s17, s3, s4
	s_mul_i32 s4, s3, s4
	s_add_nc_u64 s[38:39], s[24:25], s[38:39]
	s_mul_hi_u32 s21, s3, s5
	s_add_co_u32 s4, s38, s4
	s_add_co_ci_u32 s24, s39, s17
	s_mul_i32 s4, s3, s5
	s_add_co_ci_u32 s5, s21, 0
	s_delay_alu instid0(SALU_CYCLE_1) | instskip(NEXT) | instid1(SALU_CYCLE_1)
	s_add_nc_u64 s[4:5], s[24:25], s[4:5]
	s_add_co_u32 s17, s2, s4
	s_cselect_b32 s2, -1, 0
	s_delay_alu instid0(SALU_CYCLE_1) | instskip(SKIP_2) | instid1(SALU_CYCLE_1)
	s_cmp_lg_u32 s2, 0
	s_add_co_ci_u32 s21, s3, s5
	s_ashr_i32 s2, s1, 31
	s_mov_b32 s3, s2
	s_delay_alu instid0(SALU_CYCLE_1) | instskip(NEXT) | instid1(SALU_CYCLE_1)
	s_add_nc_u64 s[4:5], s[0:1], s[2:3]
	s_xor_b64 s[4:5], s[4:5], s[2:3]
	s_delay_alu instid0(SALU_CYCLE_1)
	s_mul_hi_u32 s39, s4, s21
	s_mul_i32 s38, s4, s21
	s_mul_hi_u32 s24, s4, s17
	s_mul_hi_u32 s29, s5, s17
	s_mul_i32 s17, s5, s17
	s_add_nc_u64 s[38:39], s[24:25], s[38:39]
	s_mul_hi_u32 s1, s5, s21
	s_add_co_u32 s17, s38, s17
	s_add_co_ci_u32 s24, s39, s29
	s_mul_i32 s40, s5, s21
	s_add_co_ci_u32 s41, s1, 0
	s_delay_alu instid0(SALU_CYCLE_1) | instskip(NEXT) | instid1(SALU_CYCLE_1)
	s_add_nc_u64 s[38:39], s[24:25], s[40:41]
	s_and_b64 s[40:41], s[38:39], 0xffffffff00000000
	s_delay_alu instid0(SALU_CYCLE_1) | instskip(NEXT) | instid1(SALU_CYCLE_1)
	s_or_b32 s40, s40, s38
	s_mul_u64 s[38:39], s[6:7], s[40:41]
	s_add_nc_u64 s[42:43], s[40:41], 1
	s_sub_co_u32 s1, s4, s38
	s_cselect_b32 s4, -1, 0
	s_sub_co_i32 s17, s5, s39
	s_cmp_lg_u32 s4, 0
	s_add_nc_u64 s[44:45], s[40:41], 2
	s_sub_co_ci_u32 s17, s17, s7
	s_sub_co_u32 s21, s1, s6
	s_cselect_b32 s24, -1, 0
	s_delay_alu instid0(SALU_CYCLE_1) | instskip(SKIP_1) | instid1(SALU_CYCLE_1)
	s_cmp_lg_u32 s24, 0
	s_sub_co_ci_u32 s17, s17, 0
	s_cmp_ge_u32 s17, s7
	s_cselect_b32 s24, -1, 0
	s_cmp_ge_u32 s21, s6
	s_cselect_b32 s21, -1, 0
	s_cmp_eq_u32 s17, s7
	s_cselect_b32 s17, s21, s24
	s_delay_alu instid0(SALU_CYCLE_1) | instskip(SKIP_4) | instid1(SALU_CYCLE_1)
	s_cmp_lg_u32 s17, 0
	s_cselect_b32 s17, s44, s42
	s_cselect_b32 s21, s45, s43
	s_cmp_lg_u32 s4, 0
	s_sub_co_ci_u32 s4, s5, s39
	s_cmp_ge_u32 s4, s7
	s_cselect_b32 s5, -1, 0
	s_cmp_ge_u32 s1, s6
	s_cselect_b32 s1, -1, 0
	s_cmp_eq_u32 s4, s7
	s_cselect_b32 s1, s1, s5
	s_delay_alu instid0(SALU_CYCLE_1) | instskip(SKIP_3) | instid1(SALU_CYCLE_1)
	s_cmp_lg_u32 s1, 0
	s_cselect_b32 s5, s21, s41
	s_cselect_b32 s4, s17, s40
	s_xor_b64 s[2:3], s[2:3], 0
	s_xor_b64 s[4:5], s[4:5], s[2:3]
	s_delay_alu instid0(SALU_CYCLE_1)
	s_sub_nc_u64 s[40:41], s[4:5], s[2:3]
	s_mov_b32 s2, 0
.LBB36_11:                              ;   in Loop: Header=BB36_9 Depth=1
	s_delay_alu instid0(SALU_CYCLE_1)
	s_and_not1_b32 vcc_lo, exec_lo, s2
	s_cbranch_vccnz .LBB36_13
; %bb.12:                               ;   in Loop: Header=BB36_9 Depth=1
	v_readfirstlane_b32 s1, v7
	s_sub_co_i32 s2, 0, s16
	s_delay_alu instid0(SALU_CYCLE_1) | instskip(NEXT) | instid1(SALU_CYCLE_1)
	s_mul_i32 s2, s2, s1
	s_mul_hi_u32 s2, s1, s2
	s_delay_alu instid0(SALU_CYCLE_1) | instskip(NEXT) | instid1(SALU_CYCLE_1)
	s_add_co_i32 s1, s1, s2
	s_mul_hi_u32 s1, s0, s1
	s_delay_alu instid0(SALU_CYCLE_1) | instskip(NEXT) | instid1(SALU_CYCLE_1)
	s_mul_i32 s2, s1, s16
	s_sub_co_i32 s0, s0, s2
	s_add_co_i32 s2, s1, 1
	s_sub_co_i32 s3, s0, s16
	s_cmp_ge_u32 s0, s16
	s_cselect_b32 s1, s2, s1
	s_cselect_b32 s0, s3, s0
	s_add_co_i32 s2, s1, 1
	s_cmp_ge_u32 s0, s16
	s_cselect_b32 s24, s2, s1
	s_delay_alu instid0(SALU_CYCLE_1)
	s_mov_b64 s[40:41], s[24:25]
.LBB36_13:                              ;   in Loop: Header=BB36_9 Depth=1
	s_delay_alu instid0(SALU_CYCLE_1)
	s_cmp_lg_u32 s20, s40
	s_mov_b32 s0, -1
                                        ; implicit-def: $vgpr4_vgpr5
                                        ; implicit-def: $sgpr24
                                        ; implicit-def: $sgpr17
                                        ; implicit-def: $sgpr21
                                        ; implicit-def: $sgpr29
	s_cbranch_scc0 .LBB36_18
; %bb.14:                               ;   in Loop: Header=BB36_9 Depth=1
	s_add_co_i32 s0, s36, s16
	v_max_num_f32_e64 v4, s28, s28
	s_lshl_b32 s0, s0, 6
	s_mov_b32 s29, s20
	s_add_co_i32 s0, s0, s15
	s_load_b64 s[38:39], s[10:11], s0 offset:0x0 scale_offset
	s_wait_xcnt 0x0
	v_readfirstlane_b32 s0, v4
	s_wait_kmcnt 0x0
	v_max_num_f32_e64 v5, s38, s38
	s_delay_alu instid0(VALU_DEP_1) | instskip(SKIP_1) | instid1(SALU_CYCLE_3)
	v_readfirstlane_b32 s1, v5
	s_max_num_f32 s17, s0, s1
	s_sub_f32 s33, s28, s17
	s_sub_f32 s37, s38, s17
	s_delay_alu instid0(SALU_CYCLE_2)
	s_cmp_nlt_f32 s33, 0xc2ce8ed0
	s_cselect_b32 s1, -1, 0
	s_cmp_ngt_f32 s33, 0x42b17218
	s_cselect_b32 s2, -1, 0
	s_cmp_ge_f32 s33, 0xc1a00000
	s_cselect_b32 s0, -1, 0
	s_cmp_nlt_f32 s37, 0xc2ce8ed0
	s_cselect_b32 s3, -1, 0
	s_cmp_ngt_f32 s37, 0x42b17218
	s_cselect_b32 s4, -1, 0
	s_cmp_ge_f32 s37, 0xc1a00000
	s_cselect_b32 s5, -1, 0
	s_and_b64 s[42:43], s[40:41], s[8:9]
	s_delay_alu instid0(SALU_CYCLE_1) | instskip(NEXT) | instid1(SALU_CYCLE_1)
	s_mul_u64 s[42:43], s[42:43], s[22:23]
	s_add_co_i32 s21, s43, s40
	s_delay_alu instid0(SALU_CYCLE_1) | instskip(NEXT) | instid1(SALU_CYCLE_1)
	s_lshr_b32 s21, s21, s13
	s_mul_i32 s24, s21, s14
	s_delay_alu instid0(SALU_CYCLE_1) | instskip(SKIP_3) | instid1(SALU_CYCLE_1)
	s_cmp_eq_u32 s24, s40
	s_cselect_b32 s24, -1, 0
	s_cmp_lt_u32 s21, s12
	s_cselect_b32 s21, -1, 0
	s_or_b32 s21, s21, s24
	s_mov_b32 s24, -1
	s_and_b32 vcc_lo, exec_lo, s21
	s_mov_b32 s21, s36
	s_cbranch_vccnz .LBB36_16
; %bb.15:                               ;   in Loop: Header=BB36_9 Depth=1
	s_add_co_i32 s21, s36, -1
	s_mov_b32 s24, 0
	s_mov_b32 s29, s40
.LBB36_16:                              ;   in Loop: Header=BB36_9 Depth=1
	v_mad_u32 v4, 0x1800, s36, v6
	s_mul_f32 s40, s33, 0x3fb8aa3b
	s_mul_f32 s38, s37, 0x3fb8aa3b
	s_delay_alu instid0(SALU_CYCLE_2)
	s_xor_b32 s42, s40, 0x80000000
	s_rndne_f32 s44, s40
	s_fmamk_f32 s42, s33, 0x3fb8aa3b, s42
	s_xor_b32 s41, s38, 0x80000000
	s_rndne_f32 s43, s38
	s_sub_f32 s40, s40, s44
	global_load_b32 v5, v4, s[26:27] scale_offset
	s_fmamk_f32 s33, s33, 0x32a5705f, s42
	s_fmamk_f32 s41, s37, 0x3fb8aa3b, s41
	s_sub_f32 s38, s38, s43
	s_delay_alu instid0(SALU_CYCLE_1) | instskip(NEXT) | instid1(SALU_CYCLE_1)
	s_add_f32 s33, s40, s33
	s_fmamk_f32 s37, s37, 0x32a5705f, s41
	s_cvt_i32_f32 s40, s44
	s_delay_alu instid0(SALU_CYCLE_1) | instskip(NEXT) | instid1(SALU_CYCLE_1)
	v_s_exp_f32 s33, s33
	s_add_f32 s37, s38, s37
	s_cvt_i32_f32 s38, s43
	s_delay_alu instid0(SALU_CYCLE_2) | instskip(NEXT) | instid1(TRANS32_DEP_2)
	v_s_exp_f32 s37, s37
	v_ldexp_f32 v8, s33, s40
	s_wait_xcnt 0x0
	s_delay_alu instid0(TRANS32_DEP_1) | instskip(NEXT) | instid1(VALU_DEP_2)
	v_ldexp_f32 v4, s37, s38
	v_cndmask_b32_e64 v8, 0, v8, s1
	s_delay_alu instid0(VALU_DEP_1) | instskip(NEXT) | instid1(VALU_DEP_1)
	v_cndmask_b32_e64 v9, 0x7f800000, v8, s2
	v_dual_cndmask_b32 v4, 0, v4, s3 :: v_dual_cndmask_b32 v10, 0, v9, s0
	s_delay_alu instid0(VALU_DEP_1) | instskip(NEXT) | instid1(VALU_DEP_1)
	v_cndmask_b32_e64 v4, 0x7f800000, v4, s4
	v_dual_cndmask_b32 v8, 0, v4, s5 :: v_dual_mov_b32 v4, s39
	s_wait_loadcnt 0x0
	s_delay_alu instid0(VALU_DEP_1) | instskip(NEXT) | instid1(VALU_DEP_1)
	v_pk_mul_f32 v[4:5], v[4:5], v[8:9] op_sel_hi:[1,0]
	v_pk_fma_f32 v[4:5], v[0:1], v[10:11], v[4:5] op_sel_hi:[1,0,1]
	s_cbranch_execz .LBB36_19
.LBB36_17:                              ;   in Loop: Header=BB36_9 Depth=1
	s_and_not1_b32 vcc_lo, exec_lo, s24
	s_cbranch_vccnz .LBB36_20
	s_branch .LBB36_23
.LBB36_18:                              ;   in Loop: Header=BB36_9 Depth=1
	s_and_not1_b32 vcc_lo, exec_lo, s0
	s_cbranch_vccnz .LBB36_17
.LBB36_19:                              ;   in Loop: Header=BB36_9 Depth=1
	s_wait_loadcnt 0x0
	v_mov_b64_e32 v[4:5], v[0:1]
	s_add_co_i32 s21, s36, -1
	s_mov_b32 s29, s20
	s_mov_b32 s17, s28
	s_cbranch_execz .LBB36_23
.LBB36_20:                              ;   in Loop: Header=BB36_9 Depth=1
	s_wait_loadcnt 0x0
	s_delay_alu instid0(VALU_DEP_1)
	v_mov_b64_e32 v[0:1], v[4:5]
	s_mov_b32 s20, s29
	s_mov_b32 s36, s21
	;; [unrolled: 1-line block ×3, first 2 shown]
	s_branch .LBB36_9
.LBB36_21:
                                        ; implicit-def: $sgpr20_sgpr21
	s_branch .LBB36_2
.LBB36_22:
                                        ; implicit-def: $sgpr24_sgpr25
	s_load_b96 s[12:14], s[0:1], 0x44
	s_branch .LBB36_5
.LBB36_23:
	s_delay_alu instid0(VALU_DEP_1) | instskip(SKIP_1) | instid1(VALU_DEP_1)
	v_div_scale_f32 v0, null, v4, v4, v5
	s_wait_loadcnt 0x0
	v_rcp_f32_e32 v1, v0
	v_nop
	s_delay_alu instid0(TRANS32_DEP_1) | instskip(NEXT) | instid1(VALU_DEP_1)
	v_fma_f32 v6, -v0, v1, 1.0
	v_fmac_f32_e32 v1, v6, v1
	v_div_scale_f32 v6, vcc_lo, v5, v4, v5
	s_delay_alu instid0(VALU_DEP_1) | instskip(NEXT) | instid1(VALU_DEP_1)
	v_mul_f32_e32 v7, v6, v1
	v_fma_f32 v8, -v0, v7, v6
	s_delay_alu instid0(VALU_DEP_1) | instskip(NEXT) | instid1(VALU_DEP_1)
	v_fmac_f32_e32 v7, v8, v1
	v_fma_f32 v0, -v0, v7, v6
	s_delay_alu instid0(VALU_DEP_1) | instskip(NEXT) | instid1(VALU_DEP_1)
	v_div_fmas_f32 v0, v0, v1, v7
	v_div_fixup_f32 v0, v0, v4, v5
	global_store_b32 v[2:3], v0, off
.LBB36_24:
	s_endpgm
	.section	.rodata,"a",@progbits
	.p2align	6, 0x0
	.amdhsa_kernel _ZL33flash_attn_stream_k_fixup_generalILi96ELi32ELi2EEvPfPK15HIP_vector_typeIfLj2EEiiiiS1_IjLj3EES5_S5_S5_
		.amdhsa_group_segment_fixed_size 0
		.amdhsa_private_segment_fixed_size 0
		.amdhsa_kernarg_size 336
		.amdhsa_user_sgpr_count 2
		.amdhsa_user_sgpr_dispatch_ptr 0
		.amdhsa_user_sgpr_queue_ptr 0
		.amdhsa_user_sgpr_kernarg_segment_ptr 1
		.amdhsa_user_sgpr_dispatch_id 0
		.amdhsa_user_sgpr_kernarg_preload_length 0
		.amdhsa_user_sgpr_kernarg_preload_offset 0
		.amdhsa_user_sgpr_private_segment_size 0
		.amdhsa_wavefront_size32 1
		.amdhsa_uses_dynamic_stack 0
		.amdhsa_enable_private_segment 0
		.amdhsa_system_sgpr_workgroup_id_x 1
		.amdhsa_system_sgpr_workgroup_id_y 1
		.amdhsa_system_sgpr_workgroup_id_z 1
		.amdhsa_system_sgpr_workgroup_info 0
		.amdhsa_system_vgpr_workitem_id 0
		.amdhsa_next_free_vgpr 12
		.amdhsa_next_free_sgpr 46
		.amdhsa_named_barrier_count 0
		.amdhsa_reserve_vcc 1
		.amdhsa_float_round_mode_32 0
		.amdhsa_float_round_mode_16_64 0
		.amdhsa_float_denorm_mode_32 3
		.amdhsa_float_denorm_mode_16_64 3
		.amdhsa_fp16_overflow 0
		.amdhsa_memory_ordered 1
		.amdhsa_forward_progress 1
		.amdhsa_inst_pref_size 27
		.amdhsa_round_robin_scheduling 0
		.amdhsa_exception_fp_ieee_invalid_op 0
		.amdhsa_exception_fp_denorm_src 0
		.amdhsa_exception_fp_ieee_div_zero 0
		.amdhsa_exception_fp_ieee_overflow 0
		.amdhsa_exception_fp_ieee_underflow 0
		.amdhsa_exception_fp_ieee_inexact 0
		.amdhsa_exception_int_div_zero 0
	.end_amdhsa_kernel
	.section	.text._ZL33flash_attn_stream_k_fixup_generalILi96ELi32ELi2EEvPfPK15HIP_vector_typeIfLj2EEiiiiS1_IjLj3EES5_S5_S5_,"axG",@progbits,_ZL33flash_attn_stream_k_fixup_generalILi96ELi32ELi2EEvPfPK15HIP_vector_typeIfLj2EEiiiiS1_IjLj3EES5_S5_S5_,comdat
.Lfunc_end36:
	.size	_ZL33flash_attn_stream_k_fixup_generalILi96ELi32ELi2EEvPfPK15HIP_vector_typeIfLj2EEiiiiS1_IjLj3EES5_S5_S5_, .Lfunc_end36-_ZL33flash_attn_stream_k_fixup_generalILi96ELi32ELi2EEvPfPK15HIP_vector_typeIfLj2EEiiiiS1_IjLj3EES5_S5_S5_
                                        ; -- End function
	.set _ZL33flash_attn_stream_k_fixup_generalILi96ELi32ELi2EEvPfPK15HIP_vector_typeIfLj2EEiiiiS1_IjLj3EES5_S5_S5_.num_vgpr, 12
	.set _ZL33flash_attn_stream_k_fixup_generalILi96ELi32ELi2EEvPfPK15HIP_vector_typeIfLj2EEiiiiS1_IjLj3EES5_S5_S5_.num_agpr, 0
	.set _ZL33flash_attn_stream_k_fixup_generalILi96ELi32ELi2EEvPfPK15HIP_vector_typeIfLj2EEiiiiS1_IjLj3EES5_S5_S5_.numbered_sgpr, 46
	.set _ZL33flash_attn_stream_k_fixup_generalILi96ELi32ELi2EEvPfPK15HIP_vector_typeIfLj2EEiiiiS1_IjLj3EES5_S5_S5_.num_named_barrier, 0
	.set _ZL33flash_attn_stream_k_fixup_generalILi96ELi32ELi2EEvPfPK15HIP_vector_typeIfLj2EEiiiiS1_IjLj3EES5_S5_S5_.private_seg_size, 0
	.set _ZL33flash_attn_stream_k_fixup_generalILi96ELi32ELi2EEvPfPK15HIP_vector_typeIfLj2EEiiiiS1_IjLj3EES5_S5_S5_.uses_vcc, 1
	.set _ZL33flash_attn_stream_k_fixup_generalILi96ELi32ELi2EEvPfPK15HIP_vector_typeIfLj2EEiiiiS1_IjLj3EES5_S5_S5_.uses_flat_scratch, 0
	.set _ZL33flash_attn_stream_k_fixup_generalILi96ELi32ELi2EEvPfPK15HIP_vector_typeIfLj2EEiiiiS1_IjLj3EES5_S5_S5_.has_dyn_sized_stack, 0
	.set _ZL33flash_attn_stream_k_fixup_generalILi96ELi32ELi2EEvPfPK15HIP_vector_typeIfLj2EEiiiiS1_IjLj3EES5_S5_S5_.has_recursion, 0
	.set _ZL33flash_attn_stream_k_fixup_generalILi96ELi32ELi2EEvPfPK15HIP_vector_typeIfLj2EEiiiiS1_IjLj3EES5_S5_S5_.has_indirect_call, 0
	.section	.AMDGPU.csdata,"",@progbits
; Kernel info:
; codeLenInByte = 3352
; TotalNumSgprs: 48
; NumVgprs: 12
; ScratchSize: 0
; MemoryBound: 0
; FloatMode: 240
; IeeeMode: 1
; LDSByteSize: 0 bytes/workgroup (compile time only)
; SGPRBlocks: 0
; VGPRBlocks: 0
; NumSGPRsForWavesPerEU: 48
; NumVGPRsForWavesPerEU: 12
; NamedBarCnt: 0
; Occupancy: 16
; WaveLimiterHint : 0
; COMPUTE_PGM_RSRC2:SCRATCH_EN: 0
; COMPUTE_PGM_RSRC2:USER_SGPR: 2
; COMPUTE_PGM_RSRC2:TRAP_HANDLER: 0
; COMPUTE_PGM_RSRC2:TGID_X_EN: 1
; COMPUTE_PGM_RSRC2:TGID_Y_EN: 1
; COMPUTE_PGM_RSRC2:TGID_Z_EN: 1
; COMPUTE_PGM_RSRC2:TIDIG_COMP_CNT: 0
	.section	.text._ZL15flash_attn_tileILi96ELi96ELi16ELi2ELb0EEvPKcS1_S1_S1_S1_PKiPfP15HIP_vector_typeIfLj2EEffffjfiS5_IjLj3EEiiiiiiiiiiiliiliiiiil,"axG",@progbits,_ZL15flash_attn_tileILi96ELi96ELi16ELi2ELb0EEvPKcS1_S1_S1_S1_PKiPfP15HIP_vector_typeIfLj2EEffffjfiS5_IjLj3EEiiiiiiiiiiiliiliiiiil,comdat
	.globl	_ZL15flash_attn_tileILi96ELi96ELi16ELi2ELb0EEvPKcS1_S1_S1_S1_PKiPfP15HIP_vector_typeIfLj2EEffffjfiS5_IjLj3EEiiiiiiiiiiiliiliiiiil ; -- Begin function _ZL15flash_attn_tileILi96ELi96ELi16ELi2ELb0EEvPKcS1_S1_S1_S1_PKiPfP15HIP_vector_typeIfLj2EEffffjfiS5_IjLj3EEiiiiiiiiiiiliiliiiiil
	.p2align	8
	.type	_ZL15flash_attn_tileILi96ELi96ELi16ELi2ELb0EEvPKcS1_S1_S1_S1_PKiPfP15HIP_vector_typeIfLj2EEffffjfiS5_IjLj3EEiiiiiiiiiiiliiliiiiil,@function
_ZL15flash_attn_tileILi96ELi96ELi16ELi2ELb0EEvPKcS1_S1_S1_S1_PKiPfP15HIP_vector_typeIfLj2EEffffjfiS5_IjLj3EEiiiiiiiiiiiliiliiiiil: ; @_ZL15flash_attn_tileILi96ELi96ELi16ELi2ELb0EEvPKcS1_S1_S1_S1_PKiPfP15HIP_vector_typeIfLj2EEffffjfiS5_IjLj3EEiiiiiiiiiiiliiliiiiil
; %bb.0:
	s_clause 0x1
	s_load_b128 s[24:27], s[0:1], 0x5c
	s_load_b64 s[38:39], s[0:1], 0x80
	s_bfe_u32 s5, ttmp6, 0x40014
	s_lshr_b32 s4, ttmp7, 16
	s_add_co_i32 s5, s5, 1
	s_bfe_u32 s6, ttmp6, 0x40008
	s_mul_i32 s5, s4, s5
	s_getreg_b32 s37, hwreg(HW_REG_IB_STS2, 6, 4)
	s_add_co_i32 s6, s6, s5
	s_load_b512 s[8:23], s[0:1], 0x0
	s_mov_b64 s[40:41], 0
	s_wait_kmcnt 0x0
	s_lshr_b32 s2, s27, 31
	s_delay_alu instid0(SALU_CYCLE_1) | instskip(NEXT) | instid1(SALU_CYCLE_1)
	s_add_co_i32 s2, s27, s2
	s_ashr_i32 s2, s2, 1
	s_delay_alu instid0(SALU_CYCLE_1) | instskip(SKIP_1) | instid1(SALU_CYCLE_2)
	s_cvt_f32_u32 s3, s2
	s_sub_co_i32 s7, 0, s2
	v_rcp_iflag_f32_e32 v1, s3
	v_nop
	s_delay_alu instid0(TRANS32_DEP_1) | instskip(SKIP_1) | instid1(SALU_CYCLE_3)
	v_readfirstlane_b32 s3, v1
	s_mul_f32 s3, s3, 0x4f7ffffe
	s_cvt_u32_f32 s3, s3
	s_delay_alu instid0(SALU_CYCLE_3) | instskip(NEXT) | instid1(SALU_CYCLE_1)
	s_mul_i32 s7, s7, s3
	s_mul_hi_u32 s7, s3, s7
	s_delay_alu instid0(SALU_CYCLE_1) | instskip(SKIP_2) | instid1(SALU_CYCLE_1)
	s_add_co_i32 s3, s3, s7
	s_cmp_eq_u32 s37, 0
	s_cselect_b32 s4, s4, s6
	s_mul_hi_u32 s3, s4, s3
	s_delay_alu instid0(SALU_CYCLE_1) | instskip(SKIP_2) | instid1(SALU_CYCLE_1)
	s_mul_i32 s5, s3, s2
	s_add_co_i32 s6, s3, 1
	s_sub_co_i32 s5, s4, s5
	s_sub_co_i32 s7, s5, s2
	s_cmp_ge_u32 s5, s2
	s_cselect_b32 s3, s6, s3
	s_cselect_b32 s5, s7, s5
	s_add_co_i32 s6, s3, 1
	s_cmp_ge_u32 s5, s2
	s_cselect_b32 s36, s6, s3
	s_abs_i32 s2, s39
	s_abs_i32 s7, s27
	s_cvt_f32_u32 s3, s2
	s_sub_co_i32 s5, 0, s2
	s_lshl_b32 s4, s4, 1
	s_mul_i32 s6, s36, s27
	v_rcp_iflag_f32_e32 v1, s3
	s_sub_co_i32 s34, s4, s6
	s_xor_b32 s4, s27, s39
	s_delay_alu instid0(SALU_CYCLE_1) | instskip(SKIP_1) | instid1(TRANS32_DEP_1)
	s_ashr_i32 s4, s4, 31
	v_nop
	v_readfirstlane_b32 s3, v1
	s_mul_f32 s3, s3, 0x4f7ffffe
	s_delay_alu instid0(SALU_CYCLE_3) | instskip(NEXT) | instid1(SALU_CYCLE_3)
	s_cvt_u32_f32 s3, s3
	s_mul_i32 s5, s5, s3
	s_delay_alu instid0(SALU_CYCLE_1) | instskip(NEXT) | instid1(SALU_CYCLE_1)
	s_mul_hi_u32 s5, s3, s5
	s_add_co_i32 s3, s3, s5
	s_delay_alu instid0(SALU_CYCLE_1) | instskip(NEXT) | instid1(SALU_CYCLE_1)
	s_mul_hi_u32 s3, s7, s3
	s_mul_i32 s5, s3, s2
	s_add_co_i32 s6, s3, 1
	s_sub_co_i32 s5, s7, s5
	s_delay_alu instid0(SALU_CYCLE_1)
	s_sub_co_i32 s7, s5, s2
	s_cmp_ge_u32 s5, s2
	s_cselect_b32 s3, s6, s3
	s_cselect_b32 s5, s7, s5
	s_add_co_i32 s6, s3, 1
	s_cmp_ge_u32 s5, s2
	s_mov_b32 s7, 0
	s_cselect_b32 s2, s6, s3
	s_delay_alu instid0(SALU_CYCLE_1) | instskip(SKIP_2) | instid1(SALU_CYCLE_1)
	s_xor_b32 s5, s2, s4
	s_load_b64 s[2:3], s[0:1], 0xb8
	s_sub_co_i32 s30, s5, s4
	s_abs_i32 s35, s30
	s_cmp_eq_u64 s[14:15], 0
	s_cvt_f32_u32 s4, s35
	s_delay_alu instid0(SALU_CYCLE_3) | instskip(SKIP_1) | instid1(TRANS32_DEP_1)
	v_rcp_iflag_f32_e32 v1, s4
	v_nop
	v_readfirstlane_b32 s31, v1
	s_cbranch_scc1 .LBB37_2
; %bb.1:
	s_wait_kmcnt 0x0
	s_abs_i32 s2, s2
	s_abs_i32 s6, s36
	s_cvt_f32_u32 s4, s2
	s_sub_co_i32 s5, 0, s2
	s_delay_alu instid0(SALU_CYCLE_2) | instskip(SKIP_1) | instid1(TRANS32_DEP_1)
	v_rcp_iflag_f32_e32 v1, s4
	v_nop
	v_readfirstlane_b32 s4, v1
	s_mul_f32 s4, s4, 0x4f7ffffe
	s_delay_alu instid0(SALU_CYCLE_3) | instskip(NEXT) | instid1(SALU_CYCLE_3)
	s_cvt_u32_f32 s4, s4
	s_mul_i32 s5, s5, s4
	s_delay_alu instid0(SALU_CYCLE_1) | instskip(NEXT) | instid1(SALU_CYCLE_1)
	s_mul_hi_u32 s5, s4, s5
	s_add_co_i32 s4, s4, s5
	s_delay_alu instid0(SALU_CYCLE_1) | instskip(SKIP_2) | instid1(SALU_CYCLE_1)
	s_mul_hi_u32 s28, s6, s4
	s_load_b64 s[4:5], s[0:1], 0xc8
	s_mul_i32 s28, s28, s2
	s_sub_co_i32 s6, s6, s28
	s_ashr_i32 s28, s36, 31
	s_sub_co_i32 s29, s6, s2
	s_cmp_ge_u32 s6, s2
	s_cselect_b32 s6, s29, s6
	s_delay_alu instid0(SALU_CYCLE_1) | instskip(SKIP_2) | instid1(SALU_CYCLE_1)
	s_sub_co_i32 s29, s6, s2
	s_cmp_ge_u32 s6, s2
	s_cselect_b32 s2, s29, s6
	s_xor_b32 s2, s2, s28
	s_delay_alu instid0(SALU_CYCLE_1) | instskip(NEXT) | instid1(SALU_CYCLE_1)
	s_sub_co_i32 s28, s2, s28
	s_ashr_i32 s29, s28, 31
	s_wait_kmcnt 0x0
	s_mul_u64 s[4:5], s[4:5], s[28:29]
	s_delay_alu instid0(SALU_CYCLE_1)
	s_add_nc_u64 s[40:41], s[14:15], s[4:5]
.LBB37_2:
	s_clause 0x1
	s_load_b96 s[4:6], s[0:1], 0x70
	s_load_b32 s14, s[0:1], 0x40
	s_bfe_u32 s15, ttmp6, 0x4000c
	v_and_b32_e32 v94, 0x3ff, v0
	s_add_co_i32 s15, s15, 1
	s_wait_kmcnt 0x0
	s_and_b32 s2, ttmp6, 15
	s_mul_i32 s15, ttmp9, s15
	v_bfe_u32 v95, v0, 10, 10
	s_add_co_i32 s15, s2, s15
	s_cmp_eq_u32 s37, 0
	v_dual_mov_b32 v69, 0 :: v_dual_lshlrev_b32 v75, 2, v94
	s_cselect_b32 s15, ttmp9, s15
	v_cmp_gt_u32_e64 s2, 24, v94
	s_lshl_b32 s33, s15, 4
	v_dual_lshlrev_b32 v96, 3, v94 :: v_dual_lshlrev_b32 v0, 2, v75
	v_lshl_add_u32 v68, v95, 1, s33
	s_mul_i32 s28, s36, s6
	s_mul_i32 s42, s34, s5
	s_ashr_i32 s29, s28, 31
	s_ashr_i32 s45, s5, 31
	s_mov_b32 s44, s5
	s_ashr_i32 s43, s42, 31
	s_add_nc_u64 s[8:9], s[8:9], s[28:29]
	s_ashr_i32 s5, s4, 31
	s_lshr_b64 s[28:29], s[44:45], 2
	s_add_nc_u64 s[8:9], s[8:9], s[42:43]
	s_mov_b32 s6, s24
	s_lshr_b64 s[4:5], s[4:5], 2
	s_and_saveexec_b32 s24, s2
	s_cbranch_execz .LBB37_4
; %bb.3:
	v_mul_u64_e32 v[2:3], s[6:7], v[68:69]
	s_lshl_b64 s[42:43], s[28:29], 2
	s_delay_alu instid0(SALU_CYCLE_1) | instskip(NEXT) | instid1(VALU_DEP_1)
	s_add_nc_u64 s[42:43], s[8:9], s[42:43]
	v_dual_add_nc_u32 v1, v68, v3 :: v_dual_mov_b32 v3, v69
	s_delay_alu instid0(VALU_DEP_1) | instskip(NEXT) | instid1(VALU_DEP_1)
	v_lshrrev_b32_e32 v1, s25, v1
	v_mul_lo_u32 v1, v1, s26
	s_delay_alu instid0(VALU_DEP_1) | instskip(NEXT) | instid1(VALU_DEP_1)
	v_dual_mov_b32 v1, v69 :: v_dual_sub_nc_u32 v2, v68, v1
	v_mul_u64_e32 v[2:3], s[4:5], v[2:3]
	s_delay_alu instid0(VALU_DEP_1) | instskip(NEXT) | instid1(VALU_DEP_1)
	v_lshlrev_b64_e32 v[2:3], 2, v[2:3]
	v_add_nc_u64_e32 v[4:5], s[8:9], v[2:3]
	v_add_nc_u64_e32 v[2:3], s[42:43], v[2:3]
	s_delay_alu instid0(VALU_DEP_2) | instskip(NEXT) | instid1(VALU_DEP_2)
	v_add_nc_u64_e32 v[10:11], v[4:5], v[0:1]
	v_add_nc_u64_e32 v[12:13], v[2:3], v[0:1]
	s_clause 0x1
	global_load_b128 v[2:5], v[10:11], off
	global_load_b128 v[6:9], v[12:13], off
	s_wait_loadcnt 0x1
	v_fma_mixlo_f16 v1, s14, v2, 0
	v_fma_mixlo_f16 v2, s14, v3, 0
	;; [unrolled: 1-line block ×4, first 2 shown]
	s_wait_loadcnt 0x0
	v_fma_mixlo_f16 v5, s14, v6, 0
	v_fma_mixlo_f16 v6, s14, v7, 0
	;; [unrolled: 1-line block ×4, first 2 shown]
	v_lshlrev_b32_e32 v2, 16, v2
	v_and_b32_e32 v1, 0xffff, v1
	v_dual_lshlrev_b32 v4, 16, v4 :: v_dual_lshlrev_b32 v6, 16, v6
	v_and_b32_e32 v5, 0xffff, v5
	v_and_b32_e32 v3, 0xffff, v3
	s_delay_alu instid0(VALU_DEP_4) | instskip(SKIP_1) | instid1(VALU_DEP_4)
	v_dual_lshlrev_b32 v8, 16, v8 :: v_dual_bitop2_b32 v1, v2, v1 bitop3:0x54
	v_and_b32_e32 v7, 0xffff, v7
	v_or_b32_e32 v6, v6, v5
	v_mad_u32_u24 v9, 0x300, v95, v96
	v_or3_b32 v3, v4, v3, 0
	v_or3_b32 v2, 0, 0, v1
	;; [unrolled: 1-line block ×4, first 2 shown]
	ds_store_2addr_b64 v9, v[2:3], v[4:5] offset1:24
.LBB37_4:
	s_or_b32 exec_lo, exec_lo, s24
	v_lshlrev_b32_e32 v2, 2, v95
	s_delay_alu instid0(VALU_DEP_1) | instskip(NEXT) | instid1(VALU_DEP_1)
	v_or_b32_e32 v3, 2, v2
	v_lshrrev_b32_e32 v93, 1, v3
	s_and_saveexec_b32 s24, s2
	s_cbranch_execz .LBB37_6
; %bb.5:
	s_delay_alu instid0(VALU_DEP_1) | instskip(SKIP_1) | instid1(VALU_DEP_2)
	v_dual_mov_b32 v5, 0 :: v_dual_add_nc_u32 v4, s33, v93
	v_mad_u32_u24 v3, 0xc0, v3, v96
	v_mul_u64_e32 v[6:7], s[6:7], v[4:5]
	s_delay_alu instid0(VALU_DEP_1) | instskip(NEXT) | instid1(VALU_DEP_1)
	v_add_nc_u32_e32 v1, v4, v7
	v_lshrrev_b32_e32 v1, s25, v1
	s_delay_alu instid0(VALU_DEP_1) | instskip(NEXT) | instid1(VALU_DEP_1)
	v_mul_lo_u32 v1, v1, s26
	v_dual_mov_b32 v1, v5 :: v_dual_sub_nc_u32 v4, v4, v1
	s_delay_alu instid0(VALU_DEP_1) | instskip(NEXT) | instid1(VALU_DEP_1)
	v_mul_u64_e32 v[6:7], s[4:5], v[4:5]
	v_lshl_add_u64 v[4:5], v[6:7], 2, s[8:9]
	s_delay_alu instid0(VALU_DEP_1) | instskip(SKIP_4) | instid1(VALU_DEP_2)
	v_add_nc_u64_e32 v[4:5], v[4:5], v[0:1]
	global_load_b128 v[4:7], v[4:5], off
	s_wait_loadcnt 0x0
	v_fma_mixlo_f16 v1, s14, v4, 0
	v_mov_b32_e32 v4, v7
	v_and_b32_e32 v1, 0xffff, v1
	s_delay_alu instid0(VALU_DEP_2) | instskip(NEXT) | instid1(VALU_DEP_1)
	v_pk_mul_f32 v[4:5], s[14:15], v[4:5] op_sel_hi:[0,1]
	v_cvt_pk_f16_f32 v4, v4, v5
	v_fma_mixlo_f16 v5, s14, v6, 0
	s_delay_alu instid0(VALU_DEP_2) | instskip(NEXT) | instid1(VALU_DEP_2)
	v_and_b32_e32 v6, 0xffff0000, v4
	v_and_b32_e32 v5, 0xffff, v5
	s_delay_alu instid0(VALU_DEP_2) | instskip(NEXT) | instid1(VALU_DEP_1)
	v_dual_lshlrev_b32 v4, 16, v4 :: v_dual_bitop2_b32 v1, v6, v1 bitop3:0x54
	v_or3_b32 v5, v4, v5, 0
	s_delay_alu instid0(VALU_DEP_2)
	v_or3_b32 v4, 0, 0, v1
	ds_store_b64 v3, v[4:5]
.LBB37_6:
	s_or_b32 exec_lo, exec_lo, s24
	v_or_b32_e32 v92, 3, v2
	s_and_saveexec_b32 s24, s2
	s_cbranch_execz .LBB37_8
; %bb.7:
	s_delay_alu instid0(VALU_DEP_1) | instskip(NEXT) | instid1(VALU_DEP_1)
	v_dual_lshrrev_b32 v1, 1, v92 :: v_dual_mov_b32 v5, 0
	v_add_nc_u32_e32 v4, s33, v1
	s_delay_alu instid0(VALU_DEP_1) | instskip(NEXT) | instid1(VALU_DEP_1)
	v_mul_u64_e32 v[6:7], s[6:7], v[4:5]
	v_add_nc_u32_e32 v1, v4, v7
	s_delay_alu instid0(VALU_DEP_1) | instskip(NEXT) | instid1(VALU_DEP_1)
	v_lshrrev_b32_e32 v1, s25, v1
	v_mul_lo_u32 v1, v1, s26
	s_delay_alu instid0(VALU_DEP_1) | instskip(NEXT) | instid1(VALU_DEP_1)
	v_dual_mov_b32 v1, v5 :: v_dual_sub_nc_u32 v4, v4, v1
	v_mul_u64_e32 v[6:7], s[4:5], v[4:5]
	s_lshl_b64 s[4:5], s[28:29], 2
	s_delay_alu instid0(SALU_CYCLE_1)
	s_add_nc_u64 s[4:5], s[8:9], s[4:5]
	s_delay_alu instid0(VALU_DEP_1) | instid1(SALU_CYCLE_1)
	v_lshl_add_u64 v[4:5], v[6:7], 2, s[4:5]
	s_delay_alu instid0(VALU_DEP_1) | instskip(SKIP_4) | instid1(VALU_DEP_2)
	v_add_nc_u64_e32 v[0:1], v[4:5], v[0:1]
	global_load_b128 v[4:7], v[0:1], off
	s_wait_loadcnt 0x0
	v_fma_mixlo_f16 v3, s14, v4, 0
	v_mov_b32_e32 v4, v7
	v_and_b32_e32 v3, 0xffff, v3
	s_delay_alu instid0(VALU_DEP_2) | instskip(NEXT) | instid1(VALU_DEP_1)
	v_pk_mul_f32 v[0:1], s[14:15], v[4:5] op_sel_hi:[0,1]
	v_cvt_pk_f16_f32 v0, v0, v1
	v_fma_mixlo_f16 v1, s14, v6, 0
	s_delay_alu instid0(VALU_DEP_2) | instskip(NEXT) | instid1(VALU_DEP_2)
	v_and_b32_e32 v4, 0xffff0000, v0
	v_and_b32_e32 v1, 0xffff, v1
	s_delay_alu instid0(VALU_DEP_2) | instskip(SKIP_1) | instid1(VALU_DEP_2)
	v_dual_lshlrev_b32 v0, 16, v0 :: v_dual_bitop2_b32 v3, v4, v3 bitop3:0x54
	v_mad_u32_u24 v4, 0xc0, v92, v96
	v_or3_b32 v1, v0, v1, 0
	s_delay_alu instid0(VALU_DEP_3)
	v_or3_b32 v0, 0, 0, v3
	ds_store_b64 v4, v[0:1]
.LBB37_8:
	s_or_b32 exec_lo, exec_lo, s24
	s_cmp_eq_u64 s[18:19], 0
	s_wait_dscnt 0x0
	s_barrier_signal -1
	s_barrier_wait -1
	s_cbranch_scc1 .LBB37_10
; %bb.9:
	s_load_b32 s4, s[0:1], 0xd0
	s_wait_kmcnt 0x0
	s_mul_i32 s4, s4, s36
	s_delay_alu instid0(SALU_CYCLE_1)
	s_add_co_i32 s4, s4, s15
	s_load_b32 s38, s[18:19], s4 offset:0x0 scale_offset
.LBB37_10:
	s_wait_xcnt 0x0
	s_bfe_u32 s4, ttmp6, 0x40010
	s_and_b32 s5, ttmp7, 0xffff
	s_add_co_i32 s4, s4, 1
	s_bfe_u32 s8, ttmp6, 0x40004
	s_mul_i32 s4, s5, s4
	v_mbcnt_lo_u32_b32 v97, -1, 0
	s_add_co_i32 s8, s8, s4
	s_cmp_eq_u32 s37, 0
	s_mov_b32 s4, 0
	s_cselect_b32 s39, s5, s8
	s_delay_alu instid0(SALU_CYCLE_1)
	s_lshl_b32 s14, s39, 5
	s_wait_kmcnt 0x0
	s_cmp_lt_i32 s14, s38
	s_cbranch_scc1 .LBB37_13
; %bb.11:
	v_mbcnt_lo_u32_b32 v4, -1, 0
	s_delay_alu instid0(VALU_DEP_1)
	v_dual_mov_b32 v98, 32 :: v_dual_bitop2_b32 v116, 16, v4 bitop3:0x14
	v_xor_b32_e32 v117, 8, v4
	v_xor_b32_e32 v118, 4, v4
	;; [unrolled: 1-line block ×4, first 2 shown]
	s_and_not1_b32 vcc_lo, exec_lo, s4
	s_cbranch_vccz .LBB37_14
; %bb.12:
	v_dual_mov_b32 v112, 0 :: v_dual_mov_b32 v71, 0
	v_dual_mov_b32 v3, 0xfeffffff :: v_dual_mov_b32 v2, 0xfeffffff
	;; [unrolled: 1-line block ×3, first 2 shown]
	s_delay_alu instid0(VALU_DEP_3)
	v_dual_mov_b32 v70, v71 :: v_dual_mov_b32 v73, v71
	v_dual_mov_b32 v72, v71 :: v_dual_mov_b32 v115, 0
	;; [unrolled: 1-line block ×5, first 2 shown]
	s_branch .LBB37_34
.LBB37_13:
                                        ; implicit-def: $vgpr4
                                        ; implicit-def: $vgpr98
                                        ; implicit-def: $vgpr116
                                        ; implicit-def: $vgpr117
                                        ; implicit-def: $vgpr118
                                        ; implicit-def: $vgpr119
                                        ; implicit-def: $vgpr120
.LBB37_14:
	v_dual_mov_b32 v69, 0 :: v_dual_lshrrev_b32 v3, 1, v94
	s_mul_f32 s4, s31, 0x4f7ffffe
	s_ashr_i32 s24, s30, 31
	s_clause 0x2
	s_load_b64 s[8:9], s[0:1], 0x8c
	s_load_b128 s[28:31], s[0:1], 0x98
	s_load_b64 s[44:45], s[0:1], 0xa8
	v_mul_u64_e32 v[0:1], s[6:7], v[68:69]
	v_dual_lshrrev_b32 v5, 2, v94 :: v_dual_bitop2_b32 v0, 4, v75 bitop3:0x40
	v_lshrrev_b32_e32 v7, 3, v94
	v_lshl_add_u32 v8, v95, 4, v3
	s_ashr_i32 s15, s34, 31
	s_sub_co_i32 s5, 0, s35
	s_xor_b32 s15, s15, s24
	v_dual_mov_b32 v100, v69 :: v_dual_add_nc_u32 v7, v7, v2
	s_cvt_u32_f32 s24, s4
	v_dual_mov_b32 v4, 0xfeffffff :: v_dual_lshlrev_b32 v9, 2, v0
	s_abs_i32 s18, s34
	s_delay_alu instid0(SALU_CYCLE_1)
	s_mul_i32 s5, s5, s24
	s_mov_b32 s19, s7
	s_mov_b32 s43, s7
	s_ashr_i32 s46, s3, 1
	s_ashr_i32 s37, s36, 31
	v_dual_mov_b32 v98, 32 :: v_dual_bitop2_b32 v74, 28, v75 bitop3:0x40
	v_mul_u32_u24_e32 v13, 0xc0, v7
	s_wait_kmcnt 0x0
	s_mul_u64 s[28:29], s[28:29], s[36:37]
	v_mul_u32_u24_e32 v103, 0x70, v94
	v_dual_lshlrev_b32 v11, 2, v74 :: v_dual_mov_b32 v99, v69
	v_mul_u32_u24_e32 v104, 0x300, v95
	v_lshl_add_u32 v105, v95, 8, 0x2680
	v_dual_mov_b32 v102, v69 :: v_dual_mov_b32 v101, v69
	v_dual_mov_b32 v107, v69 :: v_dual_mov_b32 v106, v69
	v_dual_add_nc_u32 v1, v68, v1 :: v_dual_bitop2_b32 v6, 12, v75 bitop3:0x40
	v_lshl_add_u32 v5, v95, 3, v5
	v_dual_mov_b32 v115, v69 :: v_dual_mov_b32 v112, v69
	s_delay_alu instid0(VALU_DEP_3) | instskip(SKIP_1) | instid1(VALU_DEP_4)
	v_dual_lshrrev_b32 v1, s25, v1 :: v_dual_lshlrev_b32 v10, 2, v6
	v_lshlrev_b32_e32 v76, 2, v6
	v_mul_u32_u24_e32 v12, 0xc0, v5
	v_mul_u32_u24_e32 v6, 0x70, v5
	s_delay_alu instid0(VALU_DEP_4)
	v_mul_lo_u32 v1, v1, s26
	v_cmp_gt_u32_e64 s3, 32, v5
	v_cmp_gt_u32_e64 s4, 16, v5
	v_add3_u32 v110, v13, v11, 0x1800
	v_add3_u32 v109, v6, v10, 0x1800
	v_dual_mov_b32 v121, 0xfeffffff :: v_dual_mov_b32 v122, 0xfeffffff
	v_dual_mov_b32 v73, v69 :: v_dual_mov_b32 v70, v69
	v_mov_b32_e32 v71, v69
	v_cmp_gt_u32_e32 vcc_lo, 32, v8
	v_dual_sub_nc_u32 v1, v68, v1 :: v_dual_add_nc_u32 v68, 1, v68
	v_mov_b32_e32 v72, v69
	s_delay_alu instid0(VALU_DEP_2) | instskip(NEXT) | instid1(VALU_DEP_3)
	v_mul_lo_u32 v113, v1, s46
	v_mul_u64_e32 v[2:3], s[6:7], v[68:69]
	s_mul_hi_u32 s6, s24, s5
	v_mul_u32_u24_e32 v2, 0x70, v8
	s_add_co_i32 s42, s24, s6
	s_ashr_i32 s24, s8, 2
	s_mul_u64 s[6:7], s[18:19], s[42:43]
	v_mul_lo_u32 v78, s24, v8
	v_add3_u32 v108, v2, v9, 0x1840
	s_mul_i32 s6, s7, s35
	s_add_co_i32 s19, s7, 1
	s_sub_co_i32 s6, s18, s6
	s_ashr_i32 s18, s30, 2
	s_sub_co_i32 s8, s6, s35
	v_mul_lo_u32 v84, s18, v7
	s_cmp_ge_u32 s6, s35
	v_mul_lo_u32 v80, s24, v5
	s_cselect_b32 s7, s19, s7
	v_ashrrev_i32_e32 v79, 31, v78
	v_mul_lo_u32 v82, s18, v5
	s_cselect_b32 s6, s8, s6
	s_add_co_i32 s8, s7, 1
	s_cmp_ge_u32 s6, s35
	s_mul_u64 s[42:43], s[44:45], s[36:37]
	s_cselect_b32 s8, s8, s7
	s_add_nc_u64 s[6:7], s[10:11], s[28:29]
	s_xor_b32 s8, s8, s15
	s_add_nc_u64 s[10:11], s[12:13], s[42:43]
	s_sub_co_i32 s12, s8, s15
	v_cmp_gt_u32_e64 s5, 16, v7
	s_mul_i32 s8, s12, s9
	s_mul_i32 s12, s12, s31
	v_dual_ashrrev_i32 v81, 31, v80 :: v_dual_ashrrev_i32 v83, 31, v82
	v_add_nc_u32_e32 v3, v68, v3
	v_or_b32_e32 v2, v12, v10
	s_ashr_i32 s9, s8, 31
	s_ashr_i32 s13, s12, 31
	s_add_nc_u64 s[28:29], s[6:7], s[8:9]
	v_lshrrev_b32_e32 v3, s25, v3
	v_add_nc_u32_e32 v111, 0x1880, v2
	s_add_nc_u64 s[30:31], s[10:11], s[12:13]
	s_ashr_i32 s25, s24, 31
	s_ashr_i32 s19, s18, 31
	v_mul_lo_u32 v2, v3, s26
	v_ashrrev_i32_e32 v85, 31, v84
	s_add_nc_u64 s[42:43], s[0:1], 0xd0
	s_delay_alu instid0(VALU_DEP_2) | instskip(SKIP_1) | instid1(VALU_DEP_2)
	v_dual_mov_b32 v5, 0xfeffffff :: v_dual_sub_nc_u32 v2, v68, v2
	v_lshlrev_b32_e32 v68, 2, v0
	v_mul_lo_u32 v114, v2, s46
.LBB37_15:                              ; =>This Inner Loop Header: Depth=1
	s_ashr_i32 s15, s14, 31
	s_delay_alu instid0(SALU_CYCLE_1) | instskip(NEXT) | instid1(SALU_CYCLE_1)
	s_mul_u64 s[6:7], s[14:15], s[24:25]
	s_lshl_b64 s[6:7], s[6:7], 2
	s_delay_alu instid0(SALU_CYCLE_1) | instskip(NEXT) | instid1(SALU_CYCLE_1)
	s_add_nc_u64 s[6:7], s[28:29], s[6:7]
	v_lshl_add_u64 v[0:1], v[78:79], 2, s[6:7]
	s_and_saveexec_b32 s8, vcc_lo
	s_cbranch_execz .LBB37_17
; %bb.16:                               ;   in Loop: Header=BB37_15 Depth=1
	s_delay_alu instid0(VALU_DEP_1)
	v_add_nc_u64_e32 v[2:3], v[0:1], v[68:69]
	global_load_b128 v[6:9], v[2:3], off offset:64
	s_wait_loadcnt 0x0
	ds_store_b128 v108, v[6:9]
.LBB37_17:                              ;   in Loop: Header=BB37_15 Depth=1
	s_or_b32 exec_lo, exec_lo, s8
	v_lshl_add_u64 v[2:3], v[80:81], 2, s[6:7]
	s_and_saveexec_b32 s6, s3
	s_cbranch_execz .LBB37_19
; %bb.18:                               ;   in Loop: Header=BB37_15 Depth=1
	v_mov_b32_e32 v77, v69
	s_delay_alu instid0(VALU_DEP_1)
	v_add_nc_u64_e32 v[6:7], v[2:3], v[76:77]
	global_load_b128 v[6:9], v[6:7], off
	s_wait_loadcnt 0x0
	ds_store_b128 v109, v[6:9]
.LBB37_19:                              ;   in Loop: Header=BB37_15 Depth=1
	s_or_b32 exec_lo, exec_lo, s6
	s_wait_dscnt 0x0
	s_barrier_signal -1
	s_barrier_wait -1
	ds_load_b128 v[10:13], v103 offset:6144
	ds_load_b128 v[14:17], v104
	ds_load_b128 v[18:21], v104 offset:192
	ds_load_b128 v[22:25], v104 offset:384
	;; [unrolled: 1-line block ×3, first 2 shown]
	v_dual_mov_b32 v6, 0 :: v_dual_mov_b32 v7, 0
	v_dual_mov_b32 v8, 0 :: v_dual_mov_b32 v9, 0
	s_wait_dscnt 0x3
	;;#ASMSTART
	v_dot2_f32_f16 v6, v10, v14, v6
	;;#ASMEND
	;;#ASMSTART
	v_dot2_f32_f16 v6, v11, v15, v6
	;;#ASMEND
	;;#ASMSTART
	v_dot2_f32_f16 v6, v12, v16, v6
	;;#ASMEND
	;;#ASMSTART
	v_dot2_f32_f16 v6, v13, v17, v6
	;;#ASMEND
	s_wait_dscnt 0x2
	;;#ASMSTART
	v_dot2_f32_f16 v7, v10, v18, v7
	;;#ASMEND
	;;#ASMSTART
	v_dot2_f32_f16 v7, v11, v19, v7
	;;#ASMEND
	;;#ASMSTART
	v_dot2_f32_f16 v7, v12, v20, v7
	;;#ASMEND
	;;#ASMSTART
	v_dot2_f32_f16 v7, v13, v21, v7
	;;#ASMEND
	s_wait_dscnt 0x1
	;;#ASMSTART
	v_dot2_f32_f16 v8, v10, v22, v8
	;;#ASMEND
	;;#ASMSTART
	v_dot2_f32_f16 v8, v11, v23, v8
	;;#ASMEND
	;;#ASMSTART
	v_dot2_f32_f16 v8, v12, v24, v8
	;;#ASMEND
	;;#ASMSTART
	v_dot2_f32_f16 v8, v13, v25, v8
	;;#ASMEND
	s_wait_dscnt 0x0
	;;#ASMSTART
	v_dot2_f32_f16 v9, v10, v26, v9
	;;#ASMEND
	;;#ASMSTART
	v_dot2_f32_f16 v9, v11, v27, v9
	;;#ASMEND
	;;#ASMSTART
	v_dot2_f32_f16 v9, v12, v28, v9
	;;#ASMEND
	;;#ASMSTART
	v_dot2_f32_f16 v9, v13, v29, v9
	;;#ASMEND
	ds_load_b128 v[10:13], v103 offset:6160
	ds_load_b128 v[14:17], v104 offset:16
	ds_load_b128 v[18:21], v104 offset:208
	ds_load_b128 v[22:25], v104 offset:400
	ds_load_b128 v[26:29], v104 offset:592
	s_wait_dscnt 0x3
	;;#ASMSTART
	v_dot2_f32_f16 v6, v10, v14, v6
	;;#ASMEND
	;;#ASMSTART
	v_dot2_f32_f16 v6, v11, v15, v6
	;;#ASMEND
	;;#ASMSTART
	v_dot2_f32_f16 v6, v12, v16, v6
	;;#ASMEND
	;;#ASMSTART
	v_dot2_f32_f16 v6, v13, v17, v6
	;;#ASMEND
	s_wait_dscnt 0x2
	;;#ASMSTART
	v_dot2_f32_f16 v7, v10, v18, v7
	;;#ASMEND
	;;#ASMSTART
	v_dot2_f32_f16 v7, v11, v19, v7
	;;#ASMEND
	;;#ASMSTART
	v_dot2_f32_f16 v7, v12, v20, v7
	;;#ASMEND
	;;#ASMSTART
	v_dot2_f32_f16 v7, v13, v21, v7
	;;#ASMEND
	s_wait_dscnt 0x1
	;;#ASMSTART
	v_dot2_f32_f16 v8, v10, v22, v8
	;;#ASMEND
	;;#ASMSTART
	v_dot2_f32_f16 v8, v11, v23, v8
	;;#ASMEND
	;;#ASMSTART
	v_dot2_f32_f16 v8, v12, v24, v8
	;;#ASMEND
	;;#ASMSTART
	v_dot2_f32_f16 v8, v13, v25, v8
	;;#ASMEND
	s_wait_dscnt 0x0
	;;#ASMSTART
	v_dot2_f32_f16 v9, v10, v26, v9
	;;#ASMEND
	;;#ASMSTART
	v_dot2_f32_f16 v9, v11, v27, v9
	;;#ASMEND
	;;#ASMSTART
	v_dot2_f32_f16 v9, v12, v28, v9
	;;#ASMEND
	;;#ASMSTART
	v_dot2_f32_f16 v9, v13, v29, v9
	;;#ASMEND
	ds_load_b128 v[10:13], v103 offset:6176
	ds_load_b128 v[14:17], v104 offset:32
	ds_load_b128 v[18:21], v104 offset:224
	ds_load_b128 v[22:25], v104 offset:416
	ds_load_b128 v[26:29], v104 offset:608
	;; [unrolled: 57-line block ×5, first 2 shown]
	s_wait_dscnt 0x3
	;;#ASMSTART
	v_dot2_f32_f16 v6, v10, v14, v6
	;;#ASMEND
	;;#ASMSTART
	v_dot2_f32_f16 v6, v11, v15, v6
	;;#ASMEND
	;;#ASMSTART
	v_dot2_f32_f16 v6, v12, v16, v6
	;;#ASMEND
	;;#ASMSTART
	v_dot2_f32_f16 v6, v13, v17, v6
	;;#ASMEND
	s_wait_dscnt 0x2
	;;#ASMSTART
	v_dot2_f32_f16 v7, v10, v18, v7
	;;#ASMEND
	;;#ASMSTART
	v_dot2_f32_f16 v7, v11, v19, v7
	;;#ASMEND
	;;#ASMSTART
	v_dot2_f32_f16 v7, v12, v20, v7
	;;#ASMEND
	;;#ASMSTART
	v_dot2_f32_f16 v7, v13, v21, v7
	;;#ASMEND
	;; [unrolled: 13-line block ×4, first 2 shown]
	s_barrier_signal -1
	s_barrier_wait -1
	s_and_saveexec_b32 s6, vcc_lo
	s_cbranch_execz .LBB37_21
; %bb.20:                               ;   in Loop: Header=BB37_15 Depth=1
	v_add_nc_u64_e32 v[0:1], v[0:1], v[68:69]
	global_load_b128 v[10:13], v[0:1], off offset:160
	s_wait_loadcnt 0x0
	ds_store_b128 v108, v[10:13]
.LBB37_21:                              ;   in Loop: Header=BB37_15 Depth=1
	s_or_b32 exec_lo, exec_lo, s6
	s_and_saveexec_b32 s6, s3
	s_cbranch_execz .LBB37_23
; %bb.22:                               ;   in Loop: Header=BB37_15 Depth=1
	v_mov_b32_e32 v77, v69
	s_delay_alu instid0(VALU_DEP_1)
	v_add_nc_u64_e32 v[0:1], v[2:3], v[76:77]
	global_load_b128 v[0:3], v[0:1], off offset:96
	s_wait_loadcnt 0x0
	ds_store_b128 v109, v[0:3]
.LBB37_23:                              ;   in Loop: Header=BB37_15 Depth=1
	s_or_b32 exec_lo, exec_lo, s6
	s_wait_dscnt 0x0
	s_barrier_signal -1
	s_barrier_wait -1
	ds_load_b128 v[0:3], v103 offset:6144
	ds_load_b128 v[10:13], v104 offset:96
	ds_load_b128 v[14:17], v104 offset:288
	ds_load_b128 v[18:21], v104 offset:480
	ds_load_b128 v[22:25], v104 offset:672
	v_dual_add_nc_u32 v26, s14, v94 :: v_dual_bitop2_b32 v116, 16, v97 bitop3:0x14
	v_xor_b32_e32 v118, 4, v97
	v_xor_b32_e32 v120, 1, v97
	s_wait_dscnt 0x3
	;;#ASMSTART
	v_dot2_f32_f16 v6, v0, v10, v6
	;;#ASMEND
	;;#ASMSTART
	v_dot2_f32_f16 v6, v1, v11, v6
	;;#ASMEND
	;;#ASMSTART
	v_dot2_f32_f16 v6, v2, v12, v6
	;;#ASMEND
	;;#ASMSTART
	v_dot2_f32_f16 v6, v3, v13, v6
	;;#ASMEND
	s_wait_dscnt 0x2
	;;#ASMSTART
	v_dot2_f32_f16 v7, v0, v14, v7
	;;#ASMEND
	;;#ASMSTART
	v_dot2_f32_f16 v7, v1, v15, v7
	;;#ASMEND
	;;#ASMSTART
	v_dot2_f32_f16 v7, v2, v16, v7
	;;#ASMEND
	;;#ASMSTART
	v_dot2_f32_f16 v7, v3, v17, v7
	;;#ASMEND
	s_wait_dscnt 0x1
	;;#ASMSTART
	v_dot2_f32_f16 v8, v0, v18, v8
	;;#ASMEND
	;;#ASMSTART
	v_dot2_f32_f16 v8, v1, v19, v8
	;;#ASMEND
	;;#ASMSTART
	v_dot2_f32_f16 v8, v2, v20, v8
	;;#ASMEND
	;;#ASMSTART
	v_dot2_f32_f16 v8, v3, v21, v8
	;;#ASMEND
	s_wait_dscnt 0x0
	;;#ASMSTART
	v_dot2_f32_f16 v9, v0, v22, v9
	;;#ASMEND
	;;#ASMSTART
	v_dot2_f32_f16 v9, v1, v23, v9
	;;#ASMEND
	;;#ASMSTART
	v_dot2_f32_f16 v9, v2, v24, v9
	;;#ASMEND
	;;#ASMSTART
	v_dot2_f32_f16 v9, v3, v25, v9
	;;#ASMEND
	ds_load_b128 v[0:3], v103 offset:6160
	ds_load_b128 v[10:13], v104 offset:112
	;; [unrolled: 1-line block ×5, first 2 shown]
	v_dual_add_nc_u32 v27, v26, v113 :: v_dual_add_nc_u32 v26, v26, v114
	v_cmp_gt_i32_e64 s6, 32, v116
	s_wait_dscnt 0x3
	;;#ASMSTART
	v_dot2_f32_f16 v6, v0, v10, v6
	;;#ASMEND
	;;#ASMSTART
	v_dot2_f32_f16 v6, v1, v11, v6
	;;#ASMEND
	;;#ASMSTART
	v_dot2_f32_f16 v6, v2, v12, v6
	;;#ASMEND
	;;#ASMSTART
	v_dot2_f32_f16 v6, v3, v13, v6
	;;#ASMEND
	s_wait_dscnt 0x2
	;;#ASMSTART
	v_dot2_f32_f16 v7, v0, v14, v7
	;;#ASMEND
	;;#ASMSTART
	v_dot2_f32_f16 v7, v1, v15, v7
	;;#ASMEND
	;;#ASMSTART
	v_dot2_f32_f16 v7, v2, v16, v7
	;;#ASMEND
	;;#ASMSTART
	v_dot2_f32_f16 v7, v3, v17, v7
	;;#ASMEND
	s_wait_dscnt 0x1
	;;#ASMSTART
	v_dot2_f32_f16 v8, v0, v18, v8
	;;#ASMEND
	;;#ASMSTART
	v_dot2_f32_f16 v8, v1, v19, v8
	;;#ASMEND
	;;#ASMSTART
	v_dot2_f32_f16 v8, v2, v20, v8
	;;#ASMEND
	;;#ASMSTART
	v_dot2_f32_f16 v8, v3, v21, v8
	;;#ASMEND
	s_wait_dscnt 0x0
	;;#ASMSTART
	v_dot2_f32_f16 v9, v0, v22, v9
	;;#ASMEND
	;;#ASMSTART
	v_dot2_f32_f16 v9, v1, v23, v9
	;;#ASMEND
	;;#ASMSTART
	v_dot2_f32_f16 v9, v2, v24, v9
	;;#ASMEND
	;;#ASMSTART
	v_dot2_f32_f16 v9, v3, v25, v9
	;;#ASMEND
	ds_load_b128 v[0:3], v103 offset:6176
	ds_load_b128 v[10:13], v104 offset:128
	ds_load_b128 v[14:17], v104 offset:320
	ds_load_b128 v[18:21], v104 offset:512
	ds_load_b128 v[22:25], v104 offset:704
	s_wait_dscnt 0x3
	;;#ASMSTART
	v_dot2_f32_f16 v6, v0, v10, v6
	;;#ASMEND
	;;#ASMSTART
	v_dot2_f32_f16 v6, v1, v11, v6
	;;#ASMEND
	;;#ASMSTART
	v_dot2_f32_f16 v6, v2, v12, v6
	;;#ASMEND
	;;#ASMSTART
	v_dot2_f32_f16 v6, v3, v13, v6
	;;#ASMEND
	s_wait_dscnt 0x2
	;;#ASMSTART
	v_dot2_f32_f16 v7, v0, v14, v7
	;;#ASMEND
	;;#ASMSTART
	v_dot2_f32_f16 v7, v1, v15, v7
	;;#ASMEND
	;;#ASMSTART
	v_dot2_f32_f16 v7, v2, v16, v7
	;;#ASMEND
	;;#ASMSTART
	v_dot2_f32_f16 v7, v3, v17, v7
	;;#ASMEND
	s_wait_dscnt 0x1
	;;#ASMSTART
	v_dot2_f32_f16 v8, v0, v18, v8
	;;#ASMEND
	;;#ASMSTART
	v_dot2_f32_f16 v8, v1, v19, v8
	;;#ASMEND
	;;#ASMSTART
	v_dot2_f32_f16 v8, v2, v20, v8
	;;#ASMEND
	;;#ASMSTART
	v_dot2_f32_f16 v8, v3, v21, v8
	;;#ASMEND
	s_wait_dscnt 0x0
	;;#ASMSTART
	v_dot2_f32_f16 v9, v0, v22, v9
	;;#ASMEND
	;;#ASMSTART
	v_dot2_f32_f16 v9, v1, v23, v9
	;;#ASMEND
	;;#ASMSTART
	v_dot2_f32_f16 v9, v2, v24, v9
	;;#ASMEND
	;;#ASMSTART
	v_dot2_f32_f16 v9, v3, v25, v9
	;;#ASMEND
	ds_load_b128 v[0:3], v103 offset:6192
	ds_load_b128 v[10:13], v104 offset:144
	ds_load_b128 v[14:17], v104 offset:336
	ds_load_b128 v[18:21], v104 offset:528
	ds_load_b128 v[22:25], v104 offset:720
	;; [unrolled: 57-line block ×4, first 2 shown]
	s_wait_dscnt 0x3
	;;#ASMSTART
	v_dot2_f32_f16 v6, v0, v10, v6
	;;#ASMEND
	;;#ASMSTART
	v_dot2_f32_f16 v6, v1, v11, v6
	;;#ASMEND
	;;#ASMSTART
	v_dot2_f32_f16 v6, v2, v12, v6
	;;#ASMEND
	;;#ASMSTART
	v_dot2_f32_f16 v6, v3, v13, v6
	;;#ASMEND
	s_wait_dscnt 0x2
	;;#ASMSTART
	v_dot2_f32_f16 v7, v0, v14, v7
	;;#ASMEND
	;;#ASMSTART
	v_dot2_f32_f16 v7, v1, v15, v7
	;;#ASMEND
	;;#ASMSTART
	v_dot2_f32_f16 v7, v2, v16, v7
	;;#ASMEND
	;;#ASMSTART
	v_dot2_f32_f16 v7, v3, v17, v7
	;;#ASMEND
	;; [unrolled: 13-line block ×4, first 2 shown]
	s_clause 0x1
	global_load_u16 v0, v27, s[40:41] scale_offset
	global_load_u16 v1, v26, s[40:41] scale_offset
	v_dual_max_num_f32 v2, v4, v4 :: v_dual_max_num_f32 v3, v5, v5
	v_dual_max_num_f32 v10, v121, v121 :: v_dual_max_num_f32 v11, v122, v122
	s_wait_loadcnt 0x0
	s_barrier_signal -1
	s_barrier_wait -1
	v_cvt_f32_f16_e32 v0, v0
	v_cvt_f32_f16_e32 v1, v1
	v_cndmask_b32_e64 v12, v97, v116, s6
	s_delay_alu instid0(VALU_DEP_3) | instskip(NEXT) | instid1(VALU_DEP_3)
	v_dual_add_f32 v6, v6, v0 :: v_dual_add_f32 v7, v7, v0
	v_dual_add_f32 v8, v8, v1 :: v_dual_add_f32 v9, v9, v1
	s_delay_alu instid0(VALU_DEP_2) | instskip(NEXT) | instid1(VALU_DEP_2)
	v_dual_add_f32 v0, 0x40051340, v6 :: v_dual_lshlrev_b32 v1, 2, v12
	v_dual_add_f32 v12, 0x40051340, v7 :: v_dual_add_f32 v13, 0x40051340, v8
	s_delay_alu instid0(VALU_DEP_3) | instskip(NEXT) | instid1(VALU_DEP_3)
	v_add_f32_e32 v14, 0x40051340, v9
	v_max_num_f32_e32 v0, v2, v0
	s_delay_alu instid0(VALU_DEP_3) | instskip(NEXT) | instid1(VALU_DEP_3)
	v_dual_max_num_f32 v2, v3, v12 :: v_dual_max_num_f32 v3, v10, v13
	v_max_num_f32_e32 v10, v11, v14
	ds_bpermute_b32 v11, v1, v0
	ds_bpermute_b32 v12, v1, v2
	;; [unrolled: 1-line block ×4, first 2 shown]
	s_wait_dscnt 0x3
	v_dual_max_num_f32 v11, v11, v11 :: v_dual_bitop2_b32 v117, 8, v97 bitop3:0x14
	s_delay_alu instid0(VALU_DEP_1) | instskip(SKIP_2) | instid1(VALU_DEP_3)
	v_cmp_gt_i32_e64 s6, 32, v117
	s_wait_dscnt 0x0
	v_dual_max_num_f32 v12, v12, v12 :: v_dual_max_num_f32 v1, v1, v1
	v_dual_max_num_f32 v13, v13, v13 :: v_dual_max_num_f32 v0, v0, v11
	s_delay_alu instid0(VALU_DEP_2) | instskip(SKIP_1) | instid1(VALU_DEP_4)
	v_dual_cndmask_b32 v14, v97, v117, s6 :: v_dual_max_num_f32 v2, v2, v12
	v_cmp_gt_i32_e64 s6, 32, v118
	v_max_num_f32_e32 v1, v10, v1
	s_delay_alu instid0(VALU_DEP_3)
	v_dual_max_num_f32 v3, v3, v13 :: v_dual_lshlrev_b32 v14, 2, v14
	ds_bpermute_b32 v10, v14, v0
	ds_bpermute_b32 v11, v14, v2
	;; [unrolled: 1-line block ×4, first 2 shown]
	s_wait_dscnt 0x3
	v_max_num_f32_e32 v10, v10, v10
	s_wait_dscnt 0x2
	v_dual_cndmask_b32 v14, v97, v118, s6 :: v_dual_max_num_f32 v11, v11, v11
	s_wait_dscnt 0x0
	v_dual_max_num_f32 v12, v12, v12 :: v_dual_max_num_f32 v13, v13, v13
	v_max_num_f32_e32 v0, v0, v10
	s_delay_alu instid0(VALU_DEP_3) | instskip(NEXT) | instid1(VALU_DEP_3)
	v_dual_lshlrev_b32 v14, 2, v14 :: v_dual_max_num_f32 v2, v2, v11
	v_dual_max_num_f32 v3, v3, v12 :: v_dual_max_num_f32 v1, v1, v13
	ds_bpermute_b32 v10, v14, v0
	ds_bpermute_b32 v11, v14, v2
	;; [unrolled: 1-line block ×4, first 2 shown]
	s_wait_dscnt 0x3
	v_dual_max_num_f32 v10, v10, v10 :: v_dual_bitop2_b32 v119, 2, v97 bitop3:0x14
	s_delay_alu instid0(VALU_DEP_1) | instskip(SKIP_2) | instid1(VALU_DEP_3)
	v_cmp_gt_i32_e64 s6, 32, v119
	s_wait_dscnt 0x0
	v_dual_max_num_f32 v12, v12, v12 :: v_dual_max_num_f32 v13, v13, v13
	v_dual_max_num_f32 v11, v11, v11 :: v_dual_max_num_f32 v0, v0, v10
	s_delay_alu instid0(VALU_DEP_2) | instskip(SKIP_1) | instid1(VALU_DEP_2)
	v_dual_cndmask_b32 v14, v97, v119, s6 :: v_dual_max_num_f32 v3, v3, v12
	v_cmp_gt_i32_e64 s6, 32, v120
	v_dual_max_num_f32 v2, v2, v11 :: v_dual_lshlrev_b32 v14, 2, v14
	ds_bpermute_b32 v10, v14, v0
	v_max_num_f32_e32 v1, v1, v13
	ds_bpermute_b32 v11, v14, v2
	ds_bpermute_b32 v12, v14, v3
	s_wait_dscnt 0x2
	v_max_num_f32_e32 v10, v10, v10
	ds_bpermute_b32 v13, v14, v1
	s_wait_dscnt 0x2
	v_dual_cndmask_b32 v14, v97, v120, s6 :: v_dual_max_num_f32 v11, v11, v11
	s_wait_dscnt 0x1
	v_max_num_f32_e32 v12, v12, v12
	v_max_num_f32_e32 v0, v0, v10
	s_delay_alu instid0(VALU_DEP_3) | instskip(SKIP_3) | instid1(VALU_DEP_1)
	v_dual_lshlrev_b32 v14, 2, v14 :: v_dual_max_num_f32 v2, v2, v11
	ds_bpermute_b32 v11, v14, v2
	s_wait_dscnt 0x1
	v_dual_max_num_f32 v13, v13, v13 :: v_dual_max_num_f32 v3, v3, v12
	v_max_num_f32_e32 v10, v1, v13
	ds_bpermute_b32 v1, v14, v0
	ds_bpermute_b32 v12, v14, v3
	;; [unrolled: 1-line block ×3, first 2 shown]
	s_wait_dscnt 0x2
	v_dual_max_num_f32 v11, v11, v11 :: v_dual_max_num_f32 v1, v1, v1
	s_wait_dscnt 0x0
	v_dual_max_num_f32 v12, v12, v12 :: v_dual_max_num_f32 v13, v13, v13
	s_delay_alu instid0(VALU_DEP_2) | instskip(NEXT) | instid1(VALU_DEP_2)
	v_dual_max_num_f32 v0, v0, v1 :: v_dual_max_num_f32 v1, v2, v11
	v_dual_max_num_f32 v2, v3, v12 :: v_dual_max_num_f32 v3, v10, v13
	s_delay_alu instid0(VALU_DEP_2) | instskip(NEXT) | instid1(VALU_DEP_2)
	v_dual_sub_f32 v6, v6, v0 :: v_dual_sub_f32 v7, v7, v1
	v_dual_sub_f32 v8, v8, v2 :: v_dual_sub_f32 v9, v9, v3
	s_delay_alu instid0(VALU_DEP_2) | instskip(NEXT) | instid1(VALU_DEP_2)
	v_dual_mul_f32 v10, 0x3fb8aa3b, v6 :: v_dual_mul_f32 v11, 0x3fb8aa3b, v7
	v_mul_f32_e32 v12, 0x3fb8aa3b, v8
	v_cmp_ngt_f32_e64 s6, 0xc2ce8ed0, v6
	s_delay_alu instid0(VALU_DEP_4) | instskip(NEXT) | instid1(VALU_DEP_4)
	v_mul_f32_e32 v13, 0x3fb8aa3b, v9
	v_fma_f32 v14, 0x3fb8aa3b, v6, -v10
	v_rndne_f32_e32 v15, v10
	v_fma_f32 v16, 0x3fb8aa3b, v7, -v11
	v_rndne_f32_e32 v17, v11
	v_rndne_f32_e32 v19, v12
	v_fma_f32 v20, 0x3fb8aa3b, v9, -v13
	v_rndne_f32_e32 v21, v13
	s_delay_alu instid0(VALU_DEP_4) | instskip(SKIP_4) | instid1(VALU_DEP_4)
	v_dual_fmac_f32 v14, 0x32a5705f, v6 :: v_dual_sub_f32 v11, v11, v17
	v_sub_f32_e32 v10, v10, v15
	v_fma_f32 v18, 0x3fb8aa3b, v8, -v12
	v_fmac_f32_e32 v20, 0x32a5705f, v9
	v_dual_sub_f32 v13, v13, v21 :: v_dual_fmac_f32 v16, 0x32a5705f, v7
	v_dual_sub_f32 v12, v12, v19 :: v_dual_add_f32 v10, v10, v14
	v_cvt_i32_f32_e32 v15, v15
	s_delay_alu instid0(VALU_DEP_3) | instskip(NEXT) | instid1(VALU_DEP_4)
	v_add_f32_e32 v13, v13, v20
	v_add_f32_e32 v11, v11, v16
	v_fmac_f32_e32 v18, 0x32a5705f, v8
	v_exp_f32_e32 v10, v10
	v_cvt_i32_f32_e32 v14, v17
	v_cvt_i32_f32_e32 v16, v19
	v_exp_f32_e32 v11, v11
	v_exp_f32_e32 v13, v13
	v_cvt_i32_f32_e32 v17, v21
	s_delay_alu instid0(TRANS32_DEP_3) | instskip(NEXT) | instid1(TRANS32_DEP_2)
	v_ldexp_f32 v10, v10, v15
	v_ldexp_f32 v11, v11, v14
	s_delay_alu instid0(TRANS32_DEP_1) | instid1(VALU_DEP_3)
	v_ldexp_f32 v13, v13, v17
	s_delay_alu instid0(VALU_DEP_3) | instskip(SKIP_1) | instid1(VALU_DEP_1)
	v_cndmask_b32_e64 v10, 0, v10, s6
	v_cmp_ngt_f32_e64 s6, 0xc2ce8ed0, v7
	v_dual_add_f32 v12, v12, v18 :: v_dual_cndmask_b32 v11, 0, v11, s6
	s_delay_alu instid0(VALU_DEP_1) | instskip(SKIP_1) | instid1(TRANS32_DEP_1)
	v_exp_f32_e32 v12, v12
	v_cmp_ngt_f32_e64 s6, 0xc2ce8ed0, v8
	v_ldexp_f32 v12, v12, v16
	s_delay_alu instid0(VALU_DEP_1) | instskip(SKIP_1) | instid1(VALU_DEP_1)
	v_cndmask_b32_e64 v12, 0, v12, s6
	v_cmp_ngt_f32_e64 s6, 0xc2ce8ed0, v9
	v_cndmask_b32_e64 v13, 0, v13, s6
	v_cmp_nlt_f32_e64 s6, 0x42b17218, v6
	s_delay_alu instid0(VALU_DEP_1) | instskip(SKIP_2) | instid1(VALU_DEP_2)
	v_cndmask_b32_e64 v86, 0x7f800000, v10, s6
	v_cmp_nlt_f32_e64 s6, 0x42b17218, v8
	v_add_nc_u32_e32 v8, v105, v96
	v_cndmask_b32_e64 v88, 0x7f800000, v12, s6
	v_cmp_nlt_f32_e64 s6, 0x42b17218, v9
	s_delay_alu instid0(VALU_DEP_1) | instskip(SKIP_1) | instid1(VALU_DEP_2)
	v_cndmask_b32_e64 v89, 0x7f800000, v13, s6
	v_cmp_nlt_f32_e64 s6, 0x42b17218, v7
	v_cvt_pk_f16_f32 v7, v88, v89
	s_delay_alu instid0(VALU_DEP_2) | instskip(SKIP_1) | instid1(SALU_CYCLE_1)
	v_cndmask_b32_e64 v87, 0x7f800000, v11, s6
	s_mul_u64 s[6:7], s[14:15], s[18:19]
	s_lshl_b64 s[6:7], s[6:7], 2
	s_delay_alu instid0(VALU_DEP_1)
	v_cvt_pk_f16_f32 v6, v86, v87
	s_add_nc_u64 s[6:7], s[30:31], s[6:7]
	ds_store_b64 v8, v[6:7]
	s_wait_xcnt 0x0
	s_and_saveexec_b32 s8, s4
	s_cbranch_execz .LBB37_25
; %bb.24:                               ;   in Loop: Header=BB37_15 Depth=1
	v_lshl_add_u64 v[6:7], v[82:83], 2, s[6:7]
	v_mov_b32_e32 v77, v69
	s_delay_alu instid0(VALU_DEP_1)
	v_add_nc_u64_e32 v[6:7], v[6:7], v[76:77]
	global_load_b128 v[6:9], v[6:7], off offset:128
	s_wait_loadcnt 0x0
	ds_store_b128 v111, v[6:9]
.LBB37_25:                              ;   in Loop: Header=BB37_15 Depth=1
	s_or_b32 exec_lo, exec_lo, s8
	v_lshlrev_b32_e32 v90, 2, v74
	s_and_saveexec_b32 s8, s5
	s_cbranch_execz .LBB37_27
; %bb.26:                               ;   in Loop: Header=BB37_15 Depth=1
	v_lshl_add_u64 v[6:7], v[84:85], 2, s[6:7]
	v_mov_b32_e32 v91, v69
	s_delay_alu instid0(VALU_DEP_1)
	v_add_nc_u64_e32 v[6:7], v[6:7], v[90:91]
	global_load_b128 v[6:9], v[6:7], off
	s_wait_loadcnt 0x0
	ds_store_b128 v110, v[6:9]
.LBB37_27:                              ;   in Loop: Header=BB37_15 Depth=1
	s_or_b32 exec_lo, exec_lo, s8
	v_dual_sub_f32 v128, v121, v2 :: v_dual_add_nc_u32 v125, 0x1800, v96
	v_dual_sub_f32 v121, v122, v3 :: v_dual_add_nc_u32 v124, 0x1c00, v96
	v_add_nc_u32_e32 v123, 0x2000, v96
	v_dual_sub_f32 v127, v4, v0 :: v_dual_sub_f32 v126, v5, v1
	s_wait_dscnt 0x0
	s_barrier_signal -1
	s_barrier_wait -1
	ds_load_2addr_b64 v[32:35], v125 offset1:24
	ds_load_b128 v[64:67], v105
	ds_load_b128 v[60:63], v105 offset:16
	ds_load_b128 v[56:59], v105 offset:32
	;; [unrolled: 1-line block ×3, first 2 shown]
	ds_load_2addr_b64 v[28:31], v125 offset0:48 offset1:72
	ds_load_2addr_b64 v[24:27], v125 offset0:96 offset1:120
	;; [unrolled: 1-line block ×5, first 2 shown]
	ds_load_b128 v[48:51], v105 offset:64
	ds_load_b128 v[44:47], v105 offset:80
	ds_load_2addr_b64 v[8:11], v123 offset0:32 offset1:56
	ds_load_2addr_b64 v[4:7], v123 offset0:80 offset1:104
	ds_load_b128 v[40:43], v105 offset:96
	ds_load_b128 v[36:39], v105 offset:112
	s_or_b32 s44, s14, 16
	v_cmp_ngt_f32_e64 s10, 0xc2ce8ed0, v127
	s_ashr_i32 s45, s44, 31
	v_cmp_nlt_f32_e64 s6, 0x42b17218, v127
	s_mul_u64 s[44:45], s[44:45], s[18:19]
	v_cmp_ngt_f32_e64 s12, 0xc2ce8ed0, v126
	v_cmp_nlt_f32_e64 s7, 0x42b17218, v126
	v_cmp_ngt_f32_e64 s13, 0xc2ce8ed0, v128
	v_cmp_nlt_f32_e64 s8, 0x42b17218, v128
	v_cmp_ngt_f32_e64 s11, 0xc2ce8ed0, v121
	v_cmp_nlt_f32_e64 s9, 0x42b17218, v121
	s_lshl_b64 s[44:45], s[44:45], 2
	s_wait_dscnt 0x0
	s_add_nc_u64 s[44:45], s[30:31], s[44:45]
	s_barrier_signal -1
	s_barrier_wait -1
	s_and_saveexec_b32 s15, s4
	s_cbranch_execz .LBB37_29
; %bb.28:                               ;   in Loop: Header=BB37_15 Depth=1
	v_lshl_add_u64 v[130:131], v[82:83], 2, s[44:45]
	v_mov_b32_e32 v77, v69
	s_delay_alu instid0(VALU_DEP_1)
	v_add_nc_u64_e32 v[130:131], v[130:131], v[76:77]
	global_load_b128 v[130:133], v[130:131], off offset:128
	s_wait_loadcnt 0x0
	ds_store_b128 v111, v[130:133]
.LBB37_29:                              ;   in Loop: Header=BB37_15 Depth=1
	s_or_b32 exec_lo, exec_lo, s15
	s_and_saveexec_b32 s15, s5
	s_cbranch_execz .LBB37_31
; %bb.30:                               ;   in Loop: Header=BB37_15 Depth=1
	v_lshl_add_u64 v[130:131], v[84:85], 2, s[44:45]
	v_mov_b32_e32 v91, v69
	s_delay_alu instid0(VALU_DEP_1)
	v_add_nc_u64_e32 v[90:91], v[130:131], v[90:91]
	global_load_b128 v[130:133], v[90:91], off
	s_wait_loadcnt 0x0
	ds_store_b128 v110, v[130:133]
.LBB37_31:                              ;   in Loop: Header=BB37_15 Depth=1
	s_or_b32 exec_lo, exec_lo, s15
	v_dual_mul_f32 v77, 0x3fb8aa3b, v127 :: v_dual_mul_f32 v90, 0x3fb8aa3b, v126
	v_dual_mul_f32 v91, 0x3fb8aa3b, v128 :: v_dual_mul_f32 v122, 0x3fb8aa3b, v121
	v_and_b32_e32 v135, 0xffff, v62
	s_delay_alu instid0(VALU_DEP_3)
	v_fma_f32 v129, 0x3fb8aa3b, v127, -v77
	v_rndne_f32_e32 v130, v77
	v_fma_f32 v131, 0x3fb8aa3b, v126, -v90
	v_rndne_f32_e32 v132, v90
	v_fma_f32 v134, 0x3fb8aa3b, v121, -v122
	v_fmac_f32_e32 v129, 0x32a5705f, v127
	v_rndne_f32_e32 v127, v91
	v_sub_f32_e32 v77, v77, v130
	v_fma_f32 v133, 0x3fb8aa3b, v128, -v91
	v_dual_fmac_f32 v131, 0x32a5705f, v126 :: v_dual_fmac_f32 v134, 0x32a5705f, v121
	s_delay_alu instid0(VALU_DEP_4) | instskip(NEXT) | instid1(VALU_DEP_4)
	v_dual_sub_f32 v90, v90, v132 :: v_dual_sub_f32 v91, v91, v127
	v_add_f32_e32 v77, v77, v129
	v_rndne_f32_e32 v126, v122
	s_delay_alu instid0(VALU_DEP_3) | instskip(SKIP_1) | instid1(VALU_DEP_4)
	v_dual_fmac_f32 v133, 0x32a5705f, v128 :: v_dual_add_f32 v90, v90, v131
	v_and_b32_e32 v131, 0xffff, v66
	v_exp_f32_e32 v77, v77
	v_lshrrev_b32_e32 v66, 16, v66
	s_delay_alu instid0(VALU_DEP_3)
	v_dual_sub_f32 v121, v122, v126 :: v_dual_add_f32 v91, v91, v133
	v_cvt_i32_f32_e32 v122, v130
	v_exp_f32_e32 v90, v90
	v_cvt_i32_f32_e32 v128, v132
	v_cvt_i32_f32_e32 v127, v127
	v_exp_f32_e32 v91, v91
	v_ldexp_f32 v77, v77, v122
	v_add_f32_e32 v121, v121, v134
	v_cvt_i32_f32_e32 v122, v126
	v_ldexp_f32 v90, v90, v128
	v_and_b32_e32 v129, 0xffff, v64
	v_cndmask_b32_e64 v77, 0, v77, s10
	v_exp_f32_e32 v121, v121
	v_ldexp_f32 v91, v91, v127
	v_cndmask_b32_e64 v126, 0, v90, s12
	v_and_b32_e32 v130, 0xffff, v65
	v_cndmask_b32_e64 v90, 0x7f800000, v77, s6
	v_dual_lshrrev_b32 v65, 16, v65 :: v_dual_lshrrev_b32 v64, 16, v64
	s_delay_alu instid0(TRANS32_DEP_1)
	v_ldexp_f32 v121, v121, v122
	v_cndmask_b32_e64 v122, 0, v91, s13
	v_cndmask_b32_e64 v91, 0x7f800000, v126, s7
	v_mul_u32_u24_e32 v129, 0x10001, v129
	v_mul_u32_u24_e32 v64, 0x10001, v64
	v_cndmask_b32_e64 v77, 0, v121, s11
	v_cndmask_b32_e64 v126, 0x7f800000, v122, s8
	v_cvt_f16_f32_e32 v121, v90
	v_cvt_f16_f32_e32 v122, v91
	v_mul_u32_u24_e32 v130, 0x10001, v130
	v_cndmask_b32_e64 v127, 0x7f800000, v77, s9
	v_cvt_f16_f32_e32 v77, v126
	v_and_b32_e32 v121, 0xffff, v121
	v_and_b32_e32 v122, 0xffff, v122
	;; [unrolled: 1-line block ×3, first 2 shown]
	v_cvt_f16_f32_e64 v128, v127
	v_and_b32_e32 v77, 0xffff, v77
	v_mul_u32_u24_e32 v121, 0x10001, v121
	v_mul_u32_u24_e32 v122, 0x10001, v122
	v_lshrrev_b32_e32 v67, 16, v67
	v_and_b32_e32 v128, 0xffff, v128
	v_mul_u32_u24_e32 v77, 0x10001, v77
	v_mul_u32_u24_e32 v65, 0x10001, v65
	v_pk_mul_f16 v115, v115, v121
	v_pk_mul_f16 v107, v107, v122
	v_mul_u32_u24_e32 v128, 0x10001, v128
	v_pk_mul_f16 v102, v102, v77
	v_pk_mul_f16 v161, v32, v129
	;; [unrolled: 1-line block ×6, first 2 shown]
	v_mul_u32_u24_e32 v131, 0x10001, v131
	v_mul_u32_u24_e32 v66, 0x10001, v66
	;; [unrolled: 1-line block ×3, first 2 shown]
	v_and_b32_e32 v133, 0xffff, v60
	v_lshrrev_b32_e32 v60, 16, v60
	v_and_b32_e32 v134, 0xffff, v61
	v_mul_u32_u24_e32 v67, 0x10001, v67
	v_lshrrev_b32_e32 v61, 16, v61
	v_pk_fma_f16 v112, v112, v121, v161
	v_pk_fma_f16 v106, v106, v122, v162
	;; [unrolled: 1-line block ×8, first 2 shown]
	v_mul_u32_u24_e32 v133, 0x10001, v133
	v_mul_u32_u24_e32 v60, 0x10001, v60
	;; [unrolled: 1-line block ×3, first 2 shown]
	v_lshrrev_b32_e32 v62, 16, v62
	v_and_b32_e32 v136, 0xffff, v63
	v_mul_u32_u24_e32 v61, 0x10001, v61
	v_lshrrev_b32_e32 v63, 16, v63
	v_pk_fma_f16 v65, v34, v131, v112
	v_pk_fma_f16 v100, v34, v66, v106
	v_pk_fma_f16 v77, v34, v132, v77
	v_pk_fma_f16 v32, v34, v67, v32
	v_pk_fma_f16 v34, v35, v131, v99
	v_pk_fma_f16 v64, v35, v66, v64
	v_pk_fma_f16 v66, v35, v132, v101
	v_pk_fma_f16 v33, v35, v67, v33
	v_mul_u32_u24_e32 v135, 0x10001, v135
	v_mul_u32_u24_e32 v62, 0x10001, v62
	v_mul_u32_u24_e32 v136, 0x10001, v136
	v_and_b32_e32 v137, 0xffff, v56
	v_lshrrev_b32_e32 v56, 16, v56
	v_and_b32_e32 v138, 0xffff, v57
	v_mul_u32_u24_e32 v63, 0x10001, v63
	v_lshrrev_b32_e32 v57, 16, v57
	v_pk_fma_f16 v35, v28, v133, v65
	v_pk_fma_f16 v65, v28, v60, v100
	v_pk_fma_f16 v67, v28, v134, v77
	v_pk_fma_f16 v28, v28, v61, v32
	v_pk_fma_f16 v32, v29, v133, v34
	v_pk_fma_f16 v34, v29, v60, v64
	v_pk_fma_f16 v60, v29, v134, v66
	v_pk_fma_f16 v29, v29, v61, v33
	v_mul_u32_u24_e32 v137, 0x10001, v137
	v_mul_u32_u24_e32 v56, 0x10001, v56
	v_mul_u32_u24_e32 v138, 0x10001, v138
	v_and_b32_e32 v139, 0xffff, v58
	;; [unrolled: 16-line block ×11, first 2 shown]
	v_lshrrev_b32_e32 v36, 16, v36
	v_mul_u32_u24_e32 v43, 0x10001, v43
	v_pk_fma_f16 v15, v8, v153, v17
	v_pk_fma_f16 v17, v8, v40, v19
	;; [unrolled: 1-line block ×8, first 2 shown]
	v_and_b32_e32 v158, 0xffff, v37
	v_lshrrev_b32_e32 v37, 16, v37
	v_mul_u32_u24_e32 v157, 0x10001, v157
	v_mul_u32_u24_e32 v36, 0x10001, v36
	v_and_b32_e32 v159, 0xffff, v38
	v_lshrrev_b32_e32 v38, 16, v38
	v_pk_fma_f16 v13, v10, v155, v15
	v_pk_fma_f16 v15, v10, v42, v17
	;; [unrolled: 1-line block ×8, first 2 shown]
	s_wait_dscnt 0x0
	s_barrier_signal -1
	s_barrier_wait -1
	ds_load_b128 v[8:11], v105 offset:128
	v_mul_u32_u24_e32 v158, 0x10001, v158
	v_and_b32_e32 v160, 0xffff, v39
	v_lshrrev_b32_e32 v39, 16, v39
	v_mul_u32_u24_e32 v37, 0x10001, v37
	v_mul_u32_u24_e32 v159, 0x10001, v159
	;; [unrolled: 1-line block ×3, first 2 shown]
	v_pk_fma_f16 v13, v4, v157, v13
	v_pk_fma_f16 v15, v4, v36, v15
	;; [unrolled: 1-line block ×8, first 2 shown]
	ds_load_2addr_b64 v[12:15], v125 offset1:24
	v_mul_u32_u24_e32 v160, 0x10001, v160
	v_mul_u32_u24_e32 v39, 0x10001, v39
	v_pk_fma_f16 v16, v5, v158, v16
	v_pk_fma_f16 v5, v5, v37, v19
	;; [unrolled: 1-line block ×8, first 2 shown]
	ds_load_b128 v[4:7], v105 offset:144
	s_wait_dscnt 0x2
	v_and_b32_e32 v16, 0xffff, v8
	v_lshrrev_b32_e32 v8, 16, v8
	v_and_b32_e32 v17, 0xffff, v9
	v_lshrrev_b32_e32 v9, 16, v9
	v_pk_fma_f32 v[70:71], v[70:71], v[126:127], v[88:89]
	v_mul_u32_u24_e32 v32, 0x10001, v16
	v_mul_u32_u24_e32 v8, 0x10001, v8
	;; [unrolled: 1-line block ×4, first 2 shown]
	v_lshrrev_b32_e32 v9, 16, v10
	s_wait_dscnt 0x1
	v_pk_fma_f16 v24, v12, v32, v24
	v_pk_fma_f16 v25, v12, v8, v25
	;; [unrolled: 1-line block ×6, first 2 shown]
	v_and_b32_e32 v8, 0xffff, v10
	ds_load_b128 v[16:19], v105 offset:160
	ds_load_b128 v[20:23], v105 offset:176
	v_pk_fma_f16 v29, v13, v33, v30
	v_and_b32_e32 v30, 0xffff, v11
	v_lshrrev_b32_e32 v32, 16, v11
	v_mul_u32_u24_e32 v33, 0x10001, v8
	v_mul_u32_u24_e32 v35, 0x10001, v9
	ds_load_2addr_b64 v[8:11], v125 offset0:48 offset1:72
	v_mul_u32_u24_e32 v30, 0x10001, v30
	v_mul_u32_u24_e32 v32, 0x10001, v32
	v_pk_fma_f16 v13, v13, v34, v31
	v_pk_fma_f16 v24, v14, v33, v24
	;; [unrolled: 1-line block ×7, first 2 shown]
	s_wait_dscnt 0x3
	v_and_b32_e32 v28, 0xffff, v4
	v_lshrrev_b32_e32 v4, 16, v4
	v_and_b32_e32 v31, 0xffff, v5
	v_lshrrev_b32_e32 v5, 16, v5
	v_pk_fma_f16 v29, v15, v30, v29
	v_mul_u32_u24_e32 v28, 0x10001, v28
	v_mul_u32_u24_e32 v4, 0x10001, v4
	;; [unrolled: 1-line block ×4, first 2 shown]
	v_pk_fma_f16 v13, v15, v32, v13
	s_wait_dscnt 0x0
	v_pk_fma_f16 v15, v8, v28, v24
	v_pk_fma_f16 v24, v8, v4, v25
	;; [unrolled: 1-line block ×6, first 2 shown]
	v_and_b32_e32 v4, 0xffff, v6
	v_dual_lshrrev_b32 v5, 16, v6 :: v_dual_lshrrev_b32 v28, 16, v7
	v_pk_fma_f16 v26, v9, v30, v29
	v_and_b32_e32 v27, 0xffff, v7
	s_delay_alu instid0(VALU_DEP_4) | instskip(NEXT) | instid1(VALU_DEP_4)
	v_mul_u32_u24_e32 v29, 0x10001, v4
	v_mul_u32_u24_e32 v30, 0x10001, v5
	ds_load_2addr_b64 v[4:7], v125 offset0:96 offset1:120
	v_mul_u32_u24_e32 v28, 0x10001, v28
	v_mul_u32_u24_e32 v27, 0x10001, v27
	v_pk_fma_f16 v9, v9, v31, v13
	v_pk_fma_f16 v13, v10, v29, v15
	;; [unrolled: 1-line block ×7, first 2 shown]
	v_and_b32_e32 v14, 0xffff, v16
	v_lshrrev_b32_e32 v16, 16, v16
	v_and_b32_e32 v25, 0xffff, v17
	v_lshrrev_b32_e32 v17, 16, v17
	v_pk_fma_f16 v26, v11, v27, v26
	v_mul_u32_u24_e32 v14, 0x10001, v14
	v_mul_u32_u24_e32 v16, 0x10001, v16
	;; [unrolled: 1-line block ×4, first 2 shown]
	v_pk_fma_f16 v27, v11, v28, v9
	s_wait_dscnt 0x0
	v_pk_fma_f16 v13, v4, v14, v13
	v_pk_fma_f16 v15, v4, v16, v15
	;; [unrolled: 1-line block ×4, first 2 shown]
	v_and_b32_e32 v8, 0xffff, v18
	v_lshrrev_b32_e32 v9, 16, v18
	v_pk_fma_f16 v14, v5, v14, v10
	v_pk_fma_f16 v12, v5, v16, v12
	;; [unrolled: 1-line block ×3, first 2 shown]
	v_and_b32_e32 v18, 0xffff, v19
	v_lshrrev_b32_e32 v19, 16, v19
	v_mul_u32_u24_e32 v25, 0x10001, v8
	v_mul_u32_u24_e32 v26, 0x10001, v9
	ds_load_2addr_b64 v[8:11], v125 offset0:144 offset1:168
	v_mul_u32_u24_e32 v18, 0x10001, v18
	v_mul_u32_u24_e32 v19, 0x10001, v19
	v_pk_fma_f16 v5, v5, v17, v27
	v_pk_fma_f16 v13, v6, v25, v13
	;; [unrolled: 1-line block ×6, first 2 shown]
	v_and_b32_e32 v14, 0xffff, v20
	v_lshrrev_b32_e32 v20, 16, v20
	v_and_b32_e32 v24, 0xffff, v21
	v_lshrrev_b32_e32 v21, 16, v21
	v_pk_fma_f16 v16, v7, v18, v16
	v_mul_u32_u24_e32 v14, 0x10001, v14
	v_mul_u32_u24_e32 v18, 0x10001, v20
	;; [unrolled: 1-line block ×4, first 2 shown]
	v_pk_fma_f16 v12, v7, v26, v12
	v_pk_fma_f16 v19, v7, v19, v5
	s_wait_dscnt 0x0
	v_pk_fma_f16 v24, v8, v14, v13
	v_pk_fma_f16 v25, v8, v18, v15
	;; [unrolled: 1-line block ×5, first 2 shown]
	ds_load_b128 v[4:7], v105 offset:192
	v_pk_fma_f16 v18, v9, v18, v12
	v_and_b32_e32 v12, 0xffff, v22
	v_lshrrev_b32_e32 v13, 16, v22
	v_and_b32_e32 v14, 0xffff, v23
	v_pk_fma_f16 v20, v9, v20, v16
	v_lshrrev_b32_e32 v16, 16, v23
	v_mul_u32_u24_e32 v22, 0x10001, v12
	v_mul_u32_u24_e32 v23, 0x10001, v13
	;; [unrolled: 1-line block ×3, first 2 shown]
	ds_load_2addr_b64 v[12:15], v125 offset0:192 offset1:216
	v_mul_u32_u24_e32 v28, 0x10001, v16
	v_pk_fma_f16 v9, v9, v21, v19
	v_pk_fma_f16 v21, v10, v22, v24
	;; [unrolled: 1-line block ×7, first 2 shown]
	ds_load_b128 v[16:19], v105 offset:208
	s_wait_dscnt 0x2
	v_and_b32_e32 v23, 0xffff, v4
	v_lshrrev_b32_e32 v4, 16, v4
	v_and_b32_e32 v26, 0xffff, v5
	v_lshrrev_b32_e32 v5, 16, v5
	v_pk_fma_f16 v20, v11, v27, v20
	v_mul_u32_u24_e32 v23, 0x10001, v23
	v_mul_u32_u24_e32 v4, 0x10001, v4
	;; [unrolled: 1-line block ×4, first 2 shown]
	v_pk_fma_f16 v9, v11, v28, v9
	s_wait_dscnt 0x1
	v_pk_fma_f16 v11, v12, v23, v21
	v_pk_fma_f16 v21, v12, v4, v24
	;; [unrolled: 1-line block ×5, first 2 shown]
	v_and_b32_e32 v4, 0xffff, v6
	v_lshrrev_b32_e32 v5, 16, v6
	v_pk_fma_f16 v10, v13, v23, v10
	v_pk_fma_f16 v20, v13, v26, v20
	v_and_b32_e32 v22, 0xffff, v7
	v_lshrrev_b32_e32 v23, 16, v7
	v_mul_u32_u24_e32 v25, 0x10001, v4
	v_mul_u32_u24_e32 v26, 0x10001, v5
	ds_load_2addr_b64 v[4:7], v124 offset0:112 offset1:136
	v_mul_u32_u24_e32 v22, 0x10001, v22
	v_mul_u32_u24_e32 v23, 0x10001, v23
	v_pk_fma_f16 v9, v13, v27, v9
	v_pk_fma_f16 v11, v14, v25, v11
	;; [unrolled: 1-line block ×5, first 2 shown]
	s_wait_dscnt 0x1
	v_and_b32_e32 v14, 0xffff, v16
	v_lshrrev_b32_e32 v16, 16, v16
	v_and_b32_e32 v24, 0xffff, v17
	v_lshrrev_b32_e32 v17, 16, v17
	v_pk_fma_f16 v10, v15, v25, v10
	v_pk_fma_f16 v20, v15, v22, v20
	v_mul_u32_u24_e32 v14, 0x10001, v14
	v_mul_u32_u24_e32 v16, 0x10001, v16
	v_mul_u32_u24_e32 v22, 0x10001, v24
	v_mul_u32_u24_e32 v17, 0x10001, v17
	v_pk_fma_f16 v12, v15, v26, v12
	v_pk_fma_f16 v23, v15, v23, v9
	s_wait_dscnt 0x0
	v_pk_fma_f16 v24, v4, v14, v11
	v_pk_fma_f16 v25, v4, v16, v13
	;; [unrolled: 1-line block ×5, first 2 shown]
	ds_load_b128 v[8:11], v105 offset:224
	v_pk_fma_f16 v16, v5, v16, v12
	v_and_b32_e32 v12, 0xffff, v18
	v_dual_lshrrev_b32 v13, 16, v18 :: v_dual_lshrrev_b32 v18, 16, v19
	v_and_b32_e32 v14, 0xffff, v19
	v_pk_fma_f16 v20, v5, v22, v20
	s_delay_alu instid0(VALU_DEP_4) | instskip(NEXT) | instid1(VALU_DEP_4)
	v_mul_u32_u24_e32 v19, 0x10001, v12
	v_mul_u32_u24_e32 v22, 0x10001, v13
	;; [unrolled: 1-line block ×4, first 2 shown]
	ds_load_2addr_b64 v[12:15], v123 offset0:32 offset1:56
	v_pk_fma_f16 v5, v5, v17, v23
	v_pk_fma_f16 v23, v6, v19, v24
	;; [unrolled: 1-line block ×7, first 2 shown]
	ds_load_b128 v[16:19], v105 offset:240
	s_wait_dscnt 0x2
	v_and_b32_e32 v25, 0xffff, v8
	v_lshrrev_b32_e32 v8, 16, v8
	v_and_b32_e32 v26, 0xffff, v9
	v_lshrrev_b32_e32 v9, 16, v9
	v_pk_fma_f16 v20, v7, v27, v20
	v_mul_u32_u24_e32 v25, 0x10001, v25
	v_mul_u32_u24_e32 v8, 0x10001, v8
	;; [unrolled: 1-line block ×4, first 2 shown]
	v_pk_fma_f16 v27, v7, v28, v5
	v_lshrrev_b32_e32 v5, 16, v10
	s_wait_dscnt 0x1
	v_pk_fma_f16 v23, v12, v25, v23
	v_pk_fma_f16 v24, v12, v8, v24
	;; [unrolled: 1-line block ×4, first 2 shown]
	v_and_b32_e32 v4, 0xffff, v10
	v_pk_fma_f16 v25, v13, v25, v6
	v_pk_fma_f16 v8, v13, v8, v22
	;; [unrolled: 1-line block ×3, first 2 shown]
	v_and_b32_e32 v20, 0xffff, v11
	v_lshrrev_b32_e32 v11, 16, v11
	v_mul_u32_u24_e32 v22, 0x10001, v4
	v_mul_u32_u24_e32 v26, 0x10001, v5
	ds_load_2addr_b64 v[4:7], v123 offset0:80 offset1:104
	v_mul_u32_u24_e32 v20, 0x10001, v20
	v_mul_u32_u24_e32 v11, 0x10001, v11
	s_wait_dscnt 0x0
	s_barrier_signal -1
	s_barrier_wait -1
	s_load_b32 s6, s[42:43], 0x4
	v_pk_fma_f16 v9, v13, v9, v27
	v_pk_fma_f16 v13, v14, v22, v23
	;; [unrolled: 1-line block ×6, first 2 shown]
	v_and_b32_e32 v22, 0xffff, v16
	v_lshrrev_b32_e32 v16, 16, v16
	v_and_b32_e32 v24, 0xffff, v17
	v_lshrrev_b32_e32 v17, 16, v17
	v_pk_fma_f16 v8, v15, v26, v8
	v_pk_fma_f16 v10, v15, v20, v10
	v_mul_u32_u24_e32 v20, 0x10001, v22
	v_mul_u32_u24_e32 v16, 0x10001, v16
	;; [unrolled: 1-line block ×4, first 2 shown]
	v_pk_fma_f16 v9, v15, v11, v9
	v_pk_fma_f16 v11, v4, v20, v13
	;; [unrolled: 1-line block ×7, first 2 shown]
	v_and_b32_e32 v14, 0xffff, v18
	v_lshrrev_b32_e32 v16, 16, v18
	v_and_b32_e32 v18, 0xffff, v19
	v_lshrrev_b32_e32 v19, 16, v19
	v_pk_fma_f16 v10, v5, v22, v10
	v_mul_u32_u24_e32 v14, 0x10001, v14
	v_mul_u32_u24_e32 v16, 0x10001, v16
	;; [unrolled: 1-line block ×4, first 2 shown]
	v_pk_fma_f16 v5, v5, v17, v9
	s_wait_kmcnt 0x0
	s_lshl_b32 s6, s6, 5
	v_pk_fma_f32 v[72:73], v[72:73], v[90:91], v[86:87]
	v_pk_fma_f16 v112, v6, v14, v11
	v_pk_fma_f16 v106, v6, v16, v13
	;; [unrolled: 1-line block ×8, first 2 shown]
	s_add_co_i32 s14, s6, s14
	s_delay_alu instid0(SALU_CYCLE_1)
	s_cmp_ge_i32 s14, s38
	s_cbranch_scc1 .LBB37_33
; %bb.32:                               ;   in Loop: Header=BB37_15 Depth=1
	v_dual_mov_b32 v4, v0 :: v_dual_mov_b32 v5, v1
	v_dual_mov_b32 v121, v2 :: v_dual_mov_b32 v122, v3
	s_branch .LBB37_15
.LBB37_33:
	v_mov_b32_e32 v4, v97
.LBB37_34:
	v_cmp_lt_i32_e32 vcc_lo, v116, v98
	s_cmp_lg_u64 s[16:17], 0
	s_cselect_b32 s3, -1, 0
	s_cmp_eq_u32 s39, 0
	v_cndmask_b32_e32 v5, v4, v116, vcc_lo
	v_cmp_lt_i32_e32 vcc_lo, v117, v98
	s_cselect_b32 s4, -1, 0
	s_delay_alu instid0(SALU_CYCLE_1) | instskip(NEXT) | instid1(VALU_DEP_2)
	s_and_b32 s3, s4, s3
	v_lshlrev_b32_e32 v5, 2, v5
	ds_bpermute_b32 v6, v5, v72
	ds_bpermute_b32 v7, v5, v73
	;; [unrolled: 1-line block ×4, first 2 shown]
	v_cndmask_b32_e32 v5, v4, v117, vcc_lo
	v_cmp_lt_i32_e32 vcc_lo, v118, v98
	s_delay_alu instid0(VALU_DEP_2)
	v_lshlrev_b32_e32 v5, 2, v5
	s_wait_dscnt 0x2
	v_pk_add_f32 v[6:7], v[72:73], v[6:7]
	s_wait_dscnt 0x0
	v_pk_add_f32 v[8:9], v[70:71], v[8:9]
	ds_bpermute_b32 v10, v5, v6
	ds_bpermute_b32 v11, v5, v7
	;; [unrolled: 1-line block ×4, first 2 shown]
	v_cndmask_b32_e32 v5, v4, v118, vcc_lo
	v_cmp_lt_i32_e32 vcc_lo, v119, v98
	s_delay_alu instid0(VALU_DEP_2)
	v_lshlrev_b32_e32 v5, 2, v5
	s_wait_dscnt 0x2
	v_pk_add_f32 v[6:7], v[6:7], v[10:11]
	s_wait_dscnt 0x0
	v_pk_add_f32 v[8:9], v[8:9], v[12:13]
	ds_bpermute_b32 v10, v5, v6
	ds_bpermute_b32 v11, v5, v7
	;; [unrolled: 1-line block ×4, first 2 shown]
	v_cndmask_b32_e32 v5, v4, v119, vcc_lo
	v_cmp_lt_i32_e32 vcc_lo, v120, v98
	s_delay_alu instid0(VALU_DEP_2) | instskip(SKIP_1) | instid1(VALU_DEP_1)
	v_dual_cndmask_b32 v4, v4, v120 :: v_dual_lshlrev_b32 v5, 2, v5
	s_and_b32 vcc_lo, exec_lo, s3
	v_lshlrev_b32_e32 v14, 2, v4
	s_wait_dscnt 0x2
	v_pk_add_f32 v[6:7], v[6:7], v[10:11]
	s_wait_dscnt 0x0
	v_pk_add_f32 v[8:9], v[8:9], v[12:13]
	ds_bpermute_b32 v10, v5, v6
	ds_bpermute_b32 v11, v5, v7
	;; [unrolled: 1-line block ×4, first 2 shown]
	s_wait_dscnt 0x2
	v_pk_add_f32 v[4:5], v[6:7], v[10:11]
	s_wait_dscnt 0x0
	v_pk_add_f32 v[8:9], v[8:9], v[12:13]
	ds_bpermute_b32 v6, v14, v4
	ds_bpermute_b32 v7, v14, v5
	;; [unrolled: 1-line block ×4, first 2 shown]
	s_wait_dscnt 0x2
	v_pk_add_f32 v[6:7], v[4:5], v[6:7]
	s_wait_dscnt 0x0
	v_pk_add_f32 v[4:5], v[8:9], v[10:11]
	s_cbranch_vccz .LBB37_36
; %bb.35:
	s_ashr_i32 s35, s34, 31
	v_mov_b32_e32 v8, 0
	s_lshl_b64 s[4:5], s[34:35], 2
	v_max_num_f32_e32 v9, v1, v1
	s_add_nc_u64 s[4:5], s[16:17], s[4:5]
	v_max_num_f32_e32 v14, v2, v2
	global_load_b64 v[12:13], v8, s[4:5]
	s_wait_xcnt 0x0
	v_max_num_f32_e32 v8, v0, v0
	s_wait_loadcnt 0x0
	v_dual_max_num_f32 v10, v12, v12 :: v_dual_max_num_f32 v11, v13, v13
	s_delay_alu instid0(VALU_DEP_1) | instskip(NEXT) | instid1(VALU_DEP_2)
	v_dual_max_num_f32 v15, v3, v3 :: v_dual_max_num_f32 v8, v8, v10
	v_dual_max_num_f32 v9, v9, v11 :: v_dual_max_num_f32 v10, v14, v10
	s_delay_alu instid0(VALU_DEP_2) | instskip(NEXT) | instid1(VALU_DEP_2)
	v_dual_max_num_f32 v11, v15, v11 :: v_dual_sub_f32 v0, v0, v8
	v_dual_sub_f32 v14, v12, v8 :: v_dual_sub_f32 v1, v1, v9
	s_delay_alu instid0(VALU_DEP_3) | instskip(NEXT) | instid1(VALU_DEP_3)
	v_dual_sub_f32 v15, v13, v9 :: v_dual_sub_f32 v16, v2, v10
	v_dual_sub_f32 v19, v13, v11 :: v_dual_mul_f32 v2, 0x3fb8aa3b, v0
	v_dual_sub_f32 v17, v12, v10 :: v_dual_sub_f32 v18, v3, v11
	s_delay_alu instid0(VALU_DEP_4) | instskip(NEXT) | instid1(VALU_DEP_4)
	v_dual_mul_f32 v3, 0x3fb8aa3b, v14 :: v_dual_mul_f32 v12, 0x3fb8aa3b, v1
	v_dual_mul_f32 v13, 0x3fb8aa3b, v15 :: v_dual_mul_f32 v20, 0x3fb8aa3b, v16
	s_delay_alu instid0(VALU_DEP_4)
	v_fma_f32 v24, 0x3fb8aa3b, v0, -v2
	v_rndne_f32_e32 v25, v2
	v_mul_f32_e32 v23, 0x3fb8aa3b, v19
	v_fma_f32 v26, 0x3fb8aa3b, v14, -v3
	v_rndne_f32_e32 v27, v3
	v_rndne_f32_e32 v33, v20
	v_fmac_f32_e32 v24, 0x32a5705f, v0
	v_sub_f32_e32 v2, v2, v25
	v_dual_mul_f32 v21, 0x3fb8aa3b, v17 :: v_dual_mul_f32 v22, 0x3fb8aa3b, v18
	v_fma_f32 v28, 0x3fb8aa3b, v1, -v12
	v_rndne_f32_e32 v29, v12
	v_fma_f32 v30, 0x3fb8aa3b, v15, -v13
	v_rndne_f32_e32 v31, v13
	v_fma_f32 v32, 0x3fb8aa3b, v16, -v20
	v_dual_fmac_f32 v26, 0x32a5705f, v14 :: v_dual_sub_f32 v3, v3, v27
	v_dual_sub_f32 v20, v20, v33 :: v_dual_add_f32 v2, v2, v24
	v_fma_f32 v34, 0x3fb8aa3b, v17, -v21
	v_rndne_f32_e32 v35, v21
	v_rndne_f32_e32 v37, v22
	v_fma_f32 v38, 0x3fb8aa3b, v19, -v23
	v_rndne_f32_e32 v39, v23
	s_delay_alu instid0(VALU_DEP_4)
	v_dual_fmac_f32 v28, 0x32a5705f, v1 :: v_dual_sub_f32 v21, v21, v35
	v_dual_sub_f32 v12, v12, v29 :: v_dual_sub_f32 v13, v13, v31
	v_dual_fmac_f32 v30, 0x32a5705f, v15 :: v_dual_add_f32 v3, v3, v26
	v_exp_f32_e32 v2, v2
	v_cvt_i32_f32_e32 v25, v25
	v_fma_f32 v36, 0x3fb8aa3b, v18, -v22
	v_fmac_f32_e32 v38, 0x32a5705f, v19
	v_dual_sub_f32 v23, v23, v39 :: v_dual_fmac_f32 v34, 0x32a5705f, v17
	v_dual_sub_f32 v22, v22, v37 :: v_dual_add_f32 v12, v12, v28
	v_exp_f32_e32 v3, v3
	v_cvt_i32_f32_e32 v27, v27
	v_dual_fmac_f32 v32, 0x32a5705f, v16 :: v_dual_add_f32 v13, v13, v30
	v_ldexp_f32 v2, v2, v25
	v_cmp_ngt_f32_e32 vcc_lo, 0xc2ce8ed0, v0
	v_add_f32_e32 v23, v23, v38
	v_add_f32_e32 v21, v21, v34
	v_exp_f32_e32 v12, v12
	v_cvt_i32_f32_e32 v29, v29
	v_dual_add_f32 v20, v20, v32 :: v_dual_cndmask_b32 v2, 0, v2, vcc_lo
	v_ldexp_f32 v3, v3, v27
	v_cmp_ngt_f32_e32 vcc_lo, 0xc2ce8ed0, v14
	v_exp_f32_e32 v13, v13
	v_exp_f32_e32 v21, v21
	v_cvt_i32_f32_e32 v31, v31
	v_cvt_i32_f32_e32 v35, v35
	v_dual_fmac_f32 v36, 0x32a5705f, v18 :: v_dual_cndmask_b32 v3, 0, v3
	v_ldexp_f32 v12, v12, v29
	v_cmp_ngt_f32_e32 vcc_lo, 0xc2ce8ed0, v1
	v_exp_f32_e32 v20, v20
	v_ldexp_f32 v13, v13, v31
	v_ldexp_f32 v21, v21, v35
	v_cvt_i32_f32_e32 v33, v33
	v_cndmask_b32_e32 v12, 0, v12, vcc_lo
	v_cmp_ngt_f32_e32 vcc_lo, 0xc2ce8ed0, v15
	v_add_f32_e32 v22, v22, v36
	v_cvt_i32_f32_e32 v37, v37
	v_ldexp_f32 v20, v20, v33
	v_exp_f32_e32 v23, v23
	v_cndmask_b32_e32 v13, 0, v13, vcc_lo
	v_exp_f32_e32 v22, v22
	v_cmp_ngt_f32_e32 vcc_lo, 0xc2ce8ed0, v16
	v_cvt_i32_f32_e32 v39, v39
	s_delay_alu instid0(TRANS32_DEP_1) | instskip(SKIP_2) | instid1(VALU_DEP_4)
	v_ldexp_f32 v22, v22, v37
	v_cndmask_b32_e32 v20, 0, v20, vcc_lo
	v_cmp_ngt_f32_e32 vcc_lo, 0xc2ce8ed0, v17
	v_ldexp_f32 v23, v23, v39
	v_cndmask_b32_e32 v21, 0, v21, vcc_lo
	v_cmp_ngt_f32_e32 vcc_lo, 0xc2ce8ed0, v18
	v_cndmask_b32_e32 v22, 0, v22, vcc_lo
	v_cmp_ngt_f32_e32 vcc_lo, 0xc2ce8ed0, v19
	v_cndmask_b32_e32 v23, 0, v23, vcc_lo
	v_cmp_nlt_f32_e32 vcc_lo, 0x42b17218, v0
	v_cndmask_b32_e32 v0, 0x7f800000, v2, vcc_lo
	v_cmp_nlt_f32_e32 vcc_lo, 0x42b17218, v14
	;; [unrolled: 2-line block ×5, first 2 shown]
	v_cvt_f16_f32_e32 v16, v0
	s_delay_alu instid0(VALU_DEP_3)
	v_pk_fma_f32 v[6:7], v[6:7], v[0:1], v[2:3]
	v_cndmask_b32_e32 v12, 0x7f800000, v20, vcc_lo
	v_cmp_nlt_f32_e32 vcc_lo, 0x42b17218, v17
	v_cvt_f16_f32_e32 v17, v1
	v_and_b32_e32 v16, 0xffff, v16
	v_cndmask_b32_e32 v14, 0x7f800000, v21, vcc_lo
	v_cmp_nlt_f32_e32 vcc_lo, 0x42b17218, v18
	v_cvt_f16_f32_e32 v18, v12
	v_and_b32_e32 v0, 0xffff, v17
	v_mul_u32_u24_e32 v3, 0x10001, v16
	v_cndmask_b32_e32 v13, 0x7f800000, v22, vcc_lo
	v_cmp_nlt_f32_e32 vcc_lo, 0x42b17218, v19
	v_and_b32_e32 v1, 0xffff, v18
	v_mul_u32_u24_e32 v0, 0x10001, v0
	v_pk_mul_f16 v112, v112, v3
	v_cvt_f16_f32_e32 v19, v13
	v_cndmask_b32_e32 v15, 0x7f800000, v23, vcc_lo
	v_mul_u32_u24_e32 v1, 0x10001, v1
	v_pk_mul_f16 v115, v115, v3
	v_pk_mul_f16 v106, v106, v0
	v_and_b32_e32 v2, 0xffff, v19
	v_pk_mul_f16 v107, v107, v0
	v_pk_mul_f16 v101, v101, v1
	;; [unrolled: 1-line block ×3, first 2 shown]
	v_pk_fma_f32 v[4:5], v[4:5], v[12:13], v[14:15]
	v_mul_u32_u24_e32 v2, 0x10001, v2
	s_delay_alu instid0(VALU_DEP_1)
	v_pk_mul_f16 v99, v99, v2
	v_pk_mul_f16 v100, v100, v2
	v_mov_b64_e32 v[0:1], v[8:9]
	v_mov_b64_e32 v[2:3], v[10:11]
.LBB37_36:
	v_lshlrev_b32_e32 v9, 1, v95
	s_mov_b32 s3, exec_lo
	s_delay_alu instid0(VALU_DEP_1) | instskip(NEXT) | instid1(VALU_DEP_1)
	v_add_nc_u32_e32 v8, s33, v9
	v_cmpx_gt_i32_e64 s26, v8
	s_cbranch_execz .LBB37_63
; %bb.37:
	s_load_b32 s0, s[0:1], 0xd4
	v_mov_b32_e32 v8, 1.0
	s_wait_kmcnt 0x0
	s_cmp_lg_u32 s0, 1
	s_cselect_b32 s3, -1, 0
	s_cmp_eq_u32 s0, 1
	s_cselect_b32 s4, -1, 0
	s_and_b32 vcc_lo, exec_lo, s3
	s_cbranch_vccnz .LBB37_39
; %bb.38:
	v_div_scale_f32 v8, null, v6, v6, 1.0
	s_delay_alu instid0(VALU_DEP_1) | instskip(SKIP_1) | instid1(TRANS32_DEP_1)
	v_rcp_f32_e32 v10, v8
	v_nop
	v_fma_f32 v11, -v8, v10, 1.0
	s_delay_alu instid0(VALU_DEP_1) | instskip(SKIP_1) | instid1(VALU_DEP_1)
	v_fmac_f32_e32 v10, v11, v10
	v_div_scale_f32 v11, vcc_lo, 1.0, v6, 1.0
	v_mul_f32_e32 v12, v11, v10
	s_delay_alu instid0(VALU_DEP_1) | instskip(NEXT) | instid1(VALU_DEP_1)
	v_fma_f32 v13, -v8, v12, v11
	v_fmac_f32_e32 v12, v13, v10
	s_delay_alu instid0(VALU_DEP_1) | instskip(NEXT) | instid1(VALU_DEP_1)
	v_fma_f32 v8, -v8, v12, v11
	v_div_fmas_f32 v8, v8, v10, v12
	s_delay_alu instid0(VALU_DEP_1)
	v_div_fixup_f32 v8, v8, v6, 1.0
.LBB37_39:
	s_mul_i32 s1, s36, s26
	s_delay_alu instid0(SALU_CYCLE_1) | instskip(NEXT) | instid1(SALU_CYCLE_1)
	s_add_co_i32 s1, s1, s33
	v_add_nc_u32_e32 v9, s1, v9
	s_delay_alu instid0(VALU_DEP_1) | instskip(NEXT) | instid1(VALU_DEP_1)
	v_mul_lo_u32 v9, v9, s27
	v_add_nc_u32_e32 v10, s34, v9
	s_delay_alu instid0(VALU_DEP_1)
	v_mad_u32 v10, s0, v10, s39
	s_and_saveexec_b32 s5, s2
	s_cbranch_execz .LBB37_41
; %bb.40:
	s_delay_alu instid0(VALU_DEP_1) | instskip(SKIP_4) | instid1(VALU_DEP_4)
	v_mad_u32 v14, 0x60, v10, v75
	v_dual_lshrrev_b32 v11, 16, v112 :: v_dual_lshrrev_b32 v17, 16, v115
	v_mov_b32_e32 v15, 0
	v_cvt_f32_f16_e32 v12, v112
	v_cvt_f32_f16_e32 v16, v115
	;; [unrolled: 1-line block ×4, first 2 shown]
	s_delay_alu instid0(VALU_DEP_2) | instskip(SKIP_1) | instid1(VALU_DEP_3)
	v_pk_mul_f32 v[12:13], v[8:9], v[12:13] op_sel_hi:[0,1]
	v_lshl_add_u64 v[18:19], v[14:15], 2, s[20:21]
	v_pk_mul_f32 v[14:15], v[8:9], v[16:17] op_sel_hi:[0,1]
	global_store_b128 v[18:19], v[12:15], off
.LBB37_41:
	s_wait_xcnt 0x0
	s_or_b32 exec_lo, exec_lo, s5
	v_cmp_eq_u32_e32 vcc_lo, 0, v94
	s_and_b32 s3, vcc_lo, s3
	s_delay_alu instid0(SALU_CYCLE_1)
	s_and_saveexec_b32 s5, s3
	s_cbranch_execz .LBB37_43
; %bb.42:
	v_dual_mov_b32 v12, v0 :: v_dual_mov_b32 v13, v6
	global_store_b64 v10, v[12:13], s[22:23] scale_offset
.LBB37_43:
	s_wait_xcnt 0x0
	s_or_b32 exec_lo, exec_lo, s5
	v_cndmask_b32_e64 v8, 0, 1, s4
	v_mov_b32_e32 v0, 1.0
	s_and_not1_b32 vcc_lo, exec_lo, s4
	s_cbranch_vccnz .LBB37_45
; %bb.44:
	v_div_scale_f32 v0, null, v7, v7, 1.0
	s_delay_alu instid0(VALU_DEP_1) | instskip(SKIP_1) | instid1(TRANS32_DEP_1)
	v_rcp_f32_e32 v6, v0
	v_nop
	v_fma_f32 v10, -v0, v6, 1.0
	s_delay_alu instid0(VALU_DEP_1) | instskip(SKIP_1) | instid1(VALU_DEP_1)
	v_fmac_f32_e32 v6, v10, v6
	v_div_scale_f32 v10, vcc_lo, 1.0, v7, 1.0
	v_mul_f32_e32 v11, v10, v6
	s_delay_alu instid0(VALU_DEP_1) | instskip(NEXT) | instid1(VALU_DEP_1)
	v_fma_f32 v12, -v0, v11, v10
	v_fmac_f32_e32 v11, v12, v6
	s_delay_alu instid0(VALU_DEP_1) | instskip(NEXT) | instid1(VALU_DEP_1)
	v_fma_f32 v0, -v0, v11, v10
	v_div_fmas_f32 v0, v0, v6, v11
	s_delay_alu instid0(VALU_DEP_1)
	v_div_fixup_f32 v0, v0, v7, 1.0
.LBB37_45:
	s_add_co_i32 s4, s34, 1
	s_delay_alu instid0(SALU_CYCLE_1) | instskip(NEXT) | instid1(VALU_DEP_1)
	v_add_nc_u32_e32 v6, s4, v9
	v_mad_u32 v9, s0, v6, s39
	s_and_saveexec_b32 s5, s2
	s_cbranch_execz .LBB37_47
; %bb.46:
	s_delay_alu instid0(VALU_DEP_1) | instskip(SKIP_4) | instid1(VALU_DEP_4)
	v_mad_u32 v12, 0x60, v9, v75
	v_dual_lshrrev_b32 v6, 16, v106 :: v_dual_lshrrev_b32 v15, 16, v107
	v_mov_b32_e32 v13, 0
	v_cvt_f32_f16_e32 v10, v106
	v_cvt_f32_f16_e32 v14, v107
	;; [unrolled: 1-line block ×4, first 2 shown]
	s_delay_alu instid0(VALU_DEP_2) | instskip(SKIP_1) | instid1(VALU_DEP_3)
	v_pk_mul_f32 v[10:11], v[0:1], v[10:11] op_sel_hi:[0,1]
	v_lshl_add_u64 v[16:17], v[12:13], 2, s[20:21]
	v_pk_mul_f32 v[12:13], v[0:1], v[14:15] op_sel_hi:[0,1]
	global_store_b128 v[16:17], v[10:13], off
.LBB37_47:
	s_wait_xcnt 0x0
	s_or_b32 exec_lo, exec_lo, s5
	s_and_saveexec_b32 s5, s3
	s_cbranch_execz .LBB37_49
; %bb.48:
	v_mov_b32_e32 v6, v1
	global_store_b64 v9, v[6:7], s[22:23] scale_offset
.LBB37_49:
	s_wait_xcnt 0x0
	s_or_b32 exec_lo, exec_lo, s5
	v_add_nc_u32_e32 v0, s33, v93
	s_delay_alu instid0(VALU_DEP_1)
	v_cmp_gt_i32_e32 vcc_lo, s26, v0
	s_and_b32 exec_lo, exec_lo, vcc_lo
	s_cbranch_execz .LBB37_63
; %bb.50:
	v_cmp_ne_u32_e32 vcc_lo, 1, v8
	v_mov_b32_e32 v0, 1.0
	s_cbranch_vccnz .LBB37_52
; %bb.51:
	v_div_scale_f32 v0, null, v4, v4, 1.0
	s_delay_alu instid0(VALU_DEP_1) | instskip(SKIP_1) | instid1(TRANS32_DEP_1)
	v_rcp_f32_e32 v1, v0
	v_nop
	v_fma_f32 v6, -v0, v1, 1.0
	s_delay_alu instid0(VALU_DEP_1) | instskip(SKIP_1) | instid1(VALU_DEP_1)
	v_fmac_f32_e32 v1, v6, v1
	v_div_scale_f32 v6, vcc_lo, 1.0, v4, 1.0
	v_mul_f32_e32 v7, v6, v1
	s_delay_alu instid0(VALU_DEP_1) | instskip(NEXT) | instid1(VALU_DEP_1)
	v_fma_f32 v9, -v0, v7, v6
	v_fmac_f32_e32 v7, v9, v1
	s_delay_alu instid0(VALU_DEP_1) | instskip(NEXT) | instid1(VALU_DEP_1)
	v_fma_f32 v0, -v0, v7, v6
	v_div_fmas_f32 v0, v0, v1, v7
	s_delay_alu instid0(VALU_DEP_1)
	v_div_fixup_f32 v0, v0, v4, 1.0
.LBB37_52:
	v_add_nc_u32_e32 v1, s1, v93
	s_delay_alu instid0(VALU_DEP_1) | instskip(NEXT) | instid1(VALU_DEP_1)
	v_mad_u32 v1, v1, s27, s34
	v_mad_u32 v1, s0, v1, s39
	s_and_saveexec_b32 s5, s2
	s_cbranch_execz .LBB37_54
; %bb.53:
	s_delay_alu instid0(VALU_DEP_1) | instskip(SKIP_4) | instid1(VALU_DEP_4)
	v_mad_u32 v6, 0x60, v1, v75
	v_dual_lshrrev_b32 v9, 16, v101 :: v_dual_lshrrev_b32 v13, 16, v102
	v_mov_b32_e32 v7, 0
	v_cvt_f32_f16_e32 v10, v101
	v_cvt_f32_f16_e32 v12, v102
	;; [unrolled: 1-line block ×4, first 2 shown]
	s_delay_alu instid0(VALU_DEP_2) | instskip(SKIP_1) | instid1(VALU_DEP_3)
	v_pk_mul_f32 v[10:11], v[0:1], v[10:11] op_sel_hi:[0,1]
	v_lshl_add_u64 v[6:7], v[6:7], 2, s[20:21]
	v_pk_mul_f32 v[12:13], v[0:1], v[12:13] op_sel_hi:[0,1]
	global_store_b128 v[6:7], v[10:13], off
.LBB37_54:
	s_wait_xcnt 0x0
	s_or_b32 exec_lo, exec_lo, s5
	s_and_saveexec_b32 s5, s3
	s_cbranch_execz .LBB37_56
; %bb.55:
	v_dual_mov_b32 v6, v2 :: v_dual_mov_b32 v7, v4
	global_store_b64 v1, v[6:7], s[22:23] scale_offset
.LBB37_56:
	s_wait_xcnt 0x0
	s_or_b32 exec_lo, exec_lo, s5
	v_lshrrev_b32_e32 v1, 1, v92
	s_delay_alu instid0(VALU_DEP_1) | instskip(NEXT) | instid1(VALU_DEP_1)
	v_add_nc_u32_e32 v0, s33, v1
	v_cmp_gt_i32_e32 vcc_lo, s26, v0
	s_and_b32 exec_lo, exec_lo, vcc_lo
	s_cbranch_execz .LBB37_63
; %bb.57:
	v_cmp_ne_u32_e32 vcc_lo, 1, v8
	v_mov_b32_e32 v0, 1.0
	s_cbranch_vccnz .LBB37_59
; %bb.58:
	v_div_scale_f32 v0, null, v5, v5, 1.0
	s_delay_alu instid0(VALU_DEP_1) | instskip(SKIP_1) | instid1(TRANS32_DEP_1)
	v_rcp_f32_e32 v2, v0
	v_nop
	v_fma_f32 v4, -v0, v2, 1.0
	s_delay_alu instid0(VALU_DEP_1) | instskip(SKIP_1) | instid1(VALU_DEP_1)
	v_fmac_f32_e32 v2, v4, v2
	v_div_scale_f32 v4, vcc_lo, 1.0, v5, 1.0
	v_mul_f32_e32 v6, v4, v2
	s_delay_alu instid0(VALU_DEP_1) | instskip(NEXT) | instid1(VALU_DEP_1)
	v_fma_f32 v7, -v0, v6, v4
	v_fmac_f32_e32 v6, v7, v2
	s_delay_alu instid0(VALU_DEP_1) | instskip(NEXT) | instid1(VALU_DEP_1)
	v_fma_f32 v0, -v0, v6, v4
	v_div_fmas_f32 v0, v0, v2, v6
	s_delay_alu instid0(VALU_DEP_1)
	v_div_fixup_f32 v0, v0, v5, 1.0
.LBB37_59:
	v_add_nc_u32_e32 v1, s1, v1
	s_delay_alu instid0(VALU_DEP_1) | instskip(NEXT) | instid1(VALU_DEP_1)
	v_mad_u32 v1, v1, s27, s4
	v_mad_u32 v1, s0, v1, s39
	s_and_saveexec_b32 s0, s2
	s_cbranch_execz .LBB37_61
; %bb.60:
	s_delay_alu instid0(VALU_DEP_1) | instskip(SKIP_4) | instid1(VALU_DEP_4)
	v_mad_u32 v8, 0x60, v1, v75
	v_dual_lshrrev_b32 v2, 16, v99 :: v_dual_lshrrev_b32 v4, 16, v100
	v_mov_b32_e32 v9, 0
	v_cvt_f32_f16_e32 v6, v99
	v_cvt_f32_f16_e32 v10, v100
	;; [unrolled: 1-line block ×4, first 2 shown]
	s_delay_alu instid0(VALU_DEP_2) | instskip(SKIP_1) | instid1(VALU_DEP_3)
	v_pk_mul_f32 v[6:7], v[0:1], v[6:7] op_sel_hi:[0,1]
	v_lshl_add_u64 v[12:13], v[8:9], 2, s[20:21]
	v_pk_mul_f32 v[8:9], v[0:1], v[10:11] op_sel_hi:[0,1]
	global_store_b128 v[12:13], v[6:9], off
.LBB37_61:
	s_wait_xcnt 0x0
	s_or_b32 exec_lo, exec_lo, s0
	s_delay_alu instid0(SALU_CYCLE_1)
	s_and_b32 exec_lo, exec_lo, s3
	s_cbranch_execz .LBB37_63
; %bb.62:
	v_mov_b32_e32 v4, v3
	global_store_b64 v1, v[4:5], s[22:23] scale_offset
.LBB37_63:
	s_sendmsg sendmsg(MSG_DEALLOC_VGPRS)
	s_endpgm
	.section	.rodata,"a",@progbits
	.p2align	6, 0x0
	.amdhsa_kernel _ZL15flash_attn_tileILi96ELi96ELi16ELi2ELb0EEvPKcS1_S1_S1_S1_PKiPfP15HIP_vector_typeIfLj2EEffffjfiS5_IjLj3EEiiiiiiiiiiiliiliiiiil
		.amdhsa_group_segment_fixed_size 11904
		.amdhsa_private_segment_fixed_size 0
		.amdhsa_kernarg_size 464
		.amdhsa_user_sgpr_count 2
		.amdhsa_user_sgpr_dispatch_ptr 0
		.amdhsa_user_sgpr_queue_ptr 0
		.amdhsa_user_sgpr_kernarg_segment_ptr 1
		.amdhsa_user_sgpr_dispatch_id 0
		.amdhsa_user_sgpr_kernarg_preload_length 0
		.amdhsa_user_sgpr_kernarg_preload_offset 0
		.amdhsa_user_sgpr_private_segment_size 0
		.amdhsa_wavefront_size32 1
		.amdhsa_uses_dynamic_stack 0
		.amdhsa_enable_private_segment 0
		.amdhsa_system_sgpr_workgroup_id_x 1
		.amdhsa_system_sgpr_workgroup_id_y 1
		.amdhsa_system_sgpr_workgroup_id_z 1
		.amdhsa_system_sgpr_workgroup_info 0
		.amdhsa_system_vgpr_workitem_id 1
		.amdhsa_next_free_vgpr 164
		.amdhsa_next_free_sgpr 47
		.amdhsa_named_barrier_count 0
		.amdhsa_reserve_vcc 1
		.amdhsa_float_round_mode_32 0
		.amdhsa_float_round_mode_16_64 0
		.amdhsa_float_denorm_mode_32 3
		.amdhsa_float_denorm_mode_16_64 3
		.amdhsa_fp16_overflow 0
		.amdhsa_memory_ordered 1
		.amdhsa_forward_progress 1
		.amdhsa_inst_pref_size 97
		.amdhsa_round_robin_scheduling 0
		.amdhsa_exception_fp_ieee_invalid_op 0
		.amdhsa_exception_fp_denorm_src 0
		.amdhsa_exception_fp_ieee_div_zero 0
		.amdhsa_exception_fp_ieee_overflow 0
		.amdhsa_exception_fp_ieee_underflow 0
		.amdhsa_exception_fp_ieee_inexact 0
		.amdhsa_exception_int_div_zero 0
	.end_amdhsa_kernel
	.section	.text._ZL15flash_attn_tileILi96ELi96ELi16ELi2ELb0EEvPKcS1_S1_S1_S1_PKiPfP15HIP_vector_typeIfLj2EEffffjfiS5_IjLj3EEiiiiiiiiiiiliiliiiiil,"axG",@progbits,_ZL15flash_attn_tileILi96ELi96ELi16ELi2ELb0EEvPKcS1_S1_S1_S1_PKiPfP15HIP_vector_typeIfLj2EEffffjfiS5_IjLj3EEiiiiiiiiiiiliiliiiiil,comdat
.Lfunc_end37:
	.size	_ZL15flash_attn_tileILi96ELi96ELi16ELi2ELb0EEvPKcS1_S1_S1_S1_PKiPfP15HIP_vector_typeIfLj2EEffffjfiS5_IjLj3EEiiiiiiiiiiiliiliiiiil, .Lfunc_end37-_ZL15flash_attn_tileILi96ELi96ELi16ELi2ELb0EEvPKcS1_S1_S1_S1_PKiPfP15HIP_vector_typeIfLj2EEffffjfiS5_IjLj3EEiiiiiiiiiiiliiliiiiil
                                        ; -- End function
	.set _ZL15flash_attn_tileILi96ELi96ELi16ELi2ELb0EEvPKcS1_S1_S1_S1_PKiPfP15HIP_vector_typeIfLj2EEffffjfiS5_IjLj3EEiiiiiiiiiiiliiliiiiil.num_vgpr, 164
	.set _ZL15flash_attn_tileILi96ELi96ELi16ELi2ELb0EEvPKcS1_S1_S1_S1_PKiPfP15HIP_vector_typeIfLj2EEffffjfiS5_IjLj3EEiiiiiiiiiiiliiliiiiil.num_agpr, 0
	.set _ZL15flash_attn_tileILi96ELi96ELi16ELi2ELb0EEvPKcS1_S1_S1_S1_PKiPfP15HIP_vector_typeIfLj2EEffffjfiS5_IjLj3EEiiiiiiiiiiiliiliiiiil.numbered_sgpr, 47
	.set _ZL15flash_attn_tileILi96ELi96ELi16ELi2ELb0EEvPKcS1_S1_S1_S1_PKiPfP15HIP_vector_typeIfLj2EEffffjfiS5_IjLj3EEiiiiiiiiiiiliiliiiiil.num_named_barrier, 0
	.set _ZL15flash_attn_tileILi96ELi96ELi16ELi2ELb0EEvPKcS1_S1_S1_S1_PKiPfP15HIP_vector_typeIfLj2EEffffjfiS5_IjLj3EEiiiiiiiiiiiliiliiiiil.private_seg_size, 0
	.set _ZL15flash_attn_tileILi96ELi96ELi16ELi2ELb0EEvPKcS1_S1_S1_S1_PKiPfP15HIP_vector_typeIfLj2EEffffjfiS5_IjLj3EEiiiiiiiiiiiliiliiiiil.uses_vcc, 1
	.set _ZL15flash_attn_tileILi96ELi96ELi16ELi2ELb0EEvPKcS1_S1_S1_S1_PKiPfP15HIP_vector_typeIfLj2EEffffjfiS5_IjLj3EEiiiiiiiiiiiliiliiiiil.uses_flat_scratch, 0
	.set _ZL15flash_attn_tileILi96ELi96ELi16ELi2ELb0EEvPKcS1_S1_S1_S1_PKiPfP15HIP_vector_typeIfLj2EEffffjfiS5_IjLj3EEiiiiiiiiiiiliiliiiiil.has_dyn_sized_stack, 0
	.set _ZL15flash_attn_tileILi96ELi96ELi16ELi2ELb0EEvPKcS1_S1_S1_S1_PKiPfP15HIP_vector_typeIfLj2EEffffjfiS5_IjLj3EEiiiiiiiiiiiliiliiiiil.has_recursion, 0
	.set _ZL15flash_attn_tileILi96ELi96ELi16ELi2ELb0EEvPKcS1_S1_S1_S1_PKiPfP15HIP_vector_typeIfLj2EEffffjfiS5_IjLj3EEiiiiiiiiiiiliiliiiiil.has_indirect_call, 0
	.section	.AMDGPU.csdata,"",@progbits
; Kernel info:
; codeLenInByte = 12340
; TotalNumSgprs: 49
; NumVgprs: 164
; ScratchSize: 0
; MemoryBound: 0
; FloatMode: 240
; IeeeMode: 1
; LDSByteSize: 11904 bytes/workgroup (compile time only)
; SGPRBlocks: 0
; VGPRBlocks: 10
; NumSGPRsForWavesPerEU: 49
; NumVGPRsForWavesPerEU: 164
; NamedBarCnt: 0
; Occupancy: 5
; WaveLimiterHint : 1
; COMPUTE_PGM_RSRC2:SCRATCH_EN: 0
; COMPUTE_PGM_RSRC2:USER_SGPR: 2
; COMPUTE_PGM_RSRC2:TRAP_HANDLER: 0
; COMPUTE_PGM_RSRC2:TGID_X_EN: 1
; COMPUTE_PGM_RSRC2:TGID_Y_EN: 1
; COMPUTE_PGM_RSRC2:TGID_Z_EN: 1
; COMPUTE_PGM_RSRC2:TIDIG_COMP_CNT: 1
	.section	.text._ZL33flash_attn_stream_k_fixup_uniformILi96ELi16ELi2EEvPfPK15HIP_vector_typeIfLj2EEiiiiiiS1_IjLj3EES5_S5_,"axG",@progbits,_ZL33flash_attn_stream_k_fixup_uniformILi96ELi16ELi2EEvPfPK15HIP_vector_typeIfLj2EEiiiiiiS1_IjLj3EES5_S5_,comdat
	.globl	_ZL33flash_attn_stream_k_fixup_uniformILi96ELi16ELi2EEvPfPK15HIP_vector_typeIfLj2EEiiiiiiS1_IjLj3EES5_S5_ ; -- Begin function _ZL33flash_attn_stream_k_fixup_uniformILi96ELi16ELi2EEvPfPK15HIP_vector_typeIfLj2EEiiiiiiS1_IjLj3EES5_S5_
	.p2align	8
	.type	_ZL33flash_attn_stream_k_fixup_uniformILi96ELi16ELi2EEvPfPK15HIP_vector_typeIfLj2EEiiiiiiS1_IjLj3EES5_S5_,@function
_ZL33flash_attn_stream_k_fixup_uniformILi96ELi16ELi2EEvPfPK15HIP_vector_typeIfLj2EEiiiiiiS1_IjLj3EES5_S5_: ; @_ZL33flash_attn_stream_k_fixup_uniformILi96ELi16ELi2EEvPfPK15HIP_vector_typeIfLj2EEiiiiiiS1_IjLj3EES5_S5_
; %bb.0:
	s_load_b256 s[4:11], s[0:1], 0x1c
	s_bfe_u32 s2, ttmp6, 0x40014
	s_lshr_b32 s3, ttmp7, 16
	s_add_co_i32 s2, s2, 1
	s_bfe_u32 s13, ttmp6, 0x40010
	s_mul_i32 s2, s3, s2
	s_bfe_u32 s12, ttmp6, 0x40008
	s_and_b32 s15, ttmp7, 0xffff
	s_add_co_i32 s13, s13, 1
	s_bfe_u32 s14, ttmp6, 0x4000c
	s_add_co_i32 s2, s12, s2
	s_mul_i32 s12, s15, s13
	s_bfe_u32 s13, ttmp6, 0x40004
	s_add_co_i32 s14, s14, 1
	s_add_co_i32 s13, s13, s12
	s_and_b32 s12, ttmp6, 15
	s_mul_i32 s14, ttmp9, s14
	s_getreg_b32 s20, hwreg(HW_REG_IB_STS2, 6, 4)
	s_add_co_i32 s12, s12, s14
	s_load_b128 s[16:19], s[0:1], 0x3c
	s_cmp_eq_u32 s20, 0
	s_cselect_b32 s14, ttmp9, s12
	s_cselect_b32 s12, s15, s13
	s_wait_kmcnt 0x0
	s_mul_hi_u32 s7, s7, s14
	s_cselect_b32 s13, s3, s2
	s_add_co_i32 s2, s14, s7
	s_delay_alu instid0(SALU_CYCLE_1) | instskip(NEXT) | instid1(SALU_CYCLE_1)
	s_lshr_b32 s7, s2, s8
	s_mul_i32 s2, s7, s9
	s_delay_alu instid0(SALU_CYCLE_1) | instskip(NEXT) | instid1(SALU_CYCLE_1)
	s_sub_co_i32 s8, s14, s2
	s_mul_hi_u32 s2, s8, s10
	s_delay_alu instid0(SALU_CYCLE_1) | instskip(SKIP_2) | instid1(SALU_CYCLE_1)
	s_add_co_i32 s9, s8, s2
	s_load_b64 s[2:3], s[0:1], 0x10
	s_lshr_b32 s15, s9, s11
	s_mul_i32 s9, s15, s16
	s_delay_alu instid0(SALU_CYCLE_1) | instskip(NEXT) | instid1(SALU_CYCLE_1)
	s_sub_co_i32 s8, s8, s9
	s_mul_hi_u32 s9, s8, s17
	s_delay_alu instid0(SALU_CYCLE_1) | instskip(NEXT) | instid1(SALU_CYCLE_1)
	s_add_co_i32 s9, s8, s9
	s_lshr_b32 s9, s9, s18
	s_delay_alu instid0(SALU_CYCLE_1) | instskip(SKIP_2) | instid1(SALU_CYCLE_1)
	s_mul_i32 s10, s9, s19
	s_lshl_b32 s17, s9, 1
	s_sub_co_i32 s16, s8, s10
	s_lshl_b32 s8, s16, 4
	s_delay_alu instid0(SALU_CYCLE_1) | instskip(SKIP_4) | instid1(SALU_CYCLE_1)
	s_add_co_i32 s8, s8, s12
	s_wait_kmcnt 0x0
	s_cmp_lt_i32 s8, s2
	s_cselect_b32 s8, -1, 0
	s_add_co_i32 s17, s17, s13
	s_cmp_lt_i32 s17, s5
	s_cselect_b32 s9, -1, 0
	s_delay_alu instid0(SALU_CYCLE_1) | instskip(NEXT) | instid1(SALU_CYCLE_1)
	s_and_b32 s8, s8, s9
	s_and_not1_b32 vcc_lo, exec_lo, s8
	s_cbranch_vccnz .LBB38_6
; %bb.1:
	s_load_b128 s[8:11], s[0:1], 0x0
	s_wait_xcnt 0x0
	s_mul_i32 s0, s7, s2
	s_mul_i32 s15, s15, s5
	s_add_co_i32 s0, s0, s12
	s_add_co_i32 s1, s17, s15
	s_mul_i32 s0, s0, s3
	s_mul_i32 s2, s3, s16
	s_add_co_i32 s0, s1, s0
	s_mulk_i32 s2, 0x600
	s_mulk_i32 s0, 0x60
	s_mul_i32 s7, s6, s14
	v_add3_u32 v4, s0, s2, v0
	s_lshl_b32 s5, s12, 1
	s_add_co_i32 s15, s7, s6
	s_add_co_i32 s0, s5, s13
	s_lshl_b32 s1, s15, 5
	v_ashrrev_i32_e32 v5, 31, v4
	s_add_co_i32 s0, s0, s1
	s_add_co_i32 s2, s15, -2
	s_sub_co_i32 s0, s0, 32
	s_wait_kmcnt 0x0
	global_load_b32 v3, v4, s[8:9] scale_offset
	s_ashr_i32 s1, s0, 31
	s_delay_alu instid0(SALU_CYCLE_1)
	s_lshl_b64 s[0:1], s[0:1], 3
	s_cmp_lt_i32 s2, s7
	s_add_nc_u64 s[0:1], s[10:11], s[0:1]
	s_load_b32 s16, s[0:1], 0x4
	s_cbranch_scc1 .LBB38_4
; %bb.2:
	s_wait_xcnt 0x0
	s_load_b32 s0, s[0:1], 0x0
	s_add_co_i32 s14, s14, 1
	s_mulk_i32 s12, 0xc0
	s_wait_xcnt 0x0
	s_mul_i32 s1, s6, s14
	s_lshl_b32 s2, s4, 7
	s_lshl_b32 s6, s1, 5
	s_mulk_i32 s1, 0xc00
	s_add_co_i32 s6, s13, s6
	s_mulk_i32 s13, 0x60
	s_lshl_b32 s4, s4, 5
	s_add_co_i32 s12, s13, s12
	s_ashr_i32 s3, s2, 31
	s_add_co_i32 s12, s12, s1
	s_add_co_i32 s1, s6, s4
	v_add3_u32 v0, s12, v0, 0xffffe800
	s_wait_kmcnt 0x0
	v_mov_b32_e32 v2, s16
	s_lshl_b64 s[2:3], s[2:3], 2
	s_add_co_i32 s4, s1, s5
	s_add_nc_u64 s[2:3], s[10:11], s[2:3]
	s_add_co_i32 s1, s15, -1
	s_sub_co_i32 s4, s4, 64
.LBB38_3:                               ; =>This Inner Loop Header: Depth=1
	global_load_b32 v7, v0, s[2:3] scale_offset
	s_ashr_i32 s5, s4, 31
	v_max_num_f32_e64 v1, s0, s0
	s_lshl_b64 s[12:13], s[4:5], 3
	s_delay_alu instid0(SALU_CYCLE_1) | instskip(SKIP_1) | instid1(VALU_DEP_1)
	s_add_nc_u64 s[12:13], s[10:11], s[12:13]
	s_load_b64 s[12:13], s[12:13], 0x0
	v_readfirstlane_b32 s5, v1
	v_add_nc_u32_e32 v0, 0xfffff400, v0
	s_wait_kmcnt 0x0
	v_max_num_f32_e64 v1, s12, s12
	s_delay_alu instid0(VALU_DEP_1) | instskip(SKIP_1) | instid1(SALU_CYCLE_3)
	v_readfirstlane_b32 s6, v1
	s_max_num_f32 s5, s5, s6
	s_sub_f32 s0, s0, s5
	s_sub_f32 s6, s12, s5
	s_delay_alu instid0(SALU_CYCLE_2) | instskip(NEXT) | instid1(SALU_CYCLE_2)
	s_mul_f32 s12, s0, 0x3fb8aa3b
	s_mul_f32 s14, s6, 0x3fb8aa3b
	s_delay_alu instid0(SALU_CYCLE_2)
	s_xor_b32 s15, s12, 0x80000000
	s_rndne_f32 s16, s12
	s_fmamk_f32 s15, s0, 0x3fb8aa3b, s15
	s_cmp_nlt_f32 s0, 0xc2ce8ed0
	s_rndne_f32 s17, s14
	s_sub_f32 s12, s12, s16
	s_fmamk_f32 s15, s0, 0x32a5705f, s15
	s_cselect_b32 vcc_lo, -1, 0
	s_cmp_ngt_f32 s0, 0x42b17218
	s_delay_alu instid0(SALU_CYCLE_1) | instskip(SKIP_2) | instid1(SALU_CYCLE_1)
	s_add_f32 s12, s12, s15
	s_cvt_i32_f32 s15, s16
	s_sub_f32 s16, s14, s17
	v_s_exp_f32 s12, s12
	v_nop
	s_delay_alu instid0(TRANS32_DEP_1) | instskip(SKIP_1) | instid1(VALU_DEP_1)
	v_ldexp_f32 v1, s12, s15
	s_cvt_i32_f32 s12, s17
	v_cndmask_b32_e32 v1, 0, v1, vcc_lo
	s_cselect_b32 vcc_lo, -1, 0
	s_cmp_ge_f32 s0, 0xc1a00000
	s_delay_alu instid0(VALU_DEP_1)
	v_cndmask_b32_e32 v1, 0x7f800000, v1, vcc_lo
	s_cselect_b32 vcc_lo, -1, 0
	s_xor_b32 s0, s14, 0x80000000
	s_cmp_nlt_f32 s6, 0xc2ce8ed0
	s_fmamk_f32 s0, s6, 0x3fb8aa3b, s0
	v_cndmask_b32_e32 v10, 0, v1, vcc_lo
	s_delay_alu instid0(SALU_CYCLE_2) | instskip(NEXT) | instid1(SALU_CYCLE_3)
	s_fmamk_f32 s0, s6, 0x32a5705f, s0
	s_add_f32 s0, s16, s0
	s_delay_alu instid0(SALU_CYCLE_3) | instskip(SKIP_1) | instid1(TRANS32_DEP_1)
	v_s_exp_f32 s0, s0
	v_nop
	v_ldexp_f32 v6, s0, s12
	s_cselect_b32 s0, -1, 0
	s_cmp_ngt_f32 s6, 0x42b17218
	s_delay_alu instid0(VALU_DEP_1) | instskip(SKIP_2) | instid1(VALU_DEP_1)
	v_cndmask_b32_e64 v6, 0, v6, s0
	s_cselect_b32 s0, -1, 0
	s_cmp_ge_f32 s6, 0xc1a00000
	v_cndmask_b32_e64 v8, 0x7f800000, v6, s0
	s_cselect_b32 s0, -1, 0
	v_mov_b32_e32 v6, s13
	s_add_co_i32 s1, s1, -1
	s_sub_co_i32 s4, s4, 32
	v_cndmask_b32_e64 v8, 0, v8, s0
	s_cmp_le_i32 s1, s7
	s_mov_b32 s0, s5
	s_wait_loadcnt 0x0
	s_delay_alu instid0(VALU_DEP_1) | instskip(NEXT) | instid1(VALU_DEP_1)
	v_pk_mul_f32 v[6:7], v[6:7], v[8:9] op_sel_hi:[1,0]
	v_pk_fma_f32 v[2:3], v[2:3], v[10:11], v[6:7] op_sel_hi:[1,0,1]
	s_cbranch_scc0 .LBB38_3
	s_branch .LBB38_5
.LBB38_4:
	s_wait_kmcnt 0x0
	v_mov_b32_e32 v2, s16
.LBB38_5:
	v_lshl_add_u64 v[0:1], v[4:5], 2, s[8:9]
	s_wait_loadcnt 0x0
	s_delay_alu instid0(VALU_DEP_2) | instskip(NEXT) | instid1(VALU_DEP_1)
	v_div_scale_f32 v4, null, v2, v2, v3
	v_rcp_f32_e32 v5, v4
	v_nop
	s_delay_alu instid0(TRANS32_DEP_1) | instskip(NEXT) | instid1(VALU_DEP_1)
	v_fma_f32 v6, -v4, v5, 1.0
	v_fmac_f32_e32 v5, v6, v5
	v_div_scale_f32 v6, vcc_lo, v3, v2, v3
	s_delay_alu instid0(VALU_DEP_1) | instskip(NEXT) | instid1(VALU_DEP_1)
	v_mul_f32_e32 v7, v6, v5
	v_fma_f32 v8, -v4, v7, v6
	s_delay_alu instid0(VALU_DEP_1) | instskip(NEXT) | instid1(VALU_DEP_1)
	v_fmac_f32_e32 v7, v8, v5
	v_fma_f32 v4, -v4, v7, v6
	s_delay_alu instid0(VALU_DEP_1) | instskip(NEXT) | instid1(VALU_DEP_1)
	v_div_fmas_f32 v4, v4, v5, v7
	v_div_fixup_f32 v2, v4, v2, v3
	global_store_b32 v[0:1], v2, off
.LBB38_6:
	s_endpgm
	.section	.rodata,"a",@progbits
	.p2align	6, 0x0
	.amdhsa_kernel _ZL33flash_attn_stream_k_fixup_uniformILi96ELi16ELi2EEvPfPK15HIP_vector_typeIfLj2EEiiiiiiS1_IjLj3EES5_S5_
		.amdhsa_group_segment_fixed_size 0
		.amdhsa_private_segment_fixed_size 0
		.amdhsa_kernarg_size 76
		.amdhsa_user_sgpr_count 2
		.amdhsa_user_sgpr_dispatch_ptr 0
		.amdhsa_user_sgpr_queue_ptr 0
		.amdhsa_user_sgpr_kernarg_segment_ptr 1
		.amdhsa_user_sgpr_dispatch_id 0
		.amdhsa_user_sgpr_kernarg_preload_length 0
		.amdhsa_user_sgpr_kernarg_preload_offset 0
		.amdhsa_user_sgpr_private_segment_size 0
		.amdhsa_wavefront_size32 1
		.amdhsa_uses_dynamic_stack 0
		.amdhsa_enable_private_segment 0
		.amdhsa_system_sgpr_workgroup_id_x 1
		.amdhsa_system_sgpr_workgroup_id_y 1
		.amdhsa_system_sgpr_workgroup_id_z 1
		.amdhsa_system_sgpr_workgroup_info 0
		.amdhsa_system_vgpr_workitem_id 0
		.amdhsa_next_free_vgpr 12
		.amdhsa_next_free_sgpr 21
		.amdhsa_named_barrier_count 0
		.amdhsa_reserve_vcc 1
		.amdhsa_float_round_mode_32 0
		.amdhsa_float_round_mode_16_64 0
		.amdhsa_float_denorm_mode_32 3
		.amdhsa_float_denorm_mode_16_64 3
		.amdhsa_fp16_overflow 0
		.amdhsa_memory_ordered 1
		.amdhsa_forward_progress 1
		.amdhsa_inst_pref_size 9
		.amdhsa_round_robin_scheduling 0
		.amdhsa_exception_fp_ieee_invalid_op 0
		.amdhsa_exception_fp_denorm_src 0
		.amdhsa_exception_fp_ieee_div_zero 0
		.amdhsa_exception_fp_ieee_overflow 0
		.amdhsa_exception_fp_ieee_underflow 0
		.amdhsa_exception_fp_ieee_inexact 0
		.amdhsa_exception_int_div_zero 0
	.end_amdhsa_kernel
	.section	.text._ZL33flash_attn_stream_k_fixup_uniformILi96ELi16ELi2EEvPfPK15HIP_vector_typeIfLj2EEiiiiiiS1_IjLj3EES5_S5_,"axG",@progbits,_ZL33flash_attn_stream_k_fixup_uniformILi96ELi16ELi2EEvPfPK15HIP_vector_typeIfLj2EEiiiiiiS1_IjLj3EES5_S5_,comdat
.Lfunc_end38:
	.size	_ZL33flash_attn_stream_k_fixup_uniformILi96ELi16ELi2EEvPfPK15HIP_vector_typeIfLj2EEiiiiiiS1_IjLj3EES5_S5_, .Lfunc_end38-_ZL33flash_attn_stream_k_fixup_uniformILi96ELi16ELi2EEvPfPK15HIP_vector_typeIfLj2EEiiiiiiS1_IjLj3EES5_S5_
                                        ; -- End function
	.set _ZL33flash_attn_stream_k_fixup_uniformILi96ELi16ELi2EEvPfPK15HIP_vector_typeIfLj2EEiiiiiiS1_IjLj3EES5_S5_.num_vgpr, 12
	.set _ZL33flash_attn_stream_k_fixup_uniformILi96ELi16ELi2EEvPfPK15HIP_vector_typeIfLj2EEiiiiiiS1_IjLj3EES5_S5_.num_agpr, 0
	.set _ZL33flash_attn_stream_k_fixup_uniformILi96ELi16ELi2EEvPfPK15HIP_vector_typeIfLj2EEiiiiiiS1_IjLj3EES5_S5_.numbered_sgpr, 21
	.set _ZL33flash_attn_stream_k_fixup_uniformILi96ELi16ELi2EEvPfPK15HIP_vector_typeIfLj2EEiiiiiiS1_IjLj3EES5_S5_.num_named_barrier, 0
	.set _ZL33flash_attn_stream_k_fixup_uniformILi96ELi16ELi2EEvPfPK15HIP_vector_typeIfLj2EEiiiiiiS1_IjLj3EES5_S5_.private_seg_size, 0
	.set _ZL33flash_attn_stream_k_fixup_uniformILi96ELi16ELi2EEvPfPK15HIP_vector_typeIfLj2EEiiiiiiS1_IjLj3EES5_S5_.uses_vcc, 1
	.set _ZL33flash_attn_stream_k_fixup_uniformILi96ELi16ELi2EEvPfPK15HIP_vector_typeIfLj2EEiiiiiiS1_IjLj3EES5_S5_.uses_flat_scratch, 0
	.set _ZL33flash_attn_stream_k_fixup_uniformILi96ELi16ELi2EEvPfPK15HIP_vector_typeIfLj2EEiiiiiiS1_IjLj3EES5_S5_.has_dyn_sized_stack, 0
	.set _ZL33flash_attn_stream_k_fixup_uniformILi96ELi16ELi2EEvPfPK15HIP_vector_typeIfLj2EEiiiiiiS1_IjLj3EES5_S5_.has_recursion, 0
	.set _ZL33flash_attn_stream_k_fixup_uniformILi96ELi16ELi2EEvPfPK15HIP_vector_typeIfLj2EEiiiiiiS1_IjLj3EES5_S5_.has_indirect_call, 0
	.section	.AMDGPU.csdata,"",@progbits
; Kernel info:
; codeLenInByte = 1084
; TotalNumSgprs: 23
; NumVgprs: 12
; ScratchSize: 0
; MemoryBound: 0
; FloatMode: 240
; IeeeMode: 1
; LDSByteSize: 0 bytes/workgroup (compile time only)
; SGPRBlocks: 0
; VGPRBlocks: 0
; NumSGPRsForWavesPerEU: 23
; NumVGPRsForWavesPerEU: 12
; NamedBarCnt: 0
; Occupancy: 16
; WaveLimiterHint : 0
; COMPUTE_PGM_RSRC2:SCRATCH_EN: 0
; COMPUTE_PGM_RSRC2:USER_SGPR: 2
; COMPUTE_PGM_RSRC2:TRAP_HANDLER: 0
; COMPUTE_PGM_RSRC2:TGID_X_EN: 1
; COMPUTE_PGM_RSRC2:TGID_Y_EN: 1
; COMPUTE_PGM_RSRC2:TGID_Z_EN: 1
; COMPUTE_PGM_RSRC2:TIDIG_COMP_CNT: 0
	.section	.text._ZL33flash_attn_stream_k_fixup_generalILi96ELi16ELi2EEvPfPK15HIP_vector_typeIfLj2EEiiiiS1_IjLj3EES5_S5_S5_,"axG",@progbits,_ZL33flash_attn_stream_k_fixup_generalILi96ELi16ELi2EEvPfPK15HIP_vector_typeIfLj2EEiiiiS1_IjLj3EES5_S5_S5_,comdat
	.globl	_ZL33flash_attn_stream_k_fixup_generalILi96ELi16ELi2EEvPfPK15HIP_vector_typeIfLj2EEiiiiS1_IjLj3EES5_S5_S5_ ; -- Begin function _ZL33flash_attn_stream_k_fixup_generalILi96ELi16ELi2EEvPfPK15HIP_vector_typeIfLj2EEiiiiS1_IjLj3EES5_S5_S5_
	.p2align	8
	.type	_ZL33flash_attn_stream_k_fixup_generalILi96ELi16ELi2EEvPfPK15HIP_vector_typeIfLj2EEiiiiS1_IjLj3EES5_S5_S5_,@function
_ZL33flash_attn_stream_k_fixup_generalILi96ELi16ELi2EEvPfPK15HIP_vector_typeIfLj2EEiiiiS1_IjLj3EES5_S5_S5_: ; @_ZL33flash_attn_stream_k_fixup_generalILi96ELi16ELi2EEvPfPK15HIP_vector_typeIfLj2EEiiiiS1_IjLj3EES5_S5_S5_
; %bb.0:
	s_clause 0x1
	s_load_b128 s[4:7], s[0:1], 0x10
	s_load_b32 s16, s[0:1], 0x50
	s_bfe_u32 s2, ttmp6, 0x4000c
	s_and_b32 s3, ttmp6, 15
	s_add_co_i32 s2, s2, 1
	s_getreg_b32 s15, hwreg(HW_REG_IB_STS2, 6, 4)
	s_mul_i32 s2, ttmp9, s2
	s_mov_b32 s17, 0
	s_add_co_i32 s3, s3, s2
	s_cmp_eq_u32 s15, 0
	s_cselect_b32 s2, ttmp9, s3
	s_delay_alu instid0(SALU_CYCLE_1) | instskip(SKIP_3) | instid1(SALU_CYCLE_1)
	s_ashr_i32 s3, s2, 31
	s_wait_kmcnt 0x0
	s_ashr_i32 s19, s7, 31
	s_mov_b32 s18, s7
	s_mul_u64 s[8:9], s[18:19], s[2:3]
	s_delay_alu instid0(SALU_CYCLE_1) | instskip(NEXT) | instid1(SALU_CYCLE_1)
	s_and_b64 s[10:11], s[8:9], 0xffffffff00000000
	s_cmp_lg_u64 s[10:11], 0
	s_cbranch_scc0 .LBB39_21
; %bb.1:
	s_add_nc_u64 s[10:11], s[16:17], 0
	s_mov_b32 s23, s17
	s_xor_b64 s[10:11], s[10:11], 0
	s_mov_b32 s27, s17
	s_cvt_f32_u32 s3, s10
	s_cvt_f32_u32 s7, s11
	s_sub_nc_u64 s[20:21], 0, s[10:11]
	s_delay_alu instid0(SALU_CYCLE_2) | instskip(NEXT) | instid1(SALU_CYCLE_3)
	s_fmamk_f32 s3, s7, 0x4f800000, s3
	v_s_rcp_f32 s3, s3
	s_delay_alu instid0(TRANS32_DEP_1) | instskip(NEXT) | instid1(SALU_CYCLE_3)
	s_mul_f32 s3, s3, 0x5f7ffffc
	s_mul_f32 s7, s3, 0x2f800000
	s_delay_alu instid0(SALU_CYCLE_3) | instskip(NEXT) | instid1(SALU_CYCLE_3)
	s_trunc_f32 s7, s7
	s_fmamk_f32 s3, s7, 0xcf800000, s3
	s_cvt_u32_f32 s13, s7
	s_delay_alu instid0(SALU_CYCLE_2) | instskip(NEXT) | instid1(SALU_CYCLE_3)
	s_cvt_u32_f32 s12, s3
	s_mul_u64 s[24:25], s[20:21], s[12:13]
	s_delay_alu instid0(SALU_CYCLE_1)
	s_mul_hi_u32 s29, s12, s25
	s_mul_i32 s28, s12, s25
	s_mul_hi_u32 s22, s12, s24
	s_mul_i32 s7, s13, s24
	s_add_nc_u64 s[22:23], s[22:23], s[28:29]
	s_mul_hi_u32 s3, s13, s24
	s_mul_hi_u32 s14, s13, s25
	s_add_co_u32 s7, s22, s7
	s_add_co_ci_u32 s26, s23, s3
	s_mul_i32 s24, s13, s25
	s_add_co_ci_u32 s25, s14, 0
	s_delay_alu instid0(SALU_CYCLE_1) | instskip(SKIP_3) | instid1(SALU_CYCLE_1)
	s_add_nc_u64 s[22:23], s[26:27], s[24:25]
	s_mov_b32 s25, s17
	s_add_co_u32 s12, s12, s22
	s_cselect_b32 s3, -1, 0
	s_cmp_lg_u32 s3, 0
	s_add_co_ci_u32 s13, s13, s23
	s_mov_b32 s23, s17
	s_mul_u64 s[20:21], s[20:21], s[12:13]
	s_delay_alu instid0(SALU_CYCLE_1)
	s_mul_hi_u32 s27, s12, s21
	s_mul_i32 s26, s12, s21
	s_mul_hi_u32 s22, s12, s20
	s_mul_i32 s7, s13, s20
	s_add_nc_u64 s[22:23], s[22:23], s[26:27]
	s_mul_hi_u32 s3, s13, s20
	s_mul_hi_u32 s14, s13, s21
	s_add_co_u32 s7, s22, s7
	s_add_co_ci_u32 s24, s23, s3
	s_mul_i32 s20, s13, s21
	s_add_co_ci_u32 s21, s14, 0
	s_mov_b32 s23, s17
	s_add_nc_u64 s[20:21], s[24:25], s[20:21]
	s_delay_alu instid0(SALU_CYCLE_1) | instskip(SKIP_1) | instid1(SALU_CYCLE_1)
	s_add_co_u32 s3, s12, s20
	s_cselect_b32 s7, -1, 0
	s_cmp_lg_u32 s7, 0
	s_add_co_ci_u32 s7, s13, s21
	s_ashr_i32 s12, s9, 31
	s_delay_alu instid0(SALU_CYCLE_1) | instskip(NEXT) | instid1(SALU_CYCLE_1)
	s_mov_b32 s13, s12
	s_add_nc_u64 s[20:21], s[8:9], s[12:13]
	s_delay_alu instid0(SALU_CYCLE_1) | instskip(NEXT) | instid1(SALU_CYCLE_1)
	s_xor_b64 s[20:21], s[20:21], s[12:13]
	s_mul_hi_u32 s27, s20, s7
	s_mul_i32 s26, s20, s7
	s_mul_hi_u32 s22, s20, s3
	s_mul_hi_u32 s14, s21, s3
	s_mul_i32 s3, s21, s3
	s_add_nc_u64 s[22:23], s[22:23], s[26:27]
	s_mul_hi_u32 s9, s21, s7
	s_add_co_u32 s3, s22, s3
	s_add_co_ci_u32 s24, s23, s14
	s_mul_i32 s26, s21, s7
	s_add_co_ci_u32 s27, s9, 0
	s_delay_alu instid0(SALU_CYCLE_1) | instskip(NEXT) | instid1(SALU_CYCLE_1)
	s_add_nc_u64 s[22:23], s[24:25], s[26:27]
	s_and_b64 s[24:25], s[22:23], 0xffffffff00000000
	s_delay_alu instid0(SALU_CYCLE_1) | instskip(NEXT) | instid1(SALU_CYCLE_1)
	s_or_b32 s24, s24, s22
	s_mul_u64 s[22:23], s[10:11], s[24:25]
	s_add_nc_u64 s[26:27], s[24:25], 1
	s_sub_co_u32 s3, s20, s22
	s_cselect_b32 s7, -1, 0
	s_sub_co_i32 s9, s21, s23
	s_cmp_lg_u32 s7, 0
	s_add_nc_u64 s[28:29], s[24:25], 2
	s_sub_co_ci_u32 s9, s9, s11
	s_sub_co_u32 s14, s3, s10
	s_cselect_b32 s20, -1, 0
	s_delay_alu instid0(SALU_CYCLE_1) | instskip(SKIP_1) | instid1(SALU_CYCLE_1)
	s_cmp_lg_u32 s20, 0
	s_sub_co_ci_u32 s9, s9, 0
	s_cmp_ge_u32 s9, s11
	s_cselect_b32 s20, -1, 0
	s_cmp_ge_u32 s14, s10
	s_cselect_b32 s14, -1, 0
	s_cmp_eq_u32 s9, s11
	s_cselect_b32 s9, s14, s20
	s_delay_alu instid0(SALU_CYCLE_1) | instskip(SKIP_4) | instid1(SALU_CYCLE_1)
	s_cmp_lg_u32 s9, 0
	s_cselect_b32 s9, s28, s26
	s_cselect_b32 s14, s29, s27
	s_cmp_lg_u32 s7, 0
	s_sub_co_ci_u32 s7, s21, s23
	s_cmp_ge_u32 s7, s11
	s_cselect_b32 s20, -1, 0
	s_cmp_ge_u32 s3, s10
	s_cselect_b32 s3, -1, 0
	s_cmp_eq_u32 s7, s11
	s_cselect_b32 s3, s3, s20
	s_delay_alu instid0(SALU_CYCLE_1) | instskip(SKIP_4) | instid1(SALU_CYCLE_1)
	s_cmp_lg_u32 s3, 0
	s_mov_b32 s3, s17
	s_cselect_b32 s11, s14, s25
	s_cselect_b32 s10, s9, s24
	s_xor_b64 s[12:13], s[12:13], 0
	s_xor_b64 s[10:11], s[10:11], s[12:13]
	s_delay_alu instid0(SALU_CYCLE_1)
	s_sub_nc_u64 s[20:21], s[10:11], s[12:13]
	s_and_not1_b32 vcc_lo, exec_lo, s3
	s_cbranch_vccnz .LBB39_3
.LBB39_2:
	v_cvt_f32_u32_e32 v1, s16
	s_sub_co_i32 s7, 0, s16
	s_mov_b32 s21, 0
	s_delay_alu instid0(VALU_DEP_1) | instskip(SKIP_1) | instid1(TRANS32_DEP_1)
	v_rcp_iflag_f32_e32 v1, v1
	v_nop
	v_mul_f32_e32 v1, 0x4f7ffffe, v1
	s_delay_alu instid0(VALU_DEP_1) | instskip(NEXT) | instid1(VALU_DEP_1)
	v_cvt_u32_f32_e32 v1, v1
	v_readfirstlane_b32 s3, v1
	s_mul_i32 s7, s7, s3
	s_delay_alu instid0(SALU_CYCLE_1) | instskip(NEXT) | instid1(SALU_CYCLE_1)
	s_mul_hi_u32 s7, s3, s7
	s_add_co_i32 s3, s3, s7
	s_delay_alu instid0(SALU_CYCLE_1) | instskip(NEXT) | instid1(SALU_CYCLE_1)
	s_mul_hi_u32 s3, s8, s3
	s_mul_i32 s7, s3, s16
	s_delay_alu instid0(SALU_CYCLE_1)
	s_sub_co_i32 s7, s8, s7
	s_add_co_i32 s8, s3, 1
	s_sub_co_i32 s9, s7, s16
	s_cmp_ge_u32 s7, s16
	s_cselect_b32 s3, s8, s3
	s_cselect_b32 s7, s9, s7
	s_add_co_i32 s8, s3, 1
	s_cmp_ge_u32 s7, s16
	s_cselect_b32 s20, s8, s3
.LBB39_3:
	s_add_co_i32 s8, s2, 1
	s_delay_alu instid0(SALU_CYCLE_1) | instskip(NEXT) | instid1(SALU_CYCLE_1)
	s_ashr_i32 s9, s8, 31
	s_mul_u64 s[8:9], s[18:19], s[8:9]
	s_delay_alu instid0(SALU_CYCLE_1) | instskip(NEXT) | instid1(SALU_CYCLE_1)
	s_and_b64 s[10:11], s[8:9], 0xffffffff00000000
	s_cmp_lg_u64 s[10:11], 0
	s_cbranch_scc0 .LBB39_22
; %bb.4:
	s_add_nc_u64 s[10:11], s[16:17], 0
	s_delay_alu instid0(SALU_CYCLE_1) | instskip(SKIP_4) | instid1(SALU_CYCLE_2)
	s_xor_b64 s[12:13], s[10:11], 0
	s_mov_b32 s11, 0
	s_cvt_f32_u32 s3, s12
	s_cvt_f32_u32 s7, s13
	s_sub_nc_u64 s[24:25], 0, s[12:13]
	s_fmamk_f32 s3, s7, 0x4f800000, s3
	s_delay_alu instid0(SALU_CYCLE_3) | instskip(NEXT) | instid1(TRANS32_DEP_1)
	v_s_rcp_f32 s3, s3
	s_mul_f32 s3, s3, 0x5f7ffffc
	s_delay_alu instid0(SALU_CYCLE_3) | instskip(NEXT) | instid1(SALU_CYCLE_3)
	s_mul_f32 s7, s3, 0x2f800000
	s_trunc_f32 s7, s7
	s_delay_alu instid0(SALU_CYCLE_3) | instskip(SKIP_1) | instid1(SALU_CYCLE_2)
	s_fmamk_f32 s3, s7, 0xcf800000, s3
	s_cvt_u32_f32 s23, s7
	s_cvt_u32_f32 s22, s3
	s_delay_alu instid0(SALU_CYCLE_3) | instskip(NEXT) | instid1(SALU_CYCLE_1)
	s_mul_u64 s[26:27], s[24:25], s[22:23]
	s_mul_hi_u32 s29, s22, s27
	s_mul_i32 s28, s22, s27
	s_mul_hi_u32 s10, s22, s26
	s_mul_i32 s7, s23, s26
	s_add_nc_u64 s[28:29], s[10:11], s[28:29]
	s_mul_hi_u32 s3, s23, s26
	s_mul_hi_u32 s14, s23, s27
	s_add_co_u32 s7, s28, s7
	s_add_co_ci_u32 s10, s29, s3
	s_mul_i32 s26, s23, s27
	s_add_co_ci_u32 s27, s14, 0
	s_delay_alu instid0(SALU_CYCLE_1) | instskip(NEXT) | instid1(SALU_CYCLE_1)
	s_add_nc_u64 s[26:27], s[10:11], s[26:27]
	s_add_co_u32 s22, s22, s26
	s_cselect_b32 s3, -1, 0
	s_delay_alu instid0(SALU_CYCLE_1) | instskip(SKIP_1) | instid1(SALU_CYCLE_1)
	s_cmp_lg_u32 s3, 0
	s_add_co_ci_u32 s23, s23, s27
	s_mul_u64 s[24:25], s[24:25], s[22:23]
	s_delay_alu instid0(SALU_CYCLE_1)
	s_mul_hi_u32 s27, s22, s25
	s_mul_i32 s26, s22, s25
	s_mul_hi_u32 s10, s22, s24
	s_mul_i32 s7, s23, s24
	s_add_nc_u64 s[26:27], s[10:11], s[26:27]
	s_mul_hi_u32 s3, s23, s24
	s_mul_hi_u32 s14, s23, s25
	s_add_co_u32 s7, s26, s7
	s_add_co_ci_u32 s10, s27, s3
	s_mul_i32 s24, s23, s25
	s_add_co_ci_u32 s25, s14, 0
	s_delay_alu instid0(SALU_CYCLE_1) | instskip(NEXT) | instid1(SALU_CYCLE_1)
	s_add_nc_u64 s[24:25], s[10:11], s[24:25]
	s_add_co_u32 s3, s22, s24
	s_cselect_b32 s7, -1, 0
	s_delay_alu instid0(SALU_CYCLE_1) | instskip(SKIP_2) | instid1(SALU_CYCLE_1)
	s_cmp_lg_u32 s7, 0
	s_add_co_ci_u32 s7, s23, s25
	s_ashr_i32 s22, s9, 31
	s_mov_b32 s23, s22
	s_delay_alu instid0(SALU_CYCLE_1) | instskip(NEXT) | instid1(SALU_CYCLE_1)
	s_add_nc_u64 s[24:25], s[8:9], s[22:23]
	s_xor_b64 s[24:25], s[24:25], s[22:23]
	s_delay_alu instid0(SALU_CYCLE_1)
	s_mul_hi_u32 s27, s24, s7
	s_mul_i32 s26, s24, s7
	s_mul_hi_u32 s10, s24, s3
	s_mul_hi_u32 s14, s25, s3
	s_mul_i32 s3, s25, s3
	s_add_nc_u64 s[26:27], s[10:11], s[26:27]
	s_mul_hi_u32 s9, s25, s7
	s_add_co_u32 s3, s26, s3
	s_add_co_ci_u32 s10, s27, s14
	s_mul_i32 s28, s25, s7
	s_add_co_ci_u32 s29, s9, 0
	s_delay_alu instid0(SALU_CYCLE_1) | instskip(NEXT) | instid1(SALU_CYCLE_1)
	s_add_nc_u64 s[26:27], s[10:11], s[28:29]
	s_and_b64 s[28:29], s[26:27], 0xffffffff00000000
	s_delay_alu instid0(SALU_CYCLE_1) | instskip(NEXT) | instid1(SALU_CYCLE_1)
	s_or_b32 s28, s28, s26
	s_mul_u64 s[26:27], s[12:13], s[28:29]
	s_add_nc_u64 s[30:31], s[28:29], 1
	s_sub_co_u32 s3, s24, s26
	s_cselect_b32 s7, -1, 0
	s_sub_co_i32 s9, s25, s27
	s_cmp_lg_u32 s7, 0
	s_add_nc_u64 s[34:35], s[28:29], 2
	s_sub_co_ci_u32 s9, s9, s13
	s_sub_co_u32 s10, s3, s12
	s_cselect_b32 s14, -1, 0
	s_delay_alu instid0(SALU_CYCLE_1) | instskip(SKIP_1) | instid1(SALU_CYCLE_1)
	s_cmp_lg_u32 s14, 0
	s_sub_co_ci_u32 s9, s9, 0
	s_cmp_ge_u32 s9, s13
	s_cselect_b32 s14, -1, 0
	s_cmp_ge_u32 s10, s12
	s_cselect_b32 s10, -1, 0
	s_cmp_eq_u32 s9, s13
	s_cselect_b32 s9, s10, s14
	s_delay_alu instid0(SALU_CYCLE_1) | instskip(SKIP_4) | instid1(SALU_CYCLE_1)
	s_cmp_lg_u32 s9, 0
	s_cselect_b32 s9, s34, s30
	s_cselect_b32 s10, s35, s31
	s_cmp_lg_u32 s7, 0
	s_sub_co_ci_u32 s7, s25, s27
	s_cmp_ge_u32 s7, s13
	s_cselect_b32 s14, -1, 0
	s_cmp_ge_u32 s3, s12
	s_cselect_b32 s3, -1, 0
	s_cmp_eq_u32 s7, s13
	s_cselect_b32 s3, s3, s14
	s_delay_alu instid0(SALU_CYCLE_1) | instskip(SKIP_3) | instid1(SALU_CYCLE_1)
	s_cmp_lg_u32 s3, 0
	s_cselect_b32 s13, s10, s29
	s_cselect_b32 s12, s9, s28
	s_xor_b64 s[22:23], s[22:23], 0
	s_xor_b64 s[12:13], s[12:13], s[22:23]
	s_delay_alu instid0(SALU_CYCLE_1)
	s_sub_nc_u64 s[24:25], s[12:13], s[22:23]
	s_load_b96 s[12:14], s[0:1], 0x44
	s_cbranch_execnz .LBB39_6
.LBB39_5:
	v_cvt_f32_u32_e32 v1, s16
	s_sub_co_i32 s7, 0, s16
	s_delay_alu instid0(VALU_DEP_1) | instskip(SKIP_1) | instid1(TRANS32_DEP_1)
	v_rcp_iflag_f32_e32 v1, v1
	v_nop
	v_mul_f32_e32 v1, 0x4f7ffffe, v1
	s_delay_alu instid0(VALU_DEP_1) | instskip(NEXT) | instid1(VALU_DEP_1)
	v_cvt_u32_f32_e32 v1, v1
	v_readfirstlane_b32 s3, v1
	s_mul_i32 s7, s7, s3
	s_delay_alu instid0(SALU_CYCLE_1) | instskip(NEXT) | instid1(SALU_CYCLE_1)
	s_mul_hi_u32 s7, s3, s7
	s_add_co_i32 s3, s3, s7
	s_delay_alu instid0(SALU_CYCLE_1) | instskip(NEXT) | instid1(SALU_CYCLE_1)
	s_mul_hi_u32 s3, s8, s3
	s_mul_i32 s7, s3, s16
	s_delay_alu instid0(SALU_CYCLE_1)
	s_sub_co_i32 s7, s8, s7
	s_add_co_i32 s8, s3, 1
	s_sub_co_i32 s9, s7, s16
	s_cmp_ge_u32 s7, s16
	s_cselect_b32 s3, s8, s3
	s_cselect_b32 s7, s9, s7
	s_add_co_i32 s8, s3, 1
	s_cmp_ge_u32 s7, s16
	s_cselect_b32 s24, s8, s3
.LBB39_6:
	s_delay_alu instid0(SALU_CYCLE_1)
	s_cmp_eq_u32 s20, s24
	s_mov_b64 s[8:9], 0xffffffff
	s_cselect_b32 s3, -1, 0
	s_and_b64 s[8:9], s[20:21], s[8:9]
	s_mov_b32 s23, 0
	s_wait_kmcnt 0x0
	s_mov_b32 s22, s12
	s_mov_b32 s25, s23
	s_mul_u64 s[10:11], s[8:9], s[22:23]
	s_delay_alu instid0(SALU_CYCLE_1) | instskip(SKIP_2) | instid1(SALU_CYCLE_1)
	s_add_co_i32 s7, s11, s20
	s_mul_u64 s[10:11], s[24:25], s[22:23]
	s_lshr_b32 s12, s7, s13
	s_mul_i32 s7, s12, s14
	s_delay_alu instid0(SALU_CYCLE_1) | instskip(SKIP_2) | instid1(SALU_CYCLE_1)
	s_cmp_eq_u32 s7, s20
	s_cselect_b32 s7, -1, 0
	s_add_co_i32 s10, s11, s24
	s_lshr_b32 s10, s10, s13
	s_delay_alu instid0(SALU_CYCLE_1)
	s_cmp_eq_u32 s12, s10
	s_mul_i32 s10, s10, s14
	s_cselect_b32 s11, -1, 0
	s_cmp_lg_u32 s10, s24
	s_cselect_b32 s10, -1, 0
	s_or_b32 s3, s3, s7
	s_and_b32 s10, s11, s10
	s_delay_alu instid0(SALU_CYCLE_1) | instskip(NEXT) | instid1(SALU_CYCLE_1)
	s_or_b32 s3, s3, s10
	s_and_b32 vcc_lo, exec_lo, s3
	s_cbranch_vccnz .LBB39_24
; %bb.7:
	s_load_b256 s[24:31], s[0:1], 0x20
	s_bfe_u32 s7, ttmp6, 0x40014
	s_bfe_u32 s33, ttmp6, 0x40010
	s_lshr_b32 s3, ttmp7, 16
	s_add_co_i32 s7, s7, 1
	s_and_b32 s21, ttmp7, 0xffff
	s_add_co_i32 s33, s33, 1
	s_bfe_u32 s10, ttmp6, 0x40008
	s_mul_i32 s7, s3, s7
	s_bfe_u32 s34, ttmp6, 0x40004
	s_mul_i32 s33, s21, s33
	s_mov_b32 s11, s23
	s_add_co_i32 s35, s10, s7
	s_add_co_i32 s34, s34, s33
	s_cmp_eq_u32 s15, 0
	s_cselect_b32 s7, s21, s34
	s_cselect_b32 s3, s3, s35
	s_wait_kmcnt 0x0
	s_mov_b32 s10, s24
	s_delay_alu instid0(SALU_CYCLE_1) | instskip(NEXT) | instid1(SALU_CYCLE_1)
	s_mul_u64 s[8:9], s[8:9], s[10:11]
	s_add_co_i32 s8, s9, s20
	s_delay_alu instid0(SALU_CYCLE_1) | instskip(SKIP_2) | instid1(SALU_CYCLE_1)
	s_lshr_b32 s15, s8, s25
	s_load_b32 s8, s[0:1], 0x40
	s_mul_i32 s9, s15, s26
	s_sub_co_i32 s9, s20, s9
	s_delay_alu instid0(SALU_CYCLE_1) | instskip(NEXT) | instid1(SALU_CYCLE_1)
	s_mul_hi_u32 s10, s9, s27
	s_add_co_i32 s10, s9, s10
	s_delay_alu instid0(SALU_CYCLE_1) | instskip(NEXT) | instid1(SALU_CYCLE_1)
	s_lshr_b32 s21, s10, s28
	s_mul_i32 s10, s21, s29
	s_delay_alu instid0(SALU_CYCLE_1) | instskip(NEXT) | instid1(SALU_CYCLE_1)
	s_sub_co_i32 s10, s9, s10
	s_mul_hi_u32 s9, s10, s30
	s_delay_alu instid0(SALU_CYCLE_1) | instskip(NEXT) | instid1(SALU_CYCLE_1)
	s_add_co_i32 s9, s10, s9
	s_lshr_b32 s25, s9, s31
	s_mov_b32 s9, s23
	s_wait_kmcnt 0x0
	s_mul_i32 s8, s25, s8
	s_lshl_b32 s25, s25, 1
	s_sub_co_i32 s8, s10, s8
	s_delay_alu instid0(SALU_CYCLE_1) | instskip(NEXT) | instid1(SALU_CYCLE_1)
	s_mul_u64 s[10:11], s[8:9], s[22:23]
	s_add_co_i32 s8, s8, s11
	s_delay_alu instid0(SALU_CYCLE_1) | instskip(NEXT) | instid1(SALU_CYCLE_1)
	s_lshr_b32 s24, s8, s13
	s_lshl_b32 s8, s24, 4
	s_delay_alu instid0(SALU_CYCLE_1) | instskip(NEXT) | instid1(SALU_CYCLE_1)
	s_add_co_i32 s8, s8, s7
	s_cmp_lt_i32 s8, s4
	s_cselect_b32 s8, -1, 0
	s_add_co_i32 s25, s25, s3
	s_delay_alu instid0(SALU_CYCLE_1) | instskip(SKIP_1) | instid1(SALU_CYCLE_1)
	s_cmp_lt_i32 s25, s6
	s_cselect_b32 s9, -1, 0
	s_and_b32 s8, s8, s9
	s_delay_alu instid0(SALU_CYCLE_1)
	s_and_not1_b32 vcc_lo, exec_lo, s8
	s_cbranch_vccnz .LBB39_24
; %bb.8:
	s_load_b128 s[8:11], s[0:1], 0x0
	s_wait_xcnt 0x0
	s_mul_i32 s0, s15, s4
	s_mul_i32 s21, s21, s6
	s_add_co_i32 s0, s0, s7
	s_add_co_i32 s1, s25, s21
	s_mul_i32 s0, s0, s5
	s_mul_i32 s4, s5, s24
	s_add_co_i32 s0, s1, s0
	s_mulk_i32 s4, 0x600
	s_mulk_i32 s0, 0x60
	s_lshl_b32 s15, s7, 1
	v_add3_u32 v2, s4, s0, v0
	s_add_nc_u64 s[0:1], s[16:17], 0
	s_add_co_i32 s15, s15, s3
	s_xor_b64 s[6:7], s[0:1], 0
	s_lshl_b32 s0, s2, 5
	s_cvt_f32_u32 s3, s6
	s_cvt_f32_u32 s4, s7
	s_add_co_i32 s0, s15, s0
	v_cvt_f32_u32_e32 v4, s16
	s_wait_kmcnt 0x0
	global_load_b32 v1, v2, s[8:9] scale_offset
	s_fmamk_f32 s3, s4, 0x4f800000, s3
	s_ashr_i32 s1, s0, 31
	s_lshl_b32 s24, s16, 7
	s_lshl_b64 s[0:1], s[0:1], 3
	v_s_rcp_f32 s3, s3
	s_add_nc_u64 s[0:1], s[10:11], s[0:1]
	v_rcp_iflag_f32_e32 v4, v4
	s_load_b64 s[28:29], s[0:1], 0x0
	s_mov_b32 s25, 0
	v_mad_u32 v6, 0x60, s15, v0
	v_ashrrev_i32_e32 v3, 31, v2
	s_wait_xcnt 0x0
	s_lshl_b64 s[0:1], s[24:25], 2
	s_mul_f32 s3, s3, 0x5f7ffffc
	v_mul_f32_e32 v4, 0x4f7ffffe, v4
	s_add_nc_u64 s[26:27], s[10:11], s[0:1]
	v_lshl_add_u64 v[2:3], v[2:3], 2, s[8:9]
	s_mul_f32 s4, s3, 0x2f800000
	s_mov_b64 s[8:9], 0xffffffff
	v_cvt_u32_f32_e32 v7, v4
	s_add_co_i32 s36, s2, -1
	s_trunc_f32 s4, s4
	s_sub_nc_u64 s[34:35], 0, s[6:7]
	s_delay_alu instid0(SALU_CYCLE_2)
	s_fmamk_f32 s0, s4, 0xcf800000, s3
	s_cvt_u32_f32 s31, s4
	s_wait_kmcnt 0x0
	v_mov_b32_e32 v0, s29
	s_cvt_u32_f32 s30, s0
.LBB39_9:                               ; =>This Inner Loop Header: Depth=1
	s_ashr_i32 s37, s36, 31
                                        ; implicit-def: $sgpr40_sgpr41
	s_delay_alu instid0(SALU_CYCLE_1) | instskip(NEXT) | instid1(SALU_CYCLE_1)
	s_mul_u64 s[0:1], s[36:37], s[18:19]
	s_and_b64 s[2:3], s[0:1], 0xffffffff00000000
	s_delay_alu instid0(SALU_CYCLE_1)
	s_cmp_lg_u64 s[2:3], 0
	s_mov_b32 s2, -1
	s_cbranch_scc0 .LBB39_11
; %bb.10:                               ;   in Loop: Header=BB39_9 Depth=1
	s_mul_u64 s[2:3], s[34:35], s[30:31]
	s_delay_alu instid0(SALU_CYCLE_1)
	s_mul_hi_u32 s5, s30, s3
	s_mul_i32 s4, s30, s3
	s_mul_hi_u32 s24, s30, s2
	s_mul_hi_u32 s17, s31, s2
	s_add_nc_u64 s[4:5], s[24:25], s[4:5]
	s_mul_i32 s2, s31, s2
	s_mul_hi_u32 s21, s31, s3
	s_add_co_u32 s2, s4, s2
	s_add_co_ci_u32 s24, s5, s17
	s_add_co_ci_u32 s5, s21, 0
	s_mul_i32 s4, s31, s3
	s_delay_alu instid0(SALU_CYCLE_1) | instskip(NEXT) | instid1(SALU_CYCLE_1)
	s_add_nc_u64 s[2:3], s[24:25], s[4:5]
	s_add_co_u32 s2, s30, s2
	s_cselect_b32 s4, -1, 0
	s_delay_alu instid0(SALU_CYCLE_1) | instskip(SKIP_1) | instid1(SALU_CYCLE_1)
	s_cmp_lg_u32 s4, 0
	s_add_co_ci_u32 s3, s31, s3
	s_mul_u64 s[4:5], s[34:35], s[2:3]
	s_delay_alu instid0(SALU_CYCLE_1)
	s_mul_hi_u32 s39, s2, s5
	s_mul_i32 s38, s2, s5
	s_mul_hi_u32 s24, s2, s4
	s_mul_hi_u32 s17, s3, s4
	s_mul_i32 s4, s3, s4
	s_add_nc_u64 s[38:39], s[24:25], s[38:39]
	s_mul_hi_u32 s21, s3, s5
	s_add_co_u32 s4, s38, s4
	s_add_co_ci_u32 s24, s39, s17
	s_mul_i32 s4, s3, s5
	s_add_co_ci_u32 s5, s21, 0
	s_delay_alu instid0(SALU_CYCLE_1) | instskip(NEXT) | instid1(SALU_CYCLE_1)
	s_add_nc_u64 s[4:5], s[24:25], s[4:5]
	s_add_co_u32 s17, s2, s4
	s_cselect_b32 s2, -1, 0
	s_delay_alu instid0(SALU_CYCLE_1) | instskip(SKIP_2) | instid1(SALU_CYCLE_1)
	s_cmp_lg_u32 s2, 0
	s_add_co_ci_u32 s21, s3, s5
	s_ashr_i32 s2, s1, 31
	s_mov_b32 s3, s2
	s_delay_alu instid0(SALU_CYCLE_1) | instskip(NEXT) | instid1(SALU_CYCLE_1)
	s_add_nc_u64 s[4:5], s[0:1], s[2:3]
	s_xor_b64 s[4:5], s[4:5], s[2:3]
	s_delay_alu instid0(SALU_CYCLE_1)
	s_mul_hi_u32 s39, s4, s21
	s_mul_i32 s38, s4, s21
	s_mul_hi_u32 s24, s4, s17
	s_mul_hi_u32 s29, s5, s17
	s_mul_i32 s17, s5, s17
	s_add_nc_u64 s[38:39], s[24:25], s[38:39]
	s_mul_hi_u32 s1, s5, s21
	s_add_co_u32 s17, s38, s17
	s_add_co_ci_u32 s24, s39, s29
	s_mul_i32 s40, s5, s21
	s_add_co_ci_u32 s41, s1, 0
	s_delay_alu instid0(SALU_CYCLE_1) | instskip(NEXT) | instid1(SALU_CYCLE_1)
	s_add_nc_u64 s[38:39], s[24:25], s[40:41]
	s_and_b64 s[40:41], s[38:39], 0xffffffff00000000
	s_delay_alu instid0(SALU_CYCLE_1) | instskip(NEXT) | instid1(SALU_CYCLE_1)
	s_or_b32 s40, s40, s38
	s_mul_u64 s[38:39], s[6:7], s[40:41]
	s_add_nc_u64 s[42:43], s[40:41], 1
	s_sub_co_u32 s1, s4, s38
	s_cselect_b32 s4, -1, 0
	s_sub_co_i32 s17, s5, s39
	s_cmp_lg_u32 s4, 0
	s_add_nc_u64 s[44:45], s[40:41], 2
	s_sub_co_ci_u32 s17, s17, s7
	s_sub_co_u32 s21, s1, s6
	s_cselect_b32 s24, -1, 0
	s_delay_alu instid0(SALU_CYCLE_1) | instskip(SKIP_1) | instid1(SALU_CYCLE_1)
	s_cmp_lg_u32 s24, 0
	s_sub_co_ci_u32 s17, s17, 0
	s_cmp_ge_u32 s17, s7
	s_cselect_b32 s24, -1, 0
	s_cmp_ge_u32 s21, s6
	s_cselect_b32 s21, -1, 0
	s_cmp_eq_u32 s17, s7
	s_cselect_b32 s17, s21, s24
	s_delay_alu instid0(SALU_CYCLE_1) | instskip(SKIP_4) | instid1(SALU_CYCLE_1)
	s_cmp_lg_u32 s17, 0
	s_cselect_b32 s17, s44, s42
	s_cselect_b32 s21, s45, s43
	s_cmp_lg_u32 s4, 0
	s_sub_co_ci_u32 s4, s5, s39
	s_cmp_ge_u32 s4, s7
	s_cselect_b32 s5, -1, 0
	s_cmp_ge_u32 s1, s6
	s_cselect_b32 s1, -1, 0
	s_cmp_eq_u32 s4, s7
	s_cselect_b32 s1, s1, s5
	s_delay_alu instid0(SALU_CYCLE_1) | instskip(SKIP_3) | instid1(SALU_CYCLE_1)
	s_cmp_lg_u32 s1, 0
	s_cselect_b32 s5, s21, s41
	s_cselect_b32 s4, s17, s40
	s_xor_b64 s[2:3], s[2:3], 0
	s_xor_b64 s[4:5], s[4:5], s[2:3]
	s_delay_alu instid0(SALU_CYCLE_1)
	s_sub_nc_u64 s[40:41], s[4:5], s[2:3]
	s_mov_b32 s2, 0
.LBB39_11:                              ;   in Loop: Header=BB39_9 Depth=1
	s_delay_alu instid0(SALU_CYCLE_1)
	s_and_not1_b32 vcc_lo, exec_lo, s2
	s_cbranch_vccnz .LBB39_13
; %bb.12:                               ;   in Loop: Header=BB39_9 Depth=1
	v_readfirstlane_b32 s1, v7
	s_sub_co_i32 s2, 0, s16
	s_delay_alu instid0(SALU_CYCLE_1) | instskip(NEXT) | instid1(SALU_CYCLE_1)
	s_mul_i32 s2, s2, s1
	s_mul_hi_u32 s2, s1, s2
	s_delay_alu instid0(SALU_CYCLE_1) | instskip(NEXT) | instid1(SALU_CYCLE_1)
	s_add_co_i32 s1, s1, s2
	s_mul_hi_u32 s1, s0, s1
	s_delay_alu instid0(SALU_CYCLE_1) | instskip(NEXT) | instid1(SALU_CYCLE_1)
	s_mul_i32 s2, s1, s16
	s_sub_co_i32 s0, s0, s2
	s_add_co_i32 s2, s1, 1
	s_sub_co_i32 s3, s0, s16
	s_cmp_ge_u32 s0, s16
	s_cselect_b32 s1, s2, s1
	s_cselect_b32 s0, s3, s0
	s_add_co_i32 s2, s1, 1
	s_cmp_ge_u32 s0, s16
	s_cselect_b32 s24, s2, s1
	s_delay_alu instid0(SALU_CYCLE_1)
	s_mov_b64 s[40:41], s[24:25]
.LBB39_13:                              ;   in Loop: Header=BB39_9 Depth=1
	s_delay_alu instid0(SALU_CYCLE_1)
	s_cmp_lg_u32 s20, s40
	s_mov_b32 s0, -1
                                        ; implicit-def: $vgpr4_vgpr5
                                        ; implicit-def: $sgpr24
                                        ; implicit-def: $sgpr17
                                        ; implicit-def: $sgpr21
                                        ; implicit-def: $sgpr29
	s_cbranch_scc0 .LBB39_18
; %bb.14:                               ;   in Loop: Header=BB39_9 Depth=1
	s_add_co_i32 s0, s36, s16
	v_max_num_f32_e64 v4, s28, s28
	s_lshl_b32 s0, s0, 5
	s_mov_b32 s29, s20
	s_add_co_i32 s0, s0, s15
	s_load_b64 s[38:39], s[10:11], s0 offset:0x0 scale_offset
	s_wait_xcnt 0x0
	v_readfirstlane_b32 s0, v4
	s_wait_kmcnt 0x0
	v_max_num_f32_e64 v5, s38, s38
	s_delay_alu instid0(VALU_DEP_1) | instskip(SKIP_1) | instid1(SALU_CYCLE_3)
	v_readfirstlane_b32 s1, v5
	s_max_num_f32 s17, s0, s1
	s_sub_f32 s33, s28, s17
	s_sub_f32 s37, s38, s17
	s_delay_alu instid0(SALU_CYCLE_2)
	s_cmp_nlt_f32 s33, 0xc2ce8ed0
	s_cselect_b32 s1, -1, 0
	s_cmp_ngt_f32 s33, 0x42b17218
	s_cselect_b32 s2, -1, 0
	s_cmp_ge_f32 s33, 0xc1a00000
	s_cselect_b32 s0, -1, 0
	s_cmp_nlt_f32 s37, 0xc2ce8ed0
	s_cselect_b32 s3, -1, 0
	s_cmp_ngt_f32 s37, 0x42b17218
	s_cselect_b32 s4, -1, 0
	s_cmp_ge_f32 s37, 0xc1a00000
	s_cselect_b32 s5, -1, 0
	s_and_b64 s[42:43], s[40:41], s[8:9]
	s_delay_alu instid0(SALU_CYCLE_1) | instskip(NEXT) | instid1(SALU_CYCLE_1)
	s_mul_u64 s[42:43], s[42:43], s[22:23]
	s_add_co_i32 s21, s43, s40
	s_delay_alu instid0(SALU_CYCLE_1) | instskip(NEXT) | instid1(SALU_CYCLE_1)
	s_lshr_b32 s21, s21, s13
	s_mul_i32 s24, s21, s14
	s_delay_alu instid0(SALU_CYCLE_1) | instskip(SKIP_3) | instid1(SALU_CYCLE_1)
	s_cmp_eq_u32 s24, s40
	s_cselect_b32 s24, -1, 0
	s_cmp_lt_u32 s21, s12
	s_cselect_b32 s21, -1, 0
	s_or_b32 s21, s21, s24
	s_mov_b32 s24, -1
	s_and_b32 vcc_lo, exec_lo, s21
	s_mov_b32 s21, s36
	s_cbranch_vccnz .LBB39_16
; %bb.15:                               ;   in Loop: Header=BB39_9 Depth=1
	s_add_co_i32 s21, s36, -1
	s_mov_b32 s24, 0
	s_mov_b32 s29, s40
.LBB39_16:                              ;   in Loop: Header=BB39_9 Depth=1
	v_mad_u32 v4, 0xc00, s36, v6
	s_mul_f32 s40, s33, 0x3fb8aa3b
	s_mul_f32 s38, s37, 0x3fb8aa3b
	s_delay_alu instid0(SALU_CYCLE_2)
	s_xor_b32 s42, s40, 0x80000000
	s_rndne_f32 s44, s40
	s_fmamk_f32 s42, s33, 0x3fb8aa3b, s42
	s_xor_b32 s41, s38, 0x80000000
	s_rndne_f32 s43, s38
	s_sub_f32 s40, s40, s44
	global_load_b32 v5, v4, s[26:27] scale_offset
	s_fmamk_f32 s33, s33, 0x32a5705f, s42
	s_fmamk_f32 s41, s37, 0x3fb8aa3b, s41
	s_sub_f32 s38, s38, s43
	s_delay_alu instid0(SALU_CYCLE_1) | instskip(NEXT) | instid1(SALU_CYCLE_1)
	s_add_f32 s33, s40, s33
	s_fmamk_f32 s37, s37, 0x32a5705f, s41
	s_cvt_i32_f32 s40, s44
	s_delay_alu instid0(SALU_CYCLE_1) | instskip(NEXT) | instid1(SALU_CYCLE_1)
	v_s_exp_f32 s33, s33
	s_add_f32 s37, s38, s37
	s_cvt_i32_f32 s38, s43
	s_delay_alu instid0(SALU_CYCLE_2) | instskip(NEXT) | instid1(TRANS32_DEP_2)
	v_s_exp_f32 s37, s37
	v_ldexp_f32 v8, s33, s40
	s_wait_xcnt 0x0
	s_delay_alu instid0(TRANS32_DEP_1) | instskip(NEXT) | instid1(VALU_DEP_2)
	v_ldexp_f32 v4, s37, s38
	v_cndmask_b32_e64 v8, 0, v8, s1
	s_delay_alu instid0(VALU_DEP_1) | instskip(NEXT) | instid1(VALU_DEP_1)
	v_cndmask_b32_e64 v9, 0x7f800000, v8, s2
	v_dual_cndmask_b32 v4, 0, v4, s3 :: v_dual_cndmask_b32 v10, 0, v9, s0
	s_delay_alu instid0(VALU_DEP_1) | instskip(NEXT) | instid1(VALU_DEP_1)
	v_cndmask_b32_e64 v4, 0x7f800000, v4, s4
	v_dual_cndmask_b32 v8, 0, v4, s5 :: v_dual_mov_b32 v4, s39
	s_wait_loadcnt 0x0
	s_delay_alu instid0(VALU_DEP_1) | instskip(NEXT) | instid1(VALU_DEP_1)
	v_pk_mul_f32 v[4:5], v[4:5], v[8:9] op_sel_hi:[1,0]
	v_pk_fma_f32 v[4:5], v[0:1], v[10:11], v[4:5] op_sel_hi:[1,0,1]
	s_cbranch_execz .LBB39_19
.LBB39_17:                              ;   in Loop: Header=BB39_9 Depth=1
	s_and_not1_b32 vcc_lo, exec_lo, s24
	s_cbranch_vccnz .LBB39_20
	s_branch .LBB39_23
.LBB39_18:                              ;   in Loop: Header=BB39_9 Depth=1
	s_and_not1_b32 vcc_lo, exec_lo, s0
	s_cbranch_vccnz .LBB39_17
.LBB39_19:                              ;   in Loop: Header=BB39_9 Depth=1
	s_wait_loadcnt 0x0
	v_mov_b64_e32 v[4:5], v[0:1]
	s_add_co_i32 s21, s36, -1
	s_mov_b32 s29, s20
	s_mov_b32 s17, s28
	s_cbranch_execz .LBB39_23
.LBB39_20:                              ;   in Loop: Header=BB39_9 Depth=1
	s_wait_loadcnt 0x0
	s_delay_alu instid0(VALU_DEP_1)
	v_mov_b64_e32 v[0:1], v[4:5]
	s_mov_b32 s20, s29
	s_mov_b32 s36, s21
	;; [unrolled: 1-line block ×3, first 2 shown]
	s_branch .LBB39_9
.LBB39_21:
                                        ; implicit-def: $sgpr20_sgpr21
	s_branch .LBB39_2
.LBB39_22:
                                        ; implicit-def: $sgpr24_sgpr25
	s_load_b96 s[12:14], s[0:1], 0x44
	s_branch .LBB39_5
.LBB39_23:
	s_delay_alu instid0(VALU_DEP_1) | instskip(SKIP_1) | instid1(VALU_DEP_1)
	v_div_scale_f32 v0, null, v4, v4, v5
	s_wait_loadcnt 0x0
	v_rcp_f32_e32 v1, v0
	v_nop
	s_delay_alu instid0(TRANS32_DEP_1) | instskip(NEXT) | instid1(VALU_DEP_1)
	v_fma_f32 v6, -v0, v1, 1.0
	v_fmac_f32_e32 v1, v6, v1
	v_div_scale_f32 v6, vcc_lo, v5, v4, v5
	s_delay_alu instid0(VALU_DEP_1) | instskip(NEXT) | instid1(VALU_DEP_1)
	v_mul_f32_e32 v7, v6, v1
	v_fma_f32 v8, -v0, v7, v6
	s_delay_alu instid0(VALU_DEP_1) | instskip(NEXT) | instid1(VALU_DEP_1)
	v_fmac_f32_e32 v7, v8, v1
	v_fma_f32 v0, -v0, v7, v6
	s_delay_alu instid0(VALU_DEP_1) | instskip(NEXT) | instid1(VALU_DEP_1)
	v_div_fmas_f32 v0, v0, v1, v7
	v_div_fixup_f32 v0, v0, v4, v5
	global_store_b32 v[2:3], v0, off
.LBB39_24:
	s_endpgm
	.section	.rodata,"a",@progbits
	.p2align	6, 0x0
	.amdhsa_kernel _ZL33flash_attn_stream_k_fixup_generalILi96ELi16ELi2EEvPfPK15HIP_vector_typeIfLj2EEiiiiS1_IjLj3EES5_S5_S5_
		.amdhsa_group_segment_fixed_size 0
		.amdhsa_private_segment_fixed_size 0
		.amdhsa_kernarg_size 336
		.amdhsa_user_sgpr_count 2
		.amdhsa_user_sgpr_dispatch_ptr 0
		.amdhsa_user_sgpr_queue_ptr 0
		.amdhsa_user_sgpr_kernarg_segment_ptr 1
		.amdhsa_user_sgpr_dispatch_id 0
		.amdhsa_user_sgpr_kernarg_preload_length 0
		.amdhsa_user_sgpr_kernarg_preload_offset 0
		.amdhsa_user_sgpr_private_segment_size 0
		.amdhsa_wavefront_size32 1
		.amdhsa_uses_dynamic_stack 0
		.amdhsa_enable_private_segment 0
		.amdhsa_system_sgpr_workgroup_id_x 1
		.amdhsa_system_sgpr_workgroup_id_y 1
		.amdhsa_system_sgpr_workgroup_id_z 1
		.amdhsa_system_sgpr_workgroup_info 0
		.amdhsa_system_vgpr_workitem_id 0
		.amdhsa_next_free_vgpr 12
		.amdhsa_next_free_sgpr 46
		.amdhsa_named_barrier_count 0
		.amdhsa_reserve_vcc 1
		.amdhsa_float_round_mode_32 0
		.amdhsa_float_round_mode_16_64 0
		.amdhsa_float_denorm_mode_32 3
		.amdhsa_float_denorm_mode_16_64 3
		.amdhsa_fp16_overflow 0
		.amdhsa_memory_ordered 1
		.amdhsa_forward_progress 1
		.amdhsa_inst_pref_size 27
		.amdhsa_round_robin_scheduling 0
		.amdhsa_exception_fp_ieee_invalid_op 0
		.amdhsa_exception_fp_denorm_src 0
		.amdhsa_exception_fp_ieee_div_zero 0
		.amdhsa_exception_fp_ieee_overflow 0
		.amdhsa_exception_fp_ieee_underflow 0
		.amdhsa_exception_fp_ieee_inexact 0
		.amdhsa_exception_int_div_zero 0
	.end_amdhsa_kernel
	.section	.text._ZL33flash_attn_stream_k_fixup_generalILi96ELi16ELi2EEvPfPK15HIP_vector_typeIfLj2EEiiiiS1_IjLj3EES5_S5_S5_,"axG",@progbits,_ZL33flash_attn_stream_k_fixup_generalILi96ELi16ELi2EEvPfPK15HIP_vector_typeIfLj2EEiiiiS1_IjLj3EES5_S5_S5_,comdat
.Lfunc_end39:
	.size	_ZL33flash_attn_stream_k_fixup_generalILi96ELi16ELi2EEvPfPK15HIP_vector_typeIfLj2EEiiiiS1_IjLj3EES5_S5_S5_, .Lfunc_end39-_ZL33flash_attn_stream_k_fixup_generalILi96ELi16ELi2EEvPfPK15HIP_vector_typeIfLj2EEiiiiS1_IjLj3EES5_S5_S5_
                                        ; -- End function
	.set _ZL33flash_attn_stream_k_fixup_generalILi96ELi16ELi2EEvPfPK15HIP_vector_typeIfLj2EEiiiiS1_IjLj3EES5_S5_S5_.num_vgpr, 12
	.set _ZL33flash_attn_stream_k_fixup_generalILi96ELi16ELi2EEvPfPK15HIP_vector_typeIfLj2EEiiiiS1_IjLj3EES5_S5_S5_.num_agpr, 0
	.set _ZL33flash_attn_stream_k_fixup_generalILi96ELi16ELi2EEvPfPK15HIP_vector_typeIfLj2EEiiiiS1_IjLj3EES5_S5_S5_.numbered_sgpr, 46
	.set _ZL33flash_attn_stream_k_fixup_generalILi96ELi16ELi2EEvPfPK15HIP_vector_typeIfLj2EEiiiiS1_IjLj3EES5_S5_S5_.num_named_barrier, 0
	.set _ZL33flash_attn_stream_k_fixup_generalILi96ELi16ELi2EEvPfPK15HIP_vector_typeIfLj2EEiiiiS1_IjLj3EES5_S5_S5_.private_seg_size, 0
	.set _ZL33flash_attn_stream_k_fixup_generalILi96ELi16ELi2EEvPfPK15HIP_vector_typeIfLj2EEiiiiS1_IjLj3EES5_S5_S5_.uses_vcc, 1
	.set _ZL33flash_attn_stream_k_fixup_generalILi96ELi16ELi2EEvPfPK15HIP_vector_typeIfLj2EEiiiiS1_IjLj3EES5_S5_S5_.uses_flat_scratch, 0
	.set _ZL33flash_attn_stream_k_fixup_generalILi96ELi16ELi2EEvPfPK15HIP_vector_typeIfLj2EEiiiiS1_IjLj3EES5_S5_S5_.has_dyn_sized_stack, 0
	.set _ZL33flash_attn_stream_k_fixup_generalILi96ELi16ELi2EEvPfPK15HIP_vector_typeIfLj2EEiiiiS1_IjLj3EES5_S5_S5_.has_recursion, 0
	.set _ZL33flash_attn_stream_k_fixup_generalILi96ELi16ELi2EEvPfPK15HIP_vector_typeIfLj2EEiiiiS1_IjLj3EES5_S5_S5_.has_indirect_call, 0
	.section	.AMDGPU.csdata,"",@progbits
; Kernel info:
; codeLenInByte = 3352
; TotalNumSgprs: 48
; NumVgprs: 12
; ScratchSize: 0
; MemoryBound: 0
; FloatMode: 240
; IeeeMode: 1
; LDSByteSize: 0 bytes/workgroup (compile time only)
; SGPRBlocks: 0
; VGPRBlocks: 0
; NumSGPRsForWavesPerEU: 48
; NumVGPRsForWavesPerEU: 12
; NamedBarCnt: 0
; Occupancy: 16
; WaveLimiterHint : 0
; COMPUTE_PGM_RSRC2:SCRATCH_EN: 0
; COMPUTE_PGM_RSRC2:USER_SGPR: 2
; COMPUTE_PGM_RSRC2:TRAP_HANDLER: 0
; COMPUTE_PGM_RSRC2:TGID_X_EN: 1
; COMPUTE_PGM_RSRC2:TGID_Y_EN: 1
; COMPUTE_PGM_RSRC2:TGID_Z_EN: 1
; COMPUTE_PGM_RSRC2:TIDIG_COMP_CNT: 0
	.section	.text._ZL15flash_attn_tileILi96ELi96ELi8ELi2ELb0EEvPKcS1_S1_S1_S1_PKiPfP15HIP_vector_typeIfLj2EEffffjfiS5_IjLj3EEiiiiiiiiiiiliiliiiiil,"axG",@progbits,_ZL15flash_attn_tileILi96ELi96ELi8ELi2ELb0EEvPKcS1_S1_S1_S1_PKiPfP15HIP_vector_typeIfLj2EEffffjfiS5_IjLj3EEiiiiiiiiiiiliiliiiiil,comdat
	.globl	_ZL15flash_attn_tileILi96ELi96ELi8ELi2ELb0EEvPKcS1_S1_S1_S1_PKiPfP15HIP_vector_typeIfLj2EEffffjfiS5_IjLj3EEiiiiiiiiiiiliiliiiiil ; -- Begin function _ZL15flash_attn_tileILi96ELi96ELi8ELi2ELb0EEvPKcS1_S1_S1_S1_PKiPfP15HIP_vector_typeIfLj2EEffffjfiS5_IjLj3EEiiiiiiiiiiiliiliiiiil
	.p2align	8
	.type	_ZL15flash_attn_tileILi96ELi96ELi8ELi2ELb0EEvPKcS1_S1_S1_S1_PKiPfP15HIP_vector_typeIfLj2EEffffjfiS5_IjLj3EEiiiiiiiiiiiliiliiiiil,@function
_ZL15flash_attn_tileILi96ELi96ELi8ELi2ELb0EEvPKcS1_S1_S1_S1_PKiPfP15HIP_vector_typeIfLj2EEffffjfiS5_IjLj3EEiiiiiiiiiiiliiliiiiil: ; @_ZL15flash_attn_tileILi96ELi96ELi8ELi2ELb0EEvPKcS1_S1_S1_S1_PKiPfP15HIP_vector_typeIfLj2EEffffjfiS5_IjLj3EEiiiiiiiiiiiliiliiiiil
; %bb.0:
	s_clause 0x1
	s_load_b128 s[20:23], s[0:1], 0x5c
	s_load_b64 s[30:31], s[0:1], 0x80
	s_bfe_u32 s5, ttmp6, 0x40014
	s_lshr_b32 s4, ttmp7, 16
	s_add_co_i32 s5, s5, 1
	s_bfe_u32 s6, ttmp6, 0x40008
	s_mul_i32 s5, s4, s5
	s_getreg_b32 s24, hwreg(HW_REG_IB_STS2, 6, 4)
	s_add_co_i32 s6, s6, s5
	s_mov_b32 s37, 0
	s_mov_b64 s[34:35], 0
	s_wait_kmcnt 0x0
	s_lshr_b32 s2, s23, 31
	s_delay_alu instid0(SALU_CYCLE_1) | instskip(NEXT) | instid1(SALU_CYCLE_1)
	s_add_co_i32 s2, s23, s2
	s_ashr_i32 s2, s2, 1
	s_delay_alu instid0(SALU_CYCLE_1) | instskip(SKIP_1) | instid1(SALU_CYCLE_2)
	s_cvt_f32_u32 s3, s2
	s_sub_co_i32 s7, 0, s2
	v_rcp_iflag_f32_e32 v1, s3
	v_nop
	s_delay_alu instid0(TRANS32_DEP_1) | instskip(SKIP_1) | instid1(SALU_CYCLE_3)
	v_readfirstlane_b32 s3, v1
	s_mul_f32 s3, s3, 0x4f7ffffe
	s_cvt_u32_f32 s3, s3
	s_delay_alu instid0(SALU_CYCLE_3) | instskip(NEXT) | instid1(SALU_CYCLE_1)
	s_mul_i32 s7, s7, s3
	s_mul_hi_u32 s7, s3, s7
	s_delay_alu instid0(SALU_CYCLE_1) | instskip(SKIP_2) | instid1(SALU_CYCLE_1)
	s_add_co_i32 s3, s3, s7
	s_cmp_eq_u32 s24, 0
	s_cselect_b32 s4, s4, s6
	s_mul_hi_u32 s3, s4, s3
	s_delay_alu instid0(SALU_CYCLE_1) | instskip(SKIP_2) | instid1(SALU_CYCLE_1)
	s_mul_i32 s5, s3, s2
	s_add_co_i32 s6, s3, 1
	s_sub_co_i32 s5, s4, s5
	s_sub_co_i32 s7, s5, s2
	s_cmp_ge_u32 s5, s2
	s_cselect_b32 s3, s6, s3
	s_cselect_b32 s5, s7, s5
	s_add_co_i32 s6, s3, 1
	s_cmp_ge_u32 s5, s2
	s_cselect_b32 s28, s6, s3
	s_abs_i32 s2, s31
	s_abs_i32 s6, s23
	s_cvt_f32_u32 s3, s2
	s_sub_co_i32 s5, 0, s2
	s_lshl_b32 s25, s4, 1
	s_xor_b32 s4, s23, s31
	v_rcp_iflag_f32_e32 v1, s3
	s_ashr_i32 s26, s4, 31
	v_nop
	s_delay_alu instid0(TRANS32_DEP_1) | instskip(SKIP_1) | instid1(SALU_CYCLE_3)
	v_readfirstlane_b32 s3, v1
	s_mul_f32 s3, s3, 0x4f7ffffe
	s_cvt_u32_f32 s3, s3
	s_delay_alu instid0(SALU_CYCLE_3) | instskip(NEXT) | instid1(SALU_CYCLE_1)
	s_mul_i32 s5, s5, s3
	s_mul_hi_u32 s5, s3, s5
	s_delay_alu instid0(SALU_CYCLE_1) | instskip(NEXT) | instid1(SALU_CYCLE_1)
	s_add_co_i32 s3, s3, s5
	s_mul_hi_u32 s3, s6, s3
	s_delay_alu instid0(SALU_CYCLE_1) | instskip(NEXT) | instid1(SALU_CYCLE_1)
	s_mul_i32 s5, s3, s2
	s_sub_co_i32 s4, s6, s5
	s_add_co_i32 s5, s3, 1
	s_sub_co_i32 s6, s4, s2
	s_cmp_ge_u32 s4, s2
	s_cselect_b32 s3, s5, s3
	s_cselect_b32 s4, s6, s4
	s_add_co_i32 s5, s3, 1
	s_cmp_ge_u32 s4, s2
	s_cselect_b32 s2, s5, s3
	s_load_b512 s[4:19], s[0:1], 0x0
	s_xor_b32 s27, s2, s26
	s_load_b64 s[2:3], s[0:1], 0xb8
	s_sub_co_i32 s29, s27, s26
	s_delay_alu instid0(SALU_CYCLE_1) | instskip(NEXT) | instid1(SALU_CYCLE_1)
	s_abs_i32 s33, s29
	s_cvt_f32_u32 s26, s33
	s_delay_alu instid0(SALU_CYCLE_3) | instskip(SKIP_2) | instid1(TRANS32_DEP_1)
	v_rcp_iflag_f32_e32 v1, s26
	s_mul_i32 s26, s28, s23
	v_nop
	v_readfirstlane_b32 s36, v1
	s_wait_kmcnt 0x0
	s_cmp_eq_u64 s[10:11], 0
	s_cbranch_scc1 .LBB40_2
; %bb.1:
	s_abs_i32 s2, s2
	s_abs_i32 s38, s28
	s_cvt_f32_u32 s27, s2
	s_sub_co_i32 s31, 0, s2
	s_load_b64 s[34:35], s[0:1], 0xc8
	s_delay_alu instid0(SALU_CYCLE_1) | instskip(SKIP_1) | instid1(TRANS32_DEP_1)
	v_rcp_iflag_f32_e32 v1, s27
	v_nop
	v_readfirstlane_b32 s27, v1
	s_mul_f32 s27, s27, 0x4f7ffffe
	s_delay_alu instid0(SALU_CYCLE_3) | instskip(NEXT) | instid1(SALU_CYCLE_3)
	s_cvt_u32_f32 s27, s27
	s_mul_i32 s31, s31, s27
	s_delay_alu instid0(SALU_CYCLE_1) | instskip(NEXT) | instid1(SALU_CYCLE_1)
	s_mul_hi_u32 s31, s27, s31
	s_add_co_i32 s27, s27, s31
	s_ashr_i32 s31, s28, 31
	s_mul_hi_u32 s27, s38, s27
	s_delay_alu instid0(SALU_CYCLE_1) | instskip(NEXT) | instid1(SALU_CYCLE_1)
	s_mul_i32 s27, s27, s2
	s_sub_co_i32 s27, s38, s27
	s_delay_alu instid0(SALU_CYCLE_1) | instskip(SKIP_2) | instid1(SALU_CYCLE_1)
	s_sub_co_i32 s38, s27, s2
	s_cmp_ge_u32 s27, s2
	s_cselect_b32 s27, s38, s27
	s_sub_co_i32 s38, s27, s2
	s_cmp_ge_u32 s27, s2
	s_cselect_b32 s2, s38, s27
	s_delay_alu instid0(SALU_CYCLE_1) | instskip(NEXT) | instid1(SALU_CYCLE_1)
	s_xor_b32 s2, s2, s31
	s_sub_co_i32 s38, s2, s31
	s_delay_alu instid0(SALU_CYCLE_1) | instskip(SKIP_2) | instid1(SALU_CYCLE_1)
	s_ashr_i32 s39, s38, 31
	s_wait_kmcnt 0x0
	s_mul_u64 s[34:35], s[34:35], s[38:39]
	s_add_nc_u64 s[34:35], s[10:11], s[34:35]
.LBB40_2:
	s_bfe_u32 s2, ttmp6, 0x4000c
	s_and_b32 s11, ttmp6, 15
	s_add_co_i32 s2, s2, 1
	s_sub_co_i32 s10, s25, s26
	s_mul_i32 s2, ttmp9, s2
	v_bfe_u32 v2, v0, 10, 10
	s_add_co_i32 s11, s11, s2
	s_cmp_eq_u32 s24, 0
	v_and_b32_e32 v70, 0x3ff, v0
	s_cselect_b32 s11, ttmp9, s11
	s_delay_alu instid0(SALU_CYCLE_1) | instskip(NEXT) | instid1(VALU_DEP_2)
	v_lshl_add_u32 v71, s11, 3, v2
	v_cmp_gt_u32_e64 s2, 24, v70
	v_dual_lshlrev_b32 v59, 2, v70 :: v_dual_lshlrev_b32 v72, 3, v70
	s_delay_alu instid0(VALU_DEP_3) | instskip(NEXT) | instid1(VALU_DEP_1)
	v_mul_hi_u32 v1, s20, v71
	v_add_nc_u32_e32 v1, v71, v1
	s_delay_alu instid0(VALU_DEP_1) | instskip(NEXT) | instid1(VALU_DEP_1)
	v_lshrrev_b32_e32 v1, s21, v1
	v_mul_lo_u32 v1, v1, s22
	s_delay_alu instid0(VALU_DEP_1)
	v_sub_nc_u32_e32 v0, v71, v1
	s_and_saveexec_b32 s20, s2
	s_cbranch_execz .LBB40_4
; %bb.3:
	s_load_b96 s[40:42], s[0:1], 0x70
	v_dual_mov_b32 v1, 0 :: v_dual_lshlrev_b32 v6, 2, v59
	s_delay_alu instid0(VALU_DEP_1)
	v_mov_b32_e32 v7, v1
	s_wait_kmcnt 0x0
	s_ashr_i32 s27, s40, 31
	s_mov_b32 s26, s40
	s_mul_i32 s38, s10, s41
	s_lshr_b64 s[26:27], s[26:27], 2
	s_ashr_i32 s39, s38, 31
	v_mul_u64_e32 v[4:5], s[26:27], v[0:1]
	s_mul_i32 s26, s28, s42
	s_delay_alu instid0(SALU_CYCLE_1) | instskip(NEXT) | instid1(SALU_CYCLE_1)
	s_ashr_i32 s27, s26, 31
	s_add_nc_u64 s[4:5], s[4:5], s[26:27]
	s_delay_alu instid0(SALU_CYCLE_1)
	s_add_nc_u64 s[4:5], s[4:5], s[38:39]
	s_delay_alu instid0(VALU_DEP_1) | instid1(SALU_CYCLE_1)
	v_lshl_add_u64 v[4:5], v[4:5], 2, s[4:5]
	s_ashr_i32 s5, s41, 31
	s_mov_b32 s4, s41
	s_delay_alu instid0(SALU_CYCLE_1) | instskip(NEXT) | instid1(VALU_DEP_1)
	s_and_b64 s[4:5], s[4:5], -4
	v_add_nc_u64_e32 v[12:13], v[4:5], v[6:7]
	s_delay_alu instid0(VALU_DEP_1)
	v_add_nc_u64_e32 v[14:15], s[4:5], v[12:13]
	s_load_b32 s4, s[0:1], 0x40
	s_clause 0x1
	global_load_b128 v[4:7], v[12:13], off
	global_load_b128 v[8:11], v[14:15], off
	s_wait_loadcnt 0x1
	s_wait_kmcnt 0x0
	v_fma_mixlo_f16 v1, s4, v5, 0
	v_fma_mixlo_f16 v3, s4, v4, 0
	;; [unrolled: 1-line block ×4, first 2 shown]
	s_wait_loadcnt 0x0
	v_fma_mixlo_f16 v6, s4, v9, 0
	v_fma_mixlo_f16 v7, s4, v8, 0
	v_lshlrev_b32_e32 v1, 16, v1
	v_and_b32_e32 v3, 0xffff, v3
	s_delay_alu instid0(VALU_DEP_4)
	v_dual_lshlrev_b32 v5, 16, v5 :: v_dual_lshlrev_b32 v6, 16, v6
	v_fma_mixlo_f16 v8, s4, v10, 0
	v_fma_mixlo_f16 v9, s4, v11, 0
	v_and_b32_e32 v7, 0xffff, v7
	v_and_b32_e32 v4, 0xffff, v4
	v_or_b32_e32 v1, v1, v3
	v_and_b32_e32 v8, 0xffff, v8
	s_delay_alu instid0(VALU_DEP_4) | instskip(SKIP_3) | instid1(VALU_DEP_4)
	v_dual_lshlrev_b32 v3, 16, v9 :: v_dual_bitop2_b32 v6, v6, v7 bitop3:0x54
	v_mad_u32_u24 v9, 0x180, v2, v72
	v_or3_b32 v5, v5, v4, 0
	v_or3_b32 v4, 0, 0, v1
	;; [unrolled: 1-line block ×4, first 2 shown]
	v_add_nc_u32_e32 v1, 0x800, v9
	ds_store_2addr_b64 v1, v[4:5], v[6:7] offset0:208 offset1:232
.LBB40_4:
	s_or_b32 exec_lo, exec_lo, s20
	s_cmp_eq_u64 s[14:15], 0
	s_wait_dscnt 0x0
	s_barrier_signal -1
	s_barrier_wait -1
	s_cbranch_scc1 .LBB40_6
; %bb.5:
	s_load_b32 s4, s[0:1], 0xd0
	s_wait_kmcnt 0x0
	s_mul_i32 s4, s4, s28
	s_delay_alu instid0(SALU_CYCLE_1)
	s_add_co_i32 s4, s4, s11
	s_load_b32 s30, s[14:15], s4 offset:0x0 scale_offset
.LBB40_6:
	s_wait_xcnt 0x0
	s_bfe_u32 s4, ttmp6, 0x40010
	s_and_b32 s5, ttmp7, 0xffff
	s_add_co_i32 s4, s4, 1
	s_bfe_u32 s11, ttmp6, 0x40004
	s_mul_i32 s4, s5, s4
	v_mbcnt_lo_u32_b32 v73, -1, 0
	s_add_co_i32 s11, s11, s4
	s_cmp_eq_u32 s24, 0
	s_mov_b32 s4, 0
	s_cselect_b32 s31, s5, s11
	s_delay_alu instid0(SALU_CYCLE_1)
	s_lshl_b32 s14, s31, 5
	s_wait_kmcnt 0x0
	s_cmp_lt_i32 s14, s30
	s_cbranch_scc1 .LBB40_9
; %bb.7:
	v_mbcnt_lo_u32_b32 v1, -1, 0
	s_delay_alu instid0(VALU_DEP_1)
	v_dual_mov_b32 v74, 32 :: v_dual_bitop2_b32 v87, 16, v1 bitop3:0x14
	v_xor_b32_e32 v88, 8, v1
	v_xor_b32_e32 v89, 4, v1
	;; [unrolled: 1-line block ×4, first 2 shown]
	s_and_not1_b32 vcc_lo, exec_lo, s4
	s_cbranch_vccz .LBB40_10
; %bb.8:
	v_dual_mov_b32 v65, 0xfeffffff :: v_dual_mov_b32 v86, 0
	v_dual_mov_b32 v49, 0 :: v_dual_mov_b32 v85, 0
	;; [unrolled: 1-line block ×3, first 2 shown]
	s_delay_alu instid0(VALU_DEP_2)
	v_dual_mov_b32 v64, v65 :: v_dual_mov_b32 v48, v49
	s_branch .LBB40_30
.LBB40_9:
                                        ; implicit-def: $vgpr1
                                        ; implicit-def: $vgpr74
                                        ; implicit-def: $vgpr87
                                        ; implicit-def: $vgpr88
                                        ; implicit-def: $vgpr89
                                        ; implicit-def: $vgpr90
                                        ; implicit-def: $vgpr91
.LBB40_10:
	s_clause 0x1
	s_load_b64 s[4:5], s[0:1], 0x8c
	s_load_b128 s[24:27], s[0:1], 0x98
	s_mul_f32 s11, s36, 0x4f7ffffe
	s_sub_co_i32 s15, 0, s33
	v_dual_lshrrev_b32 v1, 1, v70 :: v_dual_lshrrev_b32 v3, 2, v70
	s_delay_alu instid0(SALU_CYCLE_1) | instskip(SKIP_2) | instid1(VALU_DEP_1)
	s_cvt_u32_f32 s11, s11
	s_abs_i32 s36, s10
	s_mov_b32 s21, s37
	v_lshl_add_u32 v1, v2, 4, v1
	s_mul_i32 s15, s15, s11
	v_and_b32_e32 v6, 12, v59
	s_mul_hi_u32 s15, s11, s15
	v_and_b32_e32 v4, 4, v59
	s_add_co_i32 s20, s11, s15
	v_mul_u32_u24_e32 v5, 0x70, v1
	s_mul_u64 s[20:21], s[36:37], s[20:21]
	v_cmp_gt_u32_e32 vcc_lo, 32, v1
	s_ashr_i32 s11, s3, 1
	s_mul_i32 s3, s21, s33
	s_load_b64 s[38:39], s[0:1], 0xa8
	s_wait_kmcnt 0x0
	s_ashr_i32 s20, s26, 2
	s_ashr_i32 s26, s4, 2
	;; [unrolled: 1-line block ×3, first 2 shown]
	v_mul_lo_u32 v50, s26, v1
	v_dual_lshlrev_b32 v1, 2, v6 :: v_dual_lshlrev_b32 v7, 2, v4
	s_ashr_i32 s41, s29, 31
	s_sub_co_i32 s3, s36, s3
	v_lshl_add_u32 v3, v2, 3, v3
	s_ashr_i32 s29, s28, 31
	v_add3_u32 v78, v5, v7, 64
	v_dual_lshrrev_b32 v5, 3, v70 :: v_dual_mov_b32 v55, 0
	s_xor_b32 s15, s40, s41
	s_add_co_i32 s4, s21, 1
	s_sub_co_i32 s36, s3, s33
	s_cmp_ge_u32 s3, s33
	v_lshl_add_u32 v5, v2, 2, v5
	s_cselect_b32 s4, s4, s21
	s_cselect_b32 s3, s36, s3
	v_mul_lo_u32 v56, s20, v3
	s_add_co_i32 s21, s4, 1
	s_cmp_ge_u32 s3, s33
	v_mul_lo_u32 v52, s26, v3
	s_cselect_b32 s3, s21, s4
	v_mul_lo_u32 v60, s20, v5
	s_xor_b32 s3, s3, s15
	v_mul_u32_u24_e32 v7, 0xc0, v3
	v_and_b32_e32 v58, 28, v59
	s_sub_co_i32 s3, s3, s15
	s_mul_u64 s[24:25], s[24:25], s[28:29]
	s_mul_i32 s4, s3, s5
	v_mad_u32 v81, v0, s11, v70
	v_mad_u32_u24 v79, 0x70, v3, v1
	v_dual_ashrrev_i32 v57, 31, v56 :: v_dual_bitop2_b32 v0, v7, v1 bitop3:0x54
	v_lshlrev_b32_e32 v1, 2, v58
	s_add_nc_u64 s[6:7], s[6:7], s[24:25]
	s_ashr_i32 s5, s4, 31
	s_mul_u64 s[36:37], s[38:39], s[28:29]
	s_add_nc_u64 s[24:25], s[6:7], s[4:5]
	s_movk_i32 s4, 0x180
	s_add_nc_u64 s[8:9], s[8:9], s[36:37]
	s_mul_i32 s36, s3, s27
	v_cmp_gt_u32_e64 s3, 32, v3
	v_mul_u32_u24_e32 v77, 0x70, v70
	v_dual_ashrrev_i32 v51, 31, v50 :: v_dual_ashrrev_i32 v53, 31, v52
	v_mad_u32_u24 v80, v2, s4, 0xe80
	v_lshl_add_u32 v82, v2, 7, 0x1a80
	v_cmp_gt_u32_e64 s4, 16, v3
	v_cmp_gt_u32_e64 s5, 16, v5
	v_dual_mov_b32 v74, 32 :: v_dual_add_nc_u32 v83, 0x80, v0
	v_mad_u32_u24 v84, 0xc0, v5, v1
	v_dual_mov_b32 v92, 0xfeffffff :: v_dual_ashrrev_i32 v61, 31, v60
	v_dual_lshlrev_b32 v54, 2, v4 :: v_dual_lshlrev_b32 v62, 2, v6
	v_dual_mov_b32 v76, v55 :: v_dual_mov_b32 v75, v55
	v_dual_mov_b32 v86, v55 :: v_dual_mov_b32 v85, v55
	;; [unrolled: 1-line block ×3, first 2 shown]
	v_mov_b32_e32 v49, v55
	s_ashr_i32 s37, s36, 31
	s_ashr_i32 s27, s26, 31
	s_add_nc_u64 s[36:37], s[8:9], s[36:37]
	s_ashr_i32 s21, s20, 31
	s_add_nc_u64 s[38:39], s[0:1], 0xd0
.LBB40_11:                              ; =>This Inner Loop Header: Depth=1
	s_ashr_i32 s15, s14, 31
	s_delay_alu instid0(SALU_CYCLE_1) | instskip(NEXT) | instid1(SALU_CYCLE_1)
	s_mul_u64 s[6:7], s[14:15], s[26:27]
	s_lshl_b64 s[6:7], s[6:7], 2
	s_delay_alu instid0(SALU_CYCLE_1) | instskip(NEXT) | instid1(SALU_CYCLE_1)
	s_add_nc_u64 s[6:7], s[24:25], s[6:7]
	v_lshl_add_u64 v[0:1], v[50:51], 2, s[6:7]
	s_and_saveexec_b32 s8, vcc_lo
	s_cbranch_execz .LBB40_13
; %bb.12:                               ;   in Loop: Header=BB40_11 Depth=1
	s_delay_alu instid0(VALU_DEP_1)
	v_add_nc_u64_e32 v[2:3], v[0:1], v[54:55]
	global_load_b128 v[2:5], v[2:3], off offset:64
	s_wait_loadcnt 0x0
	ds_store_b128 v78, v[2:5]
.LBB40_13:                              ;   in Loop: Header=BB40_11 Depth=1
	s_or_b32 exec_lo, exec_lo, s8
	v_lshl_add_u64 v[2:3], v[52:53], 2, s[6:7]
	s_and_saveexec_b32 s6, s3
	s_cbranch_execz .LBB40_15
; %bb.14:                               ;   in Loop: Header=BB40_11 Depth=1
	v_mov_b32_e32 v63, v55
	s_delay_alu instid0(VALU_DEP_1)
	v_add_nc_u64_e32 v[4:5], v[2:3], v[62:63]
	global_load_b128 v[4:7], v[4:5], off
	s_wait_loadcnt 0x0
	ds_store_b128 v79, v[4:7]
.LBB40_15:                              ;   in Loop: Header=BB40_11 Depth=1
	s_or_b32 exec_lo, exec_lo, s6
	s_wait_dscnt 0x0
	s_barrier_signal -1
	s_barrier_wait -1
	ds_load_b128 v[6:9], v77
	ds_load_b128 v[10:13], v80
	ds_load_b128 v[14:17], v80 offset:192
	v_dual_mov_b32 v5, 0 :: v_dual_mov_b32 v4, 0
	s_wait_dscnt 0x1
	;;#ASMSTART
	v_dot2_f32_f16 v5, v6, v10, v5
	;;#ASMEND
	;;#ASMSTART
	v_dot2_f32_f16 v5, v7, v11, v5
	;;#ASMEND
	;;#ASMSTART
	v_dot2_f32_f16 v5, v8, v12, v5
	;;#ASMEND
	;;#ASMSTART
	v_dot2_f32_f16 v5, v9, v13, v5
	;;#ASMEND
	s_wait_dscnt 0x0
	;;#ASMSTART
	v_dot2_f32_f16 v4, v6, v14, v4
	;;#ASMEND
	;;#ASMSTART
	v_dot2_f32_f16 v4, v7, v15, v4
	;;#ASMEND
	;;#ASMSTART
	v_dot2_f32_f16 v4, v8, v16, v4
	;;#ASMEND
	;;#ASMSTART
	v_dot2_f32_f16 v4, v9, v17, v4
	;;#ASMEND
	ds_load_b128 v[6:9], v77 offset:16
	ds_load_b128 v[10:13], v80 offset:16
	ds_load_b128 v[14:17], v80 offset:208
	s_wait_dscnt 0x1
	;;#ASMSTART
	v_dot2_f32_f16 v5, v6, v10, v5
	;;#ASMEND
	;;#ASMSTART
	v_dot2_f32_f16 v5, v7, v11, v5
	;;#ASMEND
	;;#ASMSTART
	v_dot2_f32_f16 v5, v8, v12, v5
	;;#ASMEND
	;;#ASMSTART
	v_dot2_f32_f16 v5, v9, v13, v5
	;;#ASMEND
	s_wait_dscnt 0x0
	;;#ASMSTART
	v_dot2_f32_f16 v4, v6, v14, v4
	;;#ASMEND
	;;#ASMSTART
	v_dot2_f32_f16 v4, v7, v15, v4
	;;#ASMEND
	;;#ASMSTART
	v_dot2_f32_f16 v4, v8, v16, v4
	;;#ASMEND
	;;#ASMSTART
	v_dot2_f32_f16 v4, v9, v17, v4
	;;#ASMEND
	ds_load_b128 v[6:9], v77 offset:32
	ds_load_b128 v[10:13], v80 offset:32
	ds_load_b128 v[14:17], v80 offset:224
	;; [unrolled: 29-line block ×5, first 2 shown]
	s_wait_dscnt 0x1
	;;#ASMSTART
	v_dot2_f32_f16 v5, v6, v10, v5
	;;#ASMEND
	;;#ASMSTART
	v_dot2_f32_f16 v5, v7, v11, v5
	;;#ASMEND
	;; [unrolled: 3-line block ×4, first 2 shown]
	s_wait_dscnt 0x0
	;;#ASMSTART
	v_dot2_f32_f16 v4, v6, v14, v4
	;;#ASMEND
	;;#ASMSTART
	v_dot2_f32_f16 v4, v7, v15, v4
	;;#ASMEND
	;; [unrolled: 3-line block ×4, first 2 shown]
	s_barrier_signal -1
	s_barrier_wait -1
	s_and_saveexec_b32 s6, vcc_lo
	s_cbranch_execz .LBB40_17
; %bb.16:                               ;   in Loop: Header=BB40_11 Depth=1
	v_add_nc_u64_e32 v[0:1], v[0:1], v[54:55]
	global_load_b128 v[6:9], v[0:1], off offset:160
	s_wait_loadcnt 0x0
	ds_store_b128 v78, v[6:9]
.LBB40_17:                              ;   in Loop: Header=BB40_11 Depth=1
	s_or_b32 exec_lo, exec_lo, s6
	s_and_saveexec_b32 s6, s3
	s_cbranch_execz .LBB40_19
; %bb.18:                               ;   in Loop: Header=BB40_11 Depth=1
	v_mov_b32_e32 v63, v55
	s_delay_alu instid0(VALU_DEP_1)
	v_add_nc_u64_e32 v[0:1], v[2:3], v[62:63]
	global_load_b128 v[0:3], v[0:1], off offset:96
	s_wait_loadcnt 0x0
	ds_store_b128 v79, v[0:3]
.LBB40_19:                              ;   in Loop: Header=BB40_11 Depth=1
	s_or_b32 exec_lo, exec_lo, s6
	s_wait_dscnt 0x0
	s_barrier_signal -1
	s_barrier_wait -1
	ds_load_b128 v[0:3], v77
	ds_load_b128 v[6:9], v80 offset:96
	ds_load_b128 v[10:13], v80 offset:288
	v_xor_b32_e32 v87, 16, v73
	s_wait_dscnt 0x1
	;;#ASMSTART
	v_dot2_f32_f16 v5, v0, v6, v5
	;;#ASMEND
	;;#ASMSTART
	v_dot2_f32_f16 v5, v1, v7, v5
	;;#ASMEND
	;;#ASMSTART
	v_dot2_f32_f16 v5, v2, v8, v5
	;;#ASMEND
	;;#ASMSTART
	v_dot2_f32_f16 v5, v3, v9, v5
	;;#ASMEND
	s_wait_dscnt 0x0
	;;#ASMSTART
	v_dot2_f32_f16 v4, v0, v10, v4
	;;#ASMEND
	;;#ASMSTART
	v_dot2_f32_f16 v4, v1, v11, v4
	;;#ASMEND
	;;#ASMSTART
	v_dot2_f32_f16 v4, v2, v12, v4
	;;#ASMEND
	;;#ASMSTART
	v_dot2_f32_f16 v4, v3, v13, v4
	;;#ASMEND
	ds_load_b128 v[0:3], v77 offset:16
	ds_load_b128 v[6:9], v80 offset:112
	ds_load_b128 v[10:13], v80 offset:304
	s_wait_dscnt 0x1
	;;#ASMSTART
	v_dot2_f32_f16 v5, v0, v6, v5
	;;#ASMEND
	;;#ASMSTART
	v_dot2_f32_f16 v5, v1, v7, v5
	;;#ASMEND
	;;#ASMSTART
	v_dot2_f32_f16 v5, v2, v8, v5
	;;#ASMEND
	;;#ASMSTART
	v_dot2_f32_f16 v5, v3, v9, v5
	;;#ASMEND
	s_wait_dscnt 0x0
	;;#ASMSTART
	v_dot2_f32_f16 v4, v0, v10, v4
	;;#ASMEND
	;;#ASMSTART
	v_dot2_f32_f16 v4, v1, v11, v4
	;;#ASMEND
	;;#ASMSTART
	v_dot2_f32_f16 v4, v2, v12, v4
	;;#ASMEND
	;;#ASMSTART
	v_dot2_f32_f16 v4, v3, v13, v4
	;;#ASMEND
	ds_load_b128 v[0:3], v77 offset:32
	ds_load_b128 v[6:9], v80 offset:128
	ds_load_b128 v[10:13], v80 offset:320
	;; [unrolled: 29-line block ×5, first 2 shown]
	s_wait_dscnt 0x1
	;;#ASMSTART
	v_dot2_f32_f16 v5, v0, v6, v5
	;;#ASMEND
	;;#ASMSTART
	v_dot2_f32_f16 v5, v1, v7, v5
	;;#ASMEND
	;; [unrolled: 3-line block ×4, first 2 shown]
	v_add_nc_u32_e32 v14, s14, v81
	s_wait_dscnt 0x0
	;;#ASMSTART
	v_dot2_f32_f16 v4, v0, v10, v4
	;;#ASMEND
	;;#ASMSTART
	v_dot2_f32_f16 v4, v1, v11, v4
	;;#ASMEND
	;; [unrolled: 3-line block ×4, first 2 shown]
	global_load_u16 v0, v14, s[34:35] scale_offset
	v_max_num_f32_e32 v2, v92, v92
	v_cmp_gt_i32_e64 s6, 32, v87
	s_wait_loadcnt 0x0
	s_barrier_signal -1
	s_barrier_wait -1
	s_delay_alu instid0(VALU_DEP_1) | instskip(NEXT) | instid1(VALU_DEP_1)
	v_dual_cndmask_b32 v3, v73, v87, s6 :: v_dual_bitop2_b32 v89, 4, v73 bitop3:0x14
	v_lshlrev_b32_e32 v3, 2, v3
	v_cvt_f32_f16_e32 v0, v0
	s_delay_alu instid0(VALU_DEP_1) | instskip(SKIP_1) | instid1(VALU_DEP_2)
	v_dual_add_f32 v1, v5, v0 :: v_dual_add_f32 v0, v4, v0
	v_max_num_f32_e32 v5, v93, v93
	v_add_f32_e32 v4, 0x40051340, v1
	s_delay_alu instid0(VALU_DEP_3) | instskip(NEXT) | instid1(VALU_DEP_1)
	v_add_f32_e32 v6, 0x40051340, v0
	v_dual_max_num_f32 v2, v2, v4 :: v_dual_max_num_f32 v4, v5, v6
	ds_bpermute_b32 v5, v3, v2
	ds_bpermute_b32 v3, v3, v4
	v_xor_b32_e32 v88, 8, v73
	s_wait_dscnt 0x0
	v_dual_max_num_f32 v5, v5, v5 :: v_dual_max_num_f32 v3, v3, v3
	s_delay_alu instid0(VALU_DEP_2) | instskip(NEXT) | instid1(VALU_DEP_2)
	v_cmp_gt_i32_e64 s6, 32, v88
	v_dual_max_num_f32 v2, v2, v5 :: v_dual_max_num_f32 v3, v4, v3
	s_delay_alu instid0(VALU_DEP_2) | instskip(SKIP_1) | instid1(VALU_DEP_2)
	v_cndmask_b32_e64 v6, v73, v88, s6
	v_cmp_gt_i32_e64 s6, 32, v89
	v_lshlrev_b32_e32 v6, 2, v6
	ds_bpermute_b32 v4, v6, v2
	ds_bpermute_b32 v5, v6, v3
	s_wait_dscnt 0x1
	v_dual_cndmask_b32 v6, v73, v89, s6 :: v_dual_max_num_f32 v4, v4, v4
	s_wait_dscnt 0x0
	s_delay_alu instid0(VALU_DEP_1) | instskip(NEXT) | instid1(VALU_DEP_1)
	v_dual_max_num_f32 v5, v5, v5 :: v_dual_lshlrev_b32 v6, 2, v6
	v_dual_max_num_f32 v2, v2, v4 :: v_dual_max_num_f32 v3, v3, v5
	ds_bpermute_b32 v4, v6, v2
	ds_bpermute_b32 v5, v6, v3
	s_wait_dscnt 0x1
	v_dual_max_num_f32 v4, v4, v4 :: v_dual_bitop2_b32 v90, 2, v73 bitop3:0x14
	s_delay_alu instid0(VALU_DEP_1) | instskip(NEXT) | instid1(VALU_DEP_1)
	v_cmp_gt_i32_e64 s6, 32, v90
	v_dual_max_num_f32 v2, v2, v4 :: v_dual_cndmask_b32 v6, v73, v90, s6
	s_wait_dscnt 0x0
	s_delay_alu instid0(VALU_DEP_1) | instskip(SKIP_3) | instid1(VALU_DEP_1)
	v_dual_max_num_f32 v5, v5, v5 :: v_dual_lshlrev_b32 v6, 2, v6
	ds_bpermute_b32 v4, v6, v2
	s_wait_dscnt 0x0
	v_dual_max_num_f32 v4, v4, v4 :: v_dual_bitop2_b32 v91, 1, v73 bitop3:0x14
	v_cmp_gt_i32_e64 s6, 32, v91
	v_max_num_f32_e32 v3, v3, v5
	ds_bpermute_b32 v5, v6, v3
	v_cndmask_b32_e64 v6, v73, v91, s6
	s_wait_dscnt 0x0
	s_delay_alu instid0(VALU_DEP_1) | instskip(NEXT) | instid1(VALU_DEP_1)
	v_dual_max_num_f32 v5, v5, v5 :: v_dual_lshlrev_b32 v6, 2, v6
	v_dual_max_num_f32 v2, v2, v4 :: v_dual_max_num_f32 v3, v3, v5
	ds_bpermute_b32 v4, v6, v2
	ds_bpermute_b32 v5, v6, v3
	s_wait_dscnt 0x0
	v_dual_max_num_f32 v4, v4, v4 :: v_dual_max_num_f32 v5, v5, v5
	s_delay_alu instid0(VALU_DEP_1) | instskip(NEXT) | instid1(VALU_DEP_1)
	v_dual_max_num_f32 v64, v2, v4 :: v_dual_max_num_f32 v65, v3, v5
	v_dual_sub_f32 v1, v1, v64 :: v_dual_sub_f32 v0, v0, v65
	s_delay_alu instid0(VALU_DEP_1) | instskip(SKIP_1) | instid1(VALU_DEP_3)
	v_mul_f32_e32 v2, 0x3fb8aa3b, v1
	v_cmp_ngt_f32_e64 s6, 0xc2ce8ed0, v1
	v_mul_f32_e32 v3, 0x3fb8aa3b, v0
	s_delay_alu instid0(VALU_DEP_3) | instskip(SKIP_1) | instid1(VALU_DEP_3)
	v_fma_f32 v4, 0x3fb8aa3b, v1, -v2
	v_rndne_f32_e32 v5, v2
	v_fma_f32 v6, 0x3fb8aa3b, v0, -v3
	v_rndne_f32_e32 v7, v3
	s_delay_alu instid0(VALU_DEP_4) | instskip(NEXT) | instid1(VALU_DEP_2)
	v_fmac_f32_e32 v4, 0x32a5705f, v1
	v_dual_fmac_f32 v6, 0x32a5705f, v0 :: v_dual_sub_f32 v3, v3, v7
	s_delay_alu instid0(VALU_DEP_1) | instskip(NEXT) | instid1(VALU_DEP_1)
	v_dual_sub_f32 v2, v2, v5 :: v_dual_add_f32 v3, v3, v6
	v_add_f32_e32 v2, v2, v4
	v_cvt_i32_f32_e32 v4, v5
	v_cvt_i32_f32_e32 v5, v7
	s_delay_alu instid0(VALU_DEP_4) | instskip(NEXT) | instid1(VALU_DEP_3)
	v_exp_f32_e32 v3, v3
	v_exp_f32_e32 v2, v2
	s_delay_alu instid0(TRANS32_DEP_2) | instskip(NEXT) | instid1(TRANS32_DEP_1)
	v_ldexp_f32 v3, v3, v5
	v_ldexp_f32 v2, v2, v4
	s_delay_alu instid0(VALU_DEP_1) | instskip(SKIP_1) | instid1(VALU_DEP_1)
	v_cndmask_b32_e64 v2, 0, v2, s6
	v_cmp_ngt_f32_e64 s6, 0xc2ce8ed0, v0
	v_cndmask_b32_e64 v3, 0, v3, s6
	v_cmp_nlt_f32_e64 s6, 0x42b17218, v1
	s_delay_alu instid0(VALU_DEP_1) | instskip(SKIP_2) | instid1(VALU_DEP_2)
	v_cndmask_b32_e64 v66, 0x7f800000, v2, s6
	v_cmp_nlt_f32_e64 s6, 0x42b17218, v0
	v_add_nc_u32_e32 v0, v82, v59
	v_cndmask_b32_e64 v67, 0x7f800000, v3, s6
	s_mul_u64 s[6:7], s[14:15], s[20:21]
	s_delay_alu instid0(SALU_CYCLE_1) | instskip(NEXT) | instid1(VALU_DEP_1)
	s_lshl_b64 s[6:7], s[6:7], 2
	v_cvt_pk_f16_f32 v1, v66, v67
	s_add_nc_u64 s[6:7], s[36:37], s[6:7]
	ds_store_b32 v0, v1
	s_wait_xcnt 0x0
	s_and_saveexec_b32 s8, s4
	s_cbranch_execz .LBB40_21
; %bb.20:                               ;   in Loop: Header=BB40_11 Depth=1
	v_lshl_add_u64 v[0:1], v[56:57], 2, s[6:7]
	v_mov_b32_e32 v63, v55
	s_delay_alu instid0(VALU_DEP_1)
	v_add_nc_u64_e32 v[0:1], v[0:1], v[62:63]
	global_load_b128 v[0:3], v[0:1], off offset:128
	s_wait_loadcnt 0x0
	ds_store_b128 v83, v[0:3]
.LBB40_21:                              ;   in Loop: Header=BB40_11 Depth=1
	s_or_b32 exec_lo, exec_lo, s8
	v_lshlrev_b32_e32 v68, 2, v58
	s_and_saveexec_b32 s8, s5
	s_cbranch_execz .LBB40_23
; %bb.22:                               ;   in Loop: Header=BB40_11 Depth=1
	v_lshl_add_u64 v[0:1], v[60:61], 2, s[6:7]
	v_mov_b32_e32 v69, v55
	s_delay_alu instid0(VALU_DEP_1)
	v_add_nc_u64_e32 v[0:1], v[0:1], v[68:69]
	global_load_b128 v[0:3], v[0:1], off
	s_wait_loadcnt 0x0
	ds_store_b128 v84, v[0:3]
.LBB40_23:                              ;   in Loop: Header=BB40_11 Depth=1
	s_or_b32 exec_lo, exec_lo, s8
	v_add_nc_u32_e32 v95, 0x400, v72
	v_add_nc_u32_e32 v94, 0x800, v72
	s_wait_dscnt 0x0
	s_barrier_signal -1
	s_barrier_wait -1
	ds_load_2addr_b64 v[28:31], v72 offset1:24
	ds_load_b128 v[44:47], v82
	ds_load_b128 v[40:43], v82 offset:16
	ds_load_b128 v[36:39], v82 offset:32
	;; [unrolled: 1-line block ×3, first 2 shown]
	ds_load_2addr_b64 v[24:27], v72 offset0:48 offset1:72
	v_dual_sub_f32 v96, v92, v64 :: v_dual_sub_f32 v92, v93, v65
	ds_load_2addr_b64 v[32:35], v72 offset0:96 offset1:120
	ds_load_2addr_b64 v[20:23], v72 offset0:144 offset1:168
	;; [unrolled: 1-line block ×6, first 2 shown]
	s_or_b32 s40, s14, 16
	s_wait_dscnt 0x0
	s_ashr_i32 s41, s40, 31
	v_cmp_ngt_f32_e64 s7, 0xc2ce8ed0, v96
	s_mul_u64 s[40:41], s[40:41], s[20:21]
	v_cmp_nlt_f32_e64 s6, 0x42b17218, v96
	v_cmp_ngt_f32_e64 s8, 0xc2ce8ed0, v92
	v_cmp_nlt_f32_e64 s9, 0x42b17218, v92
	s_lshl_b64 s[40:41], s[40:41], 2
	s_barrier_signal -1
	s_add_nc_u64 s[40:41], s[36:37], s[40:41]
	s_barrier_wait -1
	s_and_saveexec_b32 s11, s4
	s_cbranch_execz .LBB40_25
; %bb.24:                               ;   in Loop: Header=BB40_11 Depth=1
	v_lshl_add_u64 v[98:99], v[56:57], 2, s[40:41]
	v_mov_b32_e32 v63, v55
	s_delay_alu instid0(VALU_DEP_1)
	v_add_nc_u64_e32 v[98:99], v[98:99], v[62:63]
	global_load_b128 v[98:101], v[98:99], off offset:128
	s_wait_loadcnt 0x0
	ds_store_b128 v83, v[98:101]
.LBB40_25:                              ;   in Loop: Header=BB40_11 Depth=1
	s_or_b32 exec_lo, exec_lo, s11
	s_and_saveexec_b32 s11, s5
	s_cbranch_execz .LBB40_27
; %bb.26:                               ;   in Loop: Header=BB40_11 Depth=1
	v_lshl_add_u64 v[98:99], v[60:61], 2, s[40:41]
	v_mov_b32_e32 v69, v55
	s_delay_alu instid0(VALU_DEP_1)
	v_add_nc_u64_e32 v[68:69], v[98:99], v[68:69]
	global_load_b128 v[98:101], v[68:69], off
	s_wait_loadcnt 0x0
	ds_store_b128 v84, v[98:101]
.LBB40_27:                              ;   in Loop: Header=BB40_11 Depth=1
	s_or_b32 exec_lo, exec_lo, s11
	v_mul_f32_e32 v68, 0x3fb8aa3b, v92
	v_and_b32_e32 v100, 0xffff, v40
	v_lshrrev_b32_e32 v99, 16, v44
	v_and_b32_e32 v103, 0xffff, v36
	v_and_b32_e32 v44, 0xffff, v44
	v_rndne_f32_e32 v98, v68
	v_mul_f32_e32 v63, 0x3fb8aa3b, v96
	v_fma_f32 v97, 0x3fb8aa3b, v92, -v68
	v_mul_u32_u24_e32 v100, 0x10001, v100
	v_mul_u32_u24_e32 v44, 0x10001, v44
	v_sub_f32_e32 v68, v68, v98
	v_fma_f32 v69, 0x3fb8aa3b, v96, -v63
	v_rndne_f32_e32 v93, v63
	v_dual_fmac_f32 v97, 0x32a5705f, v92 :: v_dual_lshrrev_b32 v92, 16, v45
	v_and_b32_e32 v45, 0xffff, v45
	s_delay_alu instid0(VALU_DEP_4) | instskip(NEXT) | instid1(VALU_DEP_4)
	v_fmac_f32_e32 v69, 0x32a5705f, v96
	v_dual_sub_f32 v63, v63, v93 :: v_dual_lshrrev_b32 v96, 16, v47
	s_delay_alu instid0(VALU_DEP_4) | instskip(SKIP_2) | instid1(VALU_DEP_4)
	v_add_f32_e32 v68, v68, v97
	v_cvt_i32_f32_e32 v93, v93
	v_cvt_i32_f32_e32 v97, v98
	v_dual_add_f32 v63, v63, v69 :: v_dual_lshrrev_b32 v69, 16, v46
	s_delay_alu instid0(VALU_DEP_4) | instskip(SKIP_2) | instid1(VALU_DEP_3)
	v_exp_f32_e32 v68, v68
	v_lshrrev_b32_e32 v98, 16, v40
	v_pk_mul_f16 v108, v28, v44
	v_exp_f32_e32 v63, v63
	v_and_b32_e32 v46, 0xffff, v46
	v_mul_u32_u24_e32 v45, 0x10001, v45
	v_mul_u32_u24_e32 v92, 0x10001, v92
	v_and_b32_e32 v47, 0xffff, v47
	v_mul_u32_u24_e32 v69, 0x10001, v69
	v_mul_u32_u24_e32 v46, 0x10001, v46
	v_ldexp_f32 v40, v63, v93
	v_ldexp_f32 v63, v68, v97
	v_lshrrev_b32_e32 v68, 16, v41
	v_and_b32_e32 v93, 0xffff, v41
	s_delay_alu instid0(VALU_DEP_4) | instskip(NEXT) | instid1(VALU_DEP_4)
	v_dual_lshrrev_b32 v97, 16, v42 :: v_dual_cndmask_b32 v40, 0, v40, s7
	v_dual_cndmask_b32 v41, 0, v63, s8 :: v_dual_lshrrev_b32 v36, 16, v36
	v_mul_u32_u24_e32 v63, 0x10001, v99
	v_mul_u32_u24_e32 v47, 0x10001, v47
	s_delay_alu instid0(VALU_DEP_4) | instskip(NEXT) | instid1(VALU_DEP_4)
	v_cndmask_b32_e64 v40, 0x7f800000, v40, s6
	v_cndmask_b32_e64 v41, 0x7f800000, v41, s9
	v_mul_u32_u24_e32 v96, 0x10001, v96
	v_pk_mul_f16 v28, v28, v63
	v_mul_u32_u24_e32 v98, 0x10001, v98
	v_cvt_f16_f32_e32 v99, v40
	v_cvt_f16_f32_e32 v101, v41
	v_and_b32_e32 v42, 0xffff, v42
	v_mul_u32_u24_e32 v93, 0x10001, v93
	v_mul_u32_u24_e32 v68, 0x10001, v68
	v_and_b32_e32 v99, 0xffff, v99
	v_and_b32_e32 v101, 0xffff, v101
	v_mul_u32_u24_e32 v42, 0x10001, v42
	v_and_b32_e32 v102, 0xffff, v43
	v_mul_u32_u24_e32 v97, 0x10001, v97
	v_mul_u32_u24_e32 v99, 0x10001, v99
	;; [unrolled: 1-line block ×3, first 2 shown]
	v_lshrrev_b32_e32 v43, 16, v43
	v_mul_u32_u24_e32 v102, 0x10001, v102
	v_and_b32_e32 v104, 0xffff, v37
	v_pk_mul_f16 v86, v86, v99
	v_pk_mul_f16 v76, v76, v101
	v_pk_fma_f16 v85, v85, v99, v108
	v_pk_fma_f16 v28, v75, v101, v28
	v_lshrrev_b32_e32 v37, 16, v37
	v_pk_fma_f16 v44, v29, v44, v86
	v_pk_fma_f16 v29, v29, v63, v76
	v_pk_fma_f16 v63, v30, v45, v85
	v_pk_fma_f16 v28, v30, v92, v28
	v_mul_u32_u24_e32 v43, 0x10001, v43
	v_pk_fma_f16 v30, v31, v45, v44
	v_pk_fma_f16 v29, v31, v92, v29
	v_pk_fma_f16 v31, v24, v46, v63
	v_pk_fma_f16 v24, v24, v69, v28
	v_mul_u32_u24_e32 v103, 0x10001, v103
	;; [unrolled: 5-line block ×4, first 2 shown]
	v_pk_fma_f16 v26, v33, v100, v26
	v_pk_fma_f16 v25, v33, v98, v25
	;; [unrolled: 1-line block ×4, first 2 shown]
	v_and_b32_e32 v105, 0xffff, v38
	v_pk_fma_f16 v26, v35, v93, v26
	v_pk_fma_f16 v25, v35, v68, v25
	v_pk_fma_f16 v27, v20, v42, v27
	v_pk_fma_f16 v20, v20, v97, v24
	v_lshrrev_b32_e32 v38, 16, v38
	v_pk_fma_f16 v24, v21, v42, v26
	v_pk_fma_f16 v21, v21, v97, v25
	v_lshrrev_b32_e32 v26, 16, v2
	v_pk_fma_f16 v25, v22, v102, v27
	v_pk_fma_f16 v20, v22, v43, v20
	;; [unrolled: 1-line block ×3, first 2 shown]
	v_and_b32_e32 v2, 0xffff, v2
	v_pk_fma_f16 v21, v23, v43, v21
	v_mul_u32_u24_e32 v37, 0x10001, v37
	v_pk_fma_f16 v23, v16, v103, v25
	v_pk_fma_f16 v16, v16, v36, v20
	;; [unrolled: 1-line block ×3, first 2 shown]
	v_mul_u32_u24_e32 v22, 0x10001, v2
	v_pk_fma_f16 v2, v17, v36, v21
	v_and_b32_e32 v106, 0xffff, v39
	v_lshrrev_b32_e32 v39, 16, v39
	v_mul_u32_u24_e32 v105, 0x10001, v105
	v_mul_u32_u24_e32 v38, 0x10001, v38
	v_pk_fma_f16 v17, v18, v104, v23
	v_pk_fma_f16 v16, v18, v37, v16
	;; [unrolled: 1-line block ×4, first 2 shown]
	v_mul_u32_u24_e32 v106, 0x10001, v106
	v_mul_u32_u24_e32 v39, 0x10001, v39
	v_dual_lshrrev_b32 v107, 16, v0 :: v_dual_lshrrev_b32 v30, 16, v1
	v_and_b32_e32 v0, 0xffff, v0
	v_pk_fma_f16 v17, v12, v105, v17
	v_pk_fma_f16 v12, v12, v38, v16
	;; [unrolled: 1-line block ×4, first 2 shown]
	v_mul_u32_u24_e32 v0, 0x10001, v0
	v_mul_u32_u24_e32 v44, 0x10001, v107
	v_and_b32_e32 v1, 0xffff, v1
	v_pk_fma_f16 v13, v14, v106, v17
	v_pk_fma_f16 v12, v14, v39, v12
	;; [unrolled: 1-line block ×3, first 2 shown]
	s_wait_dscnt 0x0
	s_barrier_signal -1
	s_barrier_wait -1
	ds_load_b128 v[16:19], v82 offset:64
	v_pk_fma_f16 v2, v15, v39, v2
	v_mul_u32_u24_e32 v1, 0x10001, v1
	v_mul_u32_u24_e32 v28, 0x10001, v30
	v_lshrrev_b32_e32 v21, 16, v3
	v_and_b32_e32 v3, 0xffff, v3
	v_pk_fma_f16 v13, v8, v0, v13
	v_pk_fma_f16 v8, v8, v44, v12
	v_pk_fma_f16 v0, v9, v0, v14
	v_pk_fma_f16 v2, v9, v44, v2
	v_mul_u32_u24_e32 v12, 0x10001, v3
	v_pk_fma_f16 v9, v10, v1, v13
	v_pk_fma_f16 v8, v10, v28, v8
	;; [unrolled: 1-line block ×4, first 2 shown]
	ds_load_2addr_b64 v[0:3], v72 offset1:24
	v_mul_u32_u24_e32 v20, 0x10001, v26
	v_pk_fma_f16 v9, v4, v22, v9
	v_mul_u32_u24_e32 v13, 0x10001, v21
	v_pk_fma_f16 v14, v5, v22, v10
	v_pk_fma_f32 v[48:49], v[48:49], v[40:41], v[66:67]
	v_pk_fma_f16 v4, v4, v20, v8
	v_pk_fma_f16 v5, v5, v20, v11
	;; [unrolled: 1-line block ×3, first 2 shown]
	ds_load_b128 v[8:11], v82 offset:80
	s_wait_dscnt 0x2
	v_and_b32_e32 v15, 0xffff, v16
	v_lshrrev_b32_e32 v16, 16, v16
	v_pk_fma_f16 v25, v6, v13, v4
	v_pk_fma_f16 v26, v7, v12, v14
	;; [unrolled: 1-line block ×3, first 2 shown]
	v_mul_u32_u24_e32 v28, 0x10001, v15
	v_and_b32_e32 v29, 0xffff, v17
	v_lshrrev_b32_e32 v17, 16, v17
	v_mul_u32_u24_e32 v16, 0x10001, v16
	ds_load_2addr_b64 v[4:7], v72 offset0:48 offset1:72
	ds_load_b128 v[12:15], v82 offset:96
	ds_load_b128 v[20:23], v82 offset:112
	s_wait_dscnt 0x4
	v_pk_fma_f16 v24, v0, v28, v24
	v_mul_u32_u24_e32 v29, 0x10001, v29
	v_mul_u32_u24_e32 v17, 0x10001, v17
	v_pk_fma_f16 v0, v0, v16, v25
	v_pk_fma_f16 v25, v1, v28, v26
	v_pk_fma_f16 v1, v1, v16, v27
	v_pk_fma_f16 v16, v2, v29, v24
	v_and_b32_e32 v24, 0xffff, v18
	v_lshrrev_b32_e32 v18, 16, v18
	v_pk_fma_f16 v26, v2, v17, v0
	v_pk_fma_f16 v25, v3, v29, v25
	;; [unrolled: 1-line block ×3, first 2 shown]
	ds_load_2addr_b64 v[0:3], v72 offset0:96 offset1:120
	v_mul_u32_u24_e32 v24, 0x10001, v24
	v_and_b32_e32 v27, 0xffff, v19
	v_lshrrev_b32_e32 v19, 16, v19
	v_mul_u32_u24_e32 v18, 0x10001, v18
	s_wait_dscnt 0x3
	v_pk_fma_f16 v16, v4, v24, v16
	v_pk_fma_f16 v24, v5, v24, v25
	v_mul_u32_u24_e32 v25, 0x10001, v27
	v_pk_fma_f16 v4, v4, v18, v26
	v_mul_u32_u24_e32 v26, 0x10001, v19
	v_pk_fma_f16 v5, v5, v18, v17
	v_and_b32_e32 v17, 0xffff, v8
	v_lshrrev_b32_e32 v8, 16, v8
	v_pk_fma_f16 v27, v6, v25, v16
	v_pk_fma_f16 v4, v6, v26, v4
	;; [unrolled: 1-line block ×3, first 2 shown]
	v_mul_u32_u24_e32 v24, 0x10001, v17
	v_and_b32_e32 v25, 0xffff, v9
	ds_load_2addr_b64 v[16:19], v72 offset0:144 offset1:168
	v_pk_fma_f16 v5, v7, v26, v5
	v_lshrrev_b32_e32 v7, 16, v9
	v_mul_u32_u24_e32 v8, 0x10001, v8
	s_wait_dscnt 0x1
	v_pk_fma_f16 v9, v0, v24, v27
	v_mul_u32_u24_e32 v25, 0x10001, v25
	s_delay_alu instid0(VALU_DEP_3)
	v_pk_fma_f16 v0, v0, v8, v4
	v_pk_fma_f16 v4, v1, v24, v6
	v_mul_u32_u24_e32 v6, 0x10001, v7
	v_pk_fma_f16 v1, v1, v8, v5
	v_pk_fma_f16 v5, v2, v25, v9
	v_and_b32_e32 v7, 0xffff, v10
	v_lshrrev_b32_e32 v8, 16, v10
	v_pk_fma_f16 v9, v2, v6, v0
	v_pk_fma_f16 v4, v3, v25, v4
	;; [unrolled: 1-line block ×3, first 2 shown]
	ds_load_2addr_b64 v[0:3], v72 offset0:192 offset1:216
	v_mul_u32_u24_e32 v7, 0x10001, v7
	v_and_b32_e32 v10, 0xffff, v11
	v_lshrrev_b32_e32 v11, 16, v11
	v_mul_u32_u24_e32 v8, 0x10001, v8
	s_wait_dscnt 0x1
	v_pk_fma_f16 v5, v16, v7, v5
	v_pk_fma_f16 v4, v17, v7, v4
	v_mul_u32_u24_e32 v7, 0x10001, v10
	v_pk_fma_f16 v9, v16, v8, v9
	v_mul_u32_u24_e32 v10, 0x10001, v11
	v_pk_fma_f16 v8, v17, v8, v6
	v_and_b32_e32 v6, 0xffff, v12
	v_lshrrev_b32_e32 v11, 16, v12
	v_pk_fma_f16 v12, v18, v7, v5
	v_pk_fma_f16 v9, v18, v10, v9
	;; [unrolled: 1-line block ×3, first 2 shown]
	v_mul_u32_u24_e32 v17, 0x10001, v6
	v_and_b32_e32 v18, 0xffff, v13
	ds_load_2addr_b64 v[4:7], v95 offset0:112 offset1:136
	v_pk_fma_f16 v8, v19, v10, v8
	v_lshrrev_b32_e32 v10, 16, v13
	v_mul_u32_u24_e32 v11, 0x10001, v11
	s_wait_dscnt 0x1
	v_pk_fma_f16 v12, v0, v17, v12
	v_pk_fma_f16 v13, v1, v17, v16
	v_mul_u32_u24_e32 v16, 0x10001, v10
	v_pk_fma_f16 v0, v0, v11, v9
	v_mul_u32_u24_e32 v9, 0x10001, v18
	v_pk_fma_f16 v1, v1, v11, v8
	v_and_b32_e32 v8, 0xffff, v14
	v_lshrrev_b32_e32 v14, 16, v14
	v_pk_fma_f16 v0, v2, v16, v0
	v_pk_fma_f16 v12, v2, v9, v12
	;; [unrolled: 1-line block ×3, first 2 shown]
	v_mul_u32_u24_e32 v13, 0x10001, v8
	ds_load_2addr_b64 v[8:11], v94 offset0:32 offset1:56
	v_pk_fma_f16 v1, v3, v16, v1
	v_and_b32_e32 v3, 0xffff, v15
	v_lshrrev_b32_e32 v15, 16, v15
	v_mul_u32_u24_e32 v14, 0x10001, v14
	s_wait_dscnt 0x1
	v_pk_fma_f16 v12, v4, v13, v12
	v_pk_fma_f16 v2, v5, v13, v2
	v_mul_u32_u24_e32 v3, 0x10001, v3
	v_and_b32_e32 v13, 0xffff, v20
	v_pk_fma_f16 v0, v4, v14, v0
	v_mul_u32_u24_e32 v4, 0x10001, v15
	v_lshrrev_b32_e32 v15, 16, v20
	v_pk_fma_f16 v1, v5, v14, v1
	v_pk_fma_f16 v5, v6, v3, v12
	v_lshrrev_b32_e32 v14, 16, v21
	v_pk_fma_f16 v0, v6, v4, v0
	v_mul_u32_u24_e32 v12, 0x10001, v15
	v_mul_u32_u24_e32 v6, 0x10001, v13
	v_pk_fma_f16 v13, v7, v3, v2
	v_pk_fma_f16 v4, v7, v4, v1
	s_wait_dscnt 0x0
	v_pk_fma_f16 v7, v8, v12, v0
	ds_load_2addr_b64 v[0:3], v94 offset0:80 offset1:104
	s_wait_dscnt 0x0
	s_barrier_signal -1
	s_barrier_wait -1
	s_load_b32 s6, s[38:39], 0x4
	v_pk_fma_f16 v5, v8, v6, v5
	v_and_b32_e32 v8, 0xffff, v21
	v_pk_fma_f16 v6, v9, v6, v13
	v_pk_fma_f16 v4, v9, v12, v4
	v_mul_u32_u24_e32 v9, 0x10001, v14
	v_and_b32_e32 v12, 0xffff, v22
	v_mul_u32_u24_e32 v8, 0x10001, v8
	v_lshrrev_b32_e32 v13, 16, v22
	s_delay_alu instid0(VALU_DEP_4) | instskip(SKIP_1) | instid1(VALU_DEP_4)
	v_pk_fma_f16 v7, v10, v9, v7
	v_pk_fma_f16 v4, v11, v9, v4
	;; [unrolled: 1-line block ×4, first 2 shown]
	v_mul_u32_u24_e32 v8, 0x10001, v12
	v_mul_u32_u24_e32 v10, 0x10001, v13
	v_and_b32_e32 v12, 0xffff, v23
	v_lshrrev_b32_e32 v13, 16, v23
	s_delay_alu instid0(VALU_DEP_4) | instskip(NEXT) | instid1(VALU_DEP_4)
	v_pk_fma_f16 v5, v0, v8, v5
	v_pk_fma_f16 v0, v0, v10, v7
	s_delay_alu instid0(VALU_DEP_4) | instskip(NEXT) | instid1(VALU_DEP_4)
	v_mul_u32_u24_e32 v7, 0x10001, v12
	v_mul_u32_u24_e32 v9, 0x10001, v13
	v_pk_fma_f16 v6, v1, v8, v6
	v_pk_fma_f16 v1, v1, v10, v4
	s_wait_kmcnt 0x0
	s_lshl_b32 s6, s6, 5
	v_pk_fma_f16 v85, v2, v7, v5
	v_pk_fma_f16 v75, v2, v9, v0
	;; [unrolled: 1-line block ×4, first 2 shown]
	s_add_co_i32 s14, s6, s14
	s_delay_alu instid0(SALU_CYCLE_1)
	s_cmp_ge_i32 s14, s30
	s_cbranch_scc1 .LBB40_29
; %bb.28:                               ;   in Loop: Header=BB40_11 Depth=1
	v_dual_mov_b32 v92, v64 :: v_dual_mov_b32 v93, v65
	s_branch .LBB40_11
.LBB40_29:
	v_mov_b32_e32 v1, v73
.LBB40_30:
	v_cmp_lt_i32_e32 vcc_lo, v87, v74
	s_cmp_lg_u64 s[12:13], 0
	s_cselect_b32 s3, -1, 0
	s_cmp_eq_u32 s31, 0
	v_cndmask_b32_e32 v0, v1, v87, vcc_lo
	v_cmp_lt_i32_e32 vcc_lo, v88, v74
	s_cselect_b32 s4, -1, 0
	s_delay_alu instid0(SALU_CYCLE_1) | instskip(NEXT) | instid1(VALU_DEP_2)
	s_and_b32 s3, s4, s3
	v_lshlrev_b32_e32 v0, 2, v0
	ds_bpermute_b32 v2, v0, v48
	ds_bpermute_b32 v3, v0, v49
	v_cndmask_b32_e32 v0, v1, v88, vcc_lo
	v_cmp_lt_i32_e32 vcc_lo, v89, v74
	s_delay_alu instid0(VALU_DEP_2)
	v_lshlrev_b32_e32 v0, 2, v0
	s_wait_dscnt 0x0
	v_pk_add_f32 v[2:3], v[48:49], v[2:3]
	ds_bpermute_b32 v4, v0, v2
	ds_bpermute_b32 v5, v0, v3
	v_cndmask_b32_e32 v0, v1, v89, vcc_lo
	v_cmp_lt_i32_e32 vcc_lo, v90, v74
	s_delay_alu instid0(VALU_DEP_2)
	v_lshlrev_b32_e32 v0, 2, v0
	s_wait_dscnt 0x0
	v_pk_add_f32 v[2:3], v[2:3], v[4:5]
	;; [unrolled: 8-line block ×3, first 2 shown]
	ds_bpermute_b32 v4, v0, v2
	ds_bpermute_b32 v5, v0, v3
	v_cndmask_b32_e32 v0, v1, v91, vcc_lo
	s_and_b32 vcc_lo, exec_lo, s3
	s_delay_alu instid0(VALU_DEP_1)
	v_lshlrev_b32_e32 v6, 2, v0
	s_wait_dscnt 0x0
	v_pk_add_f32 v[0:1], v[2:3], v[4:5]
	ds_bpermute_b32 v2, v6, v0
	ds_bpermute_b32 v3, v6, v1
	s_wait_dscnt 0x0
	v_pk_add_f32 v[0:1], v[0:1], v[2:3]
	s_cbranch_vccz .LBB40_32
; %bb.31:
	s_ashr_i32 s11, s10, 31
	v_dual_mov_b32 v2, 0 :: v_dual_max_num_f32 v4, v64, v64
	s_lshl_b64 s[4:5], s[10:11], 2
	v_max_num_f32_e32 v6, v65, v65
	s_add_nc_u64 s[4:5], s[12:13], s[4:5]
	global_load_b64 v[2:3], v2, s[4:5]
	s_wait_loadcnt 0x0
	v_dual_max_num_f32 v5, v2, v2 :: v_dual_max_num_f32 v7, v3, v3
	s_delay_alu instid0(VALU_DEP_1) | instskip(NEXT) | instid1(VALU_DEP_1)
	v_dual_max_num_f32 v4, v4, v5 :: v_dual_max_num_f32 v5, v6, v7
	v_dual_sub_f32 v6, v64, v4 :: v_dual_sub_f32 v7, v2, v4
	s_delay_alu instid0(VALU_DEP_2) | instskip(SKIP_1) | instid1(VALU_DEP_3)
	v_dual_sub_f32 v8, v65, v5 :: v_dual_sub_f32 v9, v3, v5
	v_mov_b64_e32 v[64:65], v[4:5]
	v_dual_mul_f32 v2, 0x3fb8aa3b, v6 :: v_dual_mul_f32 v3, 0x3fb8aa3b, v7
	s_delay_alu instid0(VALU_DEP_3) | instskip(SKIP_1) | instid1(VALU_DEP_3)
	v_mul_f32_e32 v10, 0x3fb8aa3b, v8
	v_cmp_ngt_f32_e32 vcc_lo, 0xc2ce8ed0, v6
	v_fma_f32 v12, 0x3fb8aa3b, v6, -v2
	v_rndne_f32_e32 v13, v2
	v_rndne_f32_e32 v15, v3
	v_fma_f32 v14, 0x3fb8aa3b, v7, -v3
	v_fma_f32 v16, 0x3fb8aa3b, v8, -v10
	v_fmac_f32_e32 v12, 0x32a5705f, v6
	s_delay_alu instid0(VALU_DEP_4) | instskip(SKIP_3) | instid1(VALU_DEP_4)
	v_dual_sub_f32 v2, v2, v13 :: v_dual_sub_f32 v3, v3, v15
	v_mul_f32_e32 v11, 0x3fb8aa3b, v9
	v_rndne_f32_e32 v17, v10
	v_cvt_i32_f32_e32 v13, v13
	v_add_f32_e32 v2, v2, v12
	v_fmac_f32_e32 v14, 0x32a5705f, v7
	v_fma_f32 v18, 0x3fb8aa3b, v9, -v11
	v_rndne_f32_e32 v19, v11
	v_fmac_f32_e32 v16, 0x32a5705f, v8
	v_exp_f32_e32 v2, v2
	s_delay_alu instid0(VALU_DEP_3) | instskip(NEXT) | instid1(VALU_DEP_3)
	v_dual_add_f32 v3, v3, v14 :: v_dual_fmac_f32 v18, 0x32a5705f, v9
	v_dual_sub_f32 v11, v11, v19 :: v_dual_sub_f32 v10, v10, v17
	v_cvt_i32_f32_e32 v14, v17
	s_delay_alu instid0(VALU_DEP_3) | instskip(NEXT) | instid1(TRANS32_DEP_2)
	v_exp_f32_e32 v3, v3
	v_ldexp_f32 v2, v2, v13
	s_delay_alu instid0(VALU_DEP_3) | instskip(SKIP_2) | instid1(VALU_DEP_4)
	v_dual_add_f32 v11, v11, v18 :: v_dual_add_f32 v10, v10, v16
	v_cvt_i32_f32_e32 v12, v15
	v_cvt_i32_f32_e32 v15, v19
	v_cndmask_b32_e32 v2, 0, v2, vcc_lo
	v_cmp_ngt_f32_e32 vcc_lo, 0xc2ce8ed0, v8
	v_exp_f32_e32 v10, v10
	v_exp_f32_e32 v11, v11
	s_delay_alu instid0(TRANS32_DEP_2) | instskip(NEXT) | instid1(VALU_DEP_1)
	v_ldexp_f32 v10, v10, v14
	v_cndmask_b32_e32 v10, 0, v10, vcc_lo
	v_cmp_nlt_f32_e32 vcc_lo, 0x42b17218, v6
	v_ldexp_f32 v6, v3, v12
	v_cndmask_b32_e32 v2, 0x7f800000, v2, vcc_lo
	v_cmp_nlt_f32_e32 vcc_lo, 0x42b17218, v8
	v_ldexp_f32 v8, v11, v15
	v_cndmask_b32_e32 v3, 0x7f800000, v10, vcc_lo
	v_cmp_ngt_f32_e32 vcc_lo, 0xc2ce8ed0, v7
	v_cvt_f16_f32_e32 v10, v2
	s_delay_alu instid0(VALU_DEP_3) | instskip(SKIP_2) | instid1(VALU_DEP_4)
	v_cvt_f16_f32_e32 v11, v3
	v_cndmask_b32_e32 v6, 0, v6, vcc_lo
	v_cmp_ngt_f32_e32 vcc_lo, 0xc2ce8ed0, v9
	v_and_b32_e32 v10, 0xffff, v10
	s_delay_alu instid0(VALU_DEP_4)
	v_and_b32_e32 v11, 0xffff, v11
	v_cndmask_b32_e32 v8, 0, v8, vcc_lo
	v_cmp_nlt_f32_e32 vcc_lo, 0x42b17218, v7
	v_cndmask_b32_e32 v6, 0x7f800000, v6, vcc_lo
	v_cmp_nlt_f32_e32 vcc_lo, 0x42b17218, v9
	v_mul_u32_u24_e32 v9, 0x10001, v11
	v_cndmask_b32_e32 v7, 0x7f800000, v8, vcc_lo
	v_mul_u32_u24_e32 v8, 0x10001, v10
	s_delay_alu instid0(VALU_DEP_3) | instskip(SKIP_1) | instid1(VALU_DEP_4)
	v_pk_mul_f16 v75, v75, v9
	v_pk_mul_f16 v76, v76, v9
	v_pk_fma_f32 v[0:1], v[0:1], v[2:3], v[6:7]
	s_delay_alu instid0(VALU_DEP_4)
	v_pk_mul_f16 v85, v85, v8
	v_pk_mul_f16 v86, v86, v8
.LBB40_32:
	s_mov_b32 s3, exec_lo
	v_cmpx_gt_i32_e64 s22, v71
	s_cbranch_execz .LBB40_42
; %bb.33:
	s_load_b32 s0, s[0:1], 0xd4
	v_mov_b32_e32 v2, 1.0
	s_wait_kmcnt 0x0
	s_cmp_lg_u32 s0, 1
	s_cselect_b32 s3, -1, 0
	s_cmp_eq_u32 s0, 1
	s_cselect_b32 s1, -1, 0
	s_and_b32 vcc_lo, exec_lo, s3
	s_cbranch_vccnz .LBB40_35
; %bb.34:
	v_div_scale_f32 v2, null, v0, v0, 1.0
	s_delay_alu instid0(VALU_DEP_1) | instskip(SKIP_1) | instid1(TRANS32_DEP_1)
	v_rcp_f32_e32 v3, v2
	v_nop
	v_fma_f32 v4, -v2, v3, 1.0
	s_delay_alu instid0(VALU_DEP_1) | instskip(SKIP_1) | instid1(VALU_DEP_1)
	v_fmac_f32_e32 v3, v4, v3
	v_div_scale_f32 v4, vcc_lo, 1.0, v0, 1.0
	v_mul_f32_e32 v5, v4, v3
	s_delay_alu instid0(VALU_DEP_1) | instskip(NEXT) | instid1(VALU_DEP_1)
	v_fma_f32 v6, -v2, v5, v4
	v_fmac_f32_e32 v5, v6, v3
	s_delay_alu instid0(VALU_DEP_1) | instskip(NEXT) | instid1(VALU_DEP_1)
	v_fma_f32 v2, -v2, v5, v4
	v_div_fmas_f32 v2, v2, v3, v5
	s_delay_alu instid0(VALU_DEP_1)
	v_div_fixup_f32 v2, v2, v0, 1.0
.LBB40_35:
	v_mad_u32 v3, s28, s22, v71
	s_delay_alu instid0(VALU_DEP_1) | instskip(NEXT) | instid1(VALU_DEP_1)
	v_mad_u32 v3, v3, s23, s10
	v_mad_u32 v3, s0, v3, s31
	s_and_saveexec_b32 s4, s2
	s_cbranch_execz .LBB40_37
; %bb.36:
	s_delay_alu instid0(VALU_DEP_1) | instskip(SKIP_4) | instid1(VALU_DEP_4)
	v_mad_u32 v6, 0x60, v3, v59
	v_dual_lshrrev_b32 v5, 16, v85 :: v_dual_lshrrev_b32 v9, 16, v86
	v_mov_b32_e32 v7, 0
	v_cvt_f32_f16_e32 v4, v85
	v_cvt_f32_f16_e32 v8, v86
	;; [unrolled: 1-line block ×4, first 2 shown]
	s_delay_alu instid0(VALU_DEP_2) | instskip(SKIP_1) | instid1(VALU_DEP_3)
	v_pk_mul_f32 v[4:5], v[2:3], v[4:5] op_sel_hi:[0,1]
	v_lshl_add_u64 v[10:11], v[6:7], 2, s[16:17]
	v_pk_mul_f32 v[6:7], v[2:3], v[8:9] op_sel_hi:[0,1]
	global_store_b128 v[10:11], v[4:7], off
.LBB40_37:
	s_wait_xcnt 0x0
	s_or_b32 exec_lo, exec_lo, s4
	v_cmp_eq_u32_e32 vcc_lo, 0, v70
	s_and_b32 s3, vcc_lo, s3
	s_delay_alu instid0(SALU_CYCLE_1)
	s_and_saveexec_b32 s4, s3
	s_cbranch_execnz .LBB40_43
; %bb.38:
	s_or_b32 exec_lo, exec_lo, s4
	v_mov_b32_e32 v0, 1.0
	s_and_not1_b32 vcc_lo, exec_lo, s1
	s_cbranch_vccz .LBB40_44
.LBB40_39:
	v_add_nc_u32_e32 v2, s0, v3
	s_and_saveexec_b32 s0, s2
	s_cbranch_execnz .LBB40_45
.LBB40_40:
	s_or_b32 exec_lo, exec_lo, s0
	s_delay_alu instid0(SALU_CYCLE_1)
	s_and_b32 exec_lo, exec_lo, s3
	s_cbranch_execz .LBB40_42
.LBB40_41:
	v_mov_b32_e32 v0, v65
	global_store_b64 v2, v[0:1], s[18:19] scale_offset
.LBB40_42:
	s_sendmsg sendmsg(MSG_DEALLOC_VGPRS)
	s_endpgm
.LBB40_43:
	v_dual_mov_b32 v4, v64 :: v_dual_mov_b32 v5, v0
	global_store_b64 v3, v[4:5], s[18:19] scale_offset
	s_wait_xcnt 0x0
	s_or_b32 exec_lo, exec_lo, s4
	v_mov_b32_e32 v0, 1.0
	s_and_not1_b32 vcc_lo, exec_lo, s1
	s_cbranch_vccnz .LBB40_39
.LBB40_44:
	v_div_scale_f32 v0, null, v1, v1, 1.0
	s_delay_alu instid0(VALU_DEP_1) | instskip(SKIP_1) | instid1(TRANS32_DEP_1)
	v_rcp_f32_e32 v2, v0
	v_nop
	v_fma_f32 v4, -v0, v2, 1.0
	s_delay_alu instid0(VALU_DEP_1) | instskip(SKIP_1) | instid1(VALU_DEP_1)
	v_fmac_f32_e32 v2, v4, v2
	v_div_scale_f32 v4, vcc_lo, 1.0, v1, 1.0
	v_mul_f32_e32 v5, v4, v2
	s_delay_alu instid0(VALU_DEP_1) | instskip(NEXT) | instid1(VALU_DEP_1)
	v_fma_f32 v6, -v0, v5, v4
	v_fmac_f32_e32 v5, v6, v2
	s_delay_alu instid0(VALU_DEP_1) | instskip(NEXT) | instid1(VALU_DEP_1)
	v_fma_f32 v0, -v0, v5, v4
	v_div_fmas_f32 v0, v0, v2, v5
	s_delay_alu instid0(VALU_DEP_1)
	v_div_fixup_f32 v0, v0, v1, 1.0
	v_add_nc_u32_e32 v2, s0, v3
	s_and_saveexec_b32 s0, s2
	s_cbranch_execz .LBB40_40
.LBB40_45:
	s_delay_alu instid0(VALU_DEP_1) | instskip(SKIP_4) | instid1(VALU_DEP_4)
	v_mad_u32 v6, 0x60, v2, v59
	v_dual_lshrrev_b32 v3, 16, v75 :: v_dual_lshrrev_b32 v9, 16, v76
	v_mov_b32_e32 v7, 0
	v_cvt_f32_f16_e32 v4, v75
	v_cvt_f32_f16_e32 v8, v76
	;; [unrolled: 1-line block ×4, first 2 shown]
	s_delay_alu instid0(VALU_DEP_2) | instskip(SKIP_1) | instid1(VALU_DEP_3)
	v_pk_mul_f32 v[4:5], v[0:1], v[4:5] op_sel_hi:[0,1]
	v_lshl_add_u64 v[10:11], v[6:7], 2, s[16:17]
	v_pk_mul_f32 v[6:7], v[0:1], v[8:9] op_sel_hi:[0,1]
	global_store_b128 v[10:11], v[4:7], off
	s_wait_xcnt 0x0
	s_or_b32 exec_lo, exec_lo, s0
	s_delay_alu instid0(SALU_CYCLE_1)
	s_and_b32 exec_lo, exec_lo, s3
	s_cbranch_execnz .LBB40_41
	s_branch .LBB40_42
	.section	.rodata,"a",@progbits
	.p2align	6, 0x0
	.amdhsa_kernel _ZL15flash_attn_tileILi96ELi96ELi8ELi2ELb0EEvPKcS1_S1_S1_S1_PKiPfP15HIP_vector_typeIfLj2EEffffjfiS5_IjLj3EEiiiiiiiiiiiliiliiiiil
		.amdhsa_group_segment_fixed_size 7808
		.amdhsa_private_segment_fixed_size 0
		.amdhsa_kernarg_size 464
		.amdhsa_user_sgpr_count 2
		.amdhsa_user_sgpr_dispatch_ptr 0
		.amdhsa_user_sgpr_queue_ptr 0
		.amdhsa_user_sgpr_kernarg_segment_ptr 1
		.amdhsa_user_sgpr_dispatch_id 0
		.amdhsa_user_sgpr_kernarg_preload_length 0
		.amdhsa_user_sgpr_kernarg_preload_offset 0
		.amdhsa_user_sgpr_private_segment_size 0
		.amdhsa_wavefront_size32 1
		.amdhsa_uses_dynamic_stack 0
		.amdhsa_enable_private_segment 0
		.amdhsa_system_sgpr_workgroup_id_x 1
		.amdhsa_system_sgpr_workgroup_id_y 1
		.amdhsa_system_sgpr_workgroup_id_z 1
		.amdhsa_system_sgpr_workgroup_info 0
		.amdhsa_system_vgpr_workitem_id 1
		.amdhsa_next_free_vgpr 109
		.amdhsa_next_free_sgpr 43
		.amdhsa_named_barrier_count 0
		.amdhsa_reserve_vcc 1
		.amdhsa_float_round_mode_32 0
		.amdhsa_float_round_mode_16_64 0
		.amdhsa_float_denorm_mode_32 3
		.amdhsa_float_denorm_mode_16_64 3
		.amdhsa_fp16_overflow 0
		.amdhsa_memory_ordered 1
		.amdhsa_forward_progress 1
		.amdhsa_inst_pref_size 59
		.amdhsa_round_robin_scheduling 0
		.amdhsa_exception_fp_ieee_invalid_op 0
		.amdhsa_exception_fp_denorm_src 0
		.amdhsa_exception_fp_ieee_div_zero 0
		.amdhsa_exception_fp_ieee_overflow 0
		.amdhsa_exception_fp_ieee_underflow 0
		.amdhsa_exception_fp_ieee_inexact 0
		.amdhsa_exception_int_div_zero 0
	.end_amdhsa_kernel
	.section	.text._ZL15flash_attn_tileILi96ELi96ELi8ELi2ELb0EEvPKcS1_S1_S1_S1_PKiPfP15HIP_vector_typeIfLj2EEffffjfiS5_IjLj3EEiiiiiiiiiiiliiliiiiil,"axG",@progbits,_ZL15flash_attn_tileILi96ELi96ELi8ELi2ELb0EEvPKcS1_S1_S1_S1_PKiPfP15HIP_vector_typeIfLj2EEffffjfiS5_IjLj3EEiiiiiiiiiiiliiliiiiil,comdat
.Lfunc_end40:
	.size	_ZL15flash_attn_tileILi96ELi96ELi8ELi2ELb0EEvPKcS1_S1_S1_S1_PKiPfP15HIP_vector_typeIfLj2EEffffjfiS5_IjLj3EEiiiiiiiiiiiliiliiiiil, .Lfunc_end40-_ZL15flash_attn_tileILi96ELi96ELi8ELi2ELb0EEvPKcS1_S1_S1_S1_PKiPfP15HIP_vector_typeIfLj2EEffffjfiS5_IjLj3EEiiiiiiiiiiiliiliiiiil
                                        ; -- End function
	.set _ZL15flash_attn_tileILi96ELi96ELi8ELi2ELb0EEvPKcS1_S1_S1_S1_PKiPfP15HIP_vector_typeIfLj2EEffffjfiS5_IjLj3EEiiiiiiiiiiiliiliiiiil.num_vgpr, 109
	.set _ZL15flash_attn_tileILi96ELi96ELi8ELi2ELb0EEvPKcS1_S1_S1_S1_PKiPfP15HIP_vector_typeIfLj2EEffffjfiS5_IjLj3EEiiiiiiiiiiiliiliiiiil.num_agpr, 0
	.set _ZL15flash_attn_tileILi96ELi96ELi8ELi2ELb0EEvPKcS1_S1_S1_S1_PKiPfP15HIP_vector_typeIfLj2EEffffjfiS5_IjLj3EEiiiiiiiiiiiliiliiiiil.numbered_sgpr, 43
	.set _ZL15flash_attn_tileILi96ELi96ELi8ELi2ELb0EEvPKcS1_S1_S1_S1_PKiPfP15HIP_vector_typeIfLj2EEffffjfiS5_IjLj3EEiiiiiiiiiiiliiliiiiil.num_named_barrier, 0
	.set _ZL15flash_attn_tileILi96ELi96ELi8ELi2ELb0EEvPKcS1_S1_S1_S1_PKiPfP15HIP_vector_typeIfLj2EEffffjfiS5_IjLj3EEiiiiiiiiiiiliiliiiiil.private_seg_size, 0
	.set _ZL15flash_attn_tileILi96ELi96ELi8ELi2ELb0EEvPKcS1_S1_S1_S1_PKiPfP15HIP_vector_typeIfLj2EEffffjfiS5_IjLj3EEiiiiiiiiiiiliiliiiiil.uses_vcc, 1
	.set _ZL15flash_attn_tileILi96ELi96ELi8ELi2ELb0EEvPKcS1_S1_S1_S1_PKiPfP15HIP_vector_typeIfLj2EEffffjfiS5_IjLj3EEiiiiiiiiiiiliiliiiiil.uses_flat_scratch, 0
	.set _ZL15flash_attn_tileILi96ELi96ELi8ELi2ELb0EEvPKcS1_S1_S1_S1_PKiPfP15HIP_vector_typeIfLj2EEffffjfiS5_IjLj3EEiiiiiiiiiiiliiliiiiil.has_dyn_sized_stack, 0
	.set _ZL15flash_attn_tileILi96ELi96ELi8ELi2ELb0EEvPKcS1_S1_S1_S1_PKiPfP15HIP_vector_typeIfLj2EEffffjfiS5_IjLj3EEiiiiiiiiiiiliiliiiiil.has_recursion, 0
	.set _ZL15flash_attn_tileILi96ELi96ELi8ELi2ELb0EEvPKcS1_S1_S1_S1_PKiPfP15HIP_vector_typeIfLj2EEffffjfiS5_IjLj3EEiiiiiiiiiiiliiliiiiil.has_indirect_call, 0
	.section	.AMDGPU.csdata,"",@progbits
; Kernel info:
; codeLenInByte = 7428
; TotalNumSgprs: 45
; NumVgprs: 109
; ScratchSize: 0
; MemoryBound: 0
; FloatMode: 240
; IeeeMode: 1
; LDSByteSize: 7808 bytes/workgroup (compile time only)
; SGPRBlocks: 0
; VGPRBlocks: 6
; NumSGPRsForWavesPerEU: 45
; NumVGPRsForWavesPerEU: 109
; NamedBarCnt: 0
; Occupancy: 9
; WaveLimiterHint : 1
; COMPUTE_PGM_RSRC2:SCRATCH_EN: 0
; COMPUTE_PGM_RSRC2:USER_SGPR: 2
; COMPUTE_PGM_RSRC2:TRAP_HANDLER: 0
; COMPUTE_PGM_RSRC2:TGID_X_EN: 1
; COMPUTE_PGM_RSRC2:TGID_Y_EN: 1
; COMPUTE_PGM_RSRC2:TGID_Z_EN: 1
; COMPUTE_PGM_RSRC2:TIDIG_COMP_CNT: 1
	.section	.text._ZL33flash_attn_stream_k_fixup_uniformILi96ELi8ELi2EEvPfPK15HIP_vector_typeIfLj2EEiiiiiiS1_IjLj3EES5_S5_,"axG",@progbits,_ZL33flash_attn_stream_k_fixup_uniformILi96ELi8ELi2EEvPfPK15HIP_vector_typeIfLj2EEiiiiiiS1_IjLj3EES5_S5_,comdat
	.globl	_ZL33flash_attn_stream_k_fixup_uniformILi96ELi8ELi2EEvPfPK15HIP_vector_typeIfLj2EEiiiiiiS1_IjLj3EES5_S5_ ; -- Begin function _ZL33flash_attn_stream_k_fixup_uniformILi96ELi8ELi2EEvPfPK15HIP_vector_typeIfLj2EEiiiiiiS1_IjLj3EES5_S5_
	.p2align	8
	.type	_ZL33flash_attn_stream_k_fixup_uniformILi96ELi8ELi2EEvPfPK15HIP_vector_typeIfLj2EEiiiiiiS1_IjLj3EES5_S5_,@function
_ZL33flash_attn_stream_k_fixup_uniformILi96ELi8ELi2EEvPfPK15HIP_vector_typeIfLj2EEiiiiiiS1_IjLj3EES5_S5_: ; @_ZL33flash_attn_stream_k_fixup_uniformILi96ELi8ELi2EEvPfPK15HIP_vector_typeIfLj2EEiiiiiiS1_IjLj3EES5_S5_
; %bb.0:
	s_load_b256 s[4:11], s[0:1], 0x1c
	s_bfe_u32 s2, ttmp6, 0x40014
	s_lshr_b32 s3, ttmp7, 16
	s_add_co_i32 s2, s2, 1
	s_bfe_u32 s13, ttmp6, 0x40010
	s_mul_i32 s2, s3, s2
	s_bfe_u32 s12, ttmp6, 0x40008
	s_and_b32 s15, ttmp7, 0xffff
	s_add_co_i32 s13, s13, 1
	s_bfe_u32 s14, ttmp6, 0x4000c
	s_add_co_i32 s2, s12, s2
	s_mul_i32 s12, s15, s13
	s_bfe_u32 s13, ttmp6, 0x40004
	s_add_co_i32 s14, s14, 1
	s_add_co_i32 s13, s13, s12
	s_and_b32 s12, ttmp6, 15
	s_mul_i32 s14, ttmp9, s14
	s_getreg_b32 s20, hwreg(HW_REG_IB_STS2, 6, 4)
	s_add_co_i32 s12, s12, s14
	s_load_b128 s[16:19], s[0:1], 0x3c
	s_cmp_eq_u32 s20, 0
	s_cselect_b32 s14, ttmp9, s12
	s_cselect_b32 s12, s15, s13
	s_wait_kmcnt 0x0
	s_mul_hi_u32 s7, s7, s14
	s_cselect_b32 s13, s3, s2
	s_add_co_i32 s2, s14, s7
	s_delay_alu instid0(SALU_CYCLE_1) | instskip(NEXT) | instid1(SALU_CYCLE_1)
	s_lshr_b32 s7, s2, s8
	s_mul_i32 s2, s7, s9
	s_delay_alu instid0(SALU_CYCLE_1) | instskip(NEXT) | instid1(SALU_CYCLE_1)
	s_sub_co_i32 s8, s14, s2
	s_mul_hi_u32 s2, s8, s10
	s_delay_alu instid0(SALU_CYCLE_1) | instskip(SKIP_2) | instid1(SALU_CYCLE_1)
	s_add_co_i32 s9, s8, s2
	s_load_b64 s[2:3], s[0:1], 0x10
	s_lshr_b32 s15, s9, s11
	s_mul_i32 s9, s15, s16
	s_delay_alu instid0(SALU_CYCLE_1) | instskip(NEXT) | instid1(SALU_CYCLE_1)
	s_sub_co_i32 s8, s8, s9
	s_mul_hi_u32 s9, s8, s17
	s_delay_alu instid0(SALU_CYCLE_1) | instskip(NEXT) | instid1(SALU_CYCLE_1)
	s_add_co_i32 s9, s8, s9
	s_lshr_b32 s9, s9, s18
	s_delay_alu instid0(SALU_CYCLE_1) | instskip(SKIP_2) | instid1(SALU_CYCLE_1)
	s_mul_i32 s10, s9, s19
	s_lshl_b32 s17, s9, 1
	s_sub_co_i32 s16, s8, s10
	s_lshl_b32 s8, s16, 3
	s_delay_alu instid0(SALU_CYCLE_1) | instskip(SKIP_4) | instid1(SALU_CYCLE_1)
	s_add_co_i32 s8, s8, s12
	s_wait_kmcnt 0x0
	s_cmp_lt_i32 s8, s2
	s_cselect_b32 s8, -1, 0
	s_add_co_i32 s17, s17, s13
	s_cmp_lt_i32 s17, s5
	s_cselect_b32 s9, -1, 0
	s_delay_alu instid0(SALU_CYCLE_1) | instskip(NEXT) | instid1(SALU_CYCLE_1)
	s_and_b32 s8, s8, s9
	s_and_not1_b32 vcc_lo, exec_lo, s8
	s_cbranch_vccnz .LBB41_6
; %bb.1:
	s_load_b128 s[8:11], s[0:1], 0x0
	s_wait_xcnt 0x0
	s_mul_i32 s0, s7, s2
	s_mul_i32 s15, s15, s5
	s_add_co_i32 s0, s0, s12
	s_add_co_i32 s1, s17, s15
	s_mul_i32 s0, s0, s3
	s_mul_i32 s2, s3, s16
	s_add_co_i32 s0, s1, s0
	s_mulk_i32 s2, 0x300
	s_mulk_i32 s0, 0x60
	s_mul_i32 s7, s6, s14
	v_add3_u32 v4, s0, s2, v0
	s_lshl_b32 s5, s12, 1
	s_add_co_i32 s15, s7, s6
	s_add_co_i32 s0, s5, s13
	s_lshl_b32 s1, s15, 4
	v_ashrrev_i32_e32 v5, 31, v4
	s_add_co_i32 s0, s0, s1
	s_add_co_i32 s2, s15, -2
	s_add_co_i32 s0, s0, -16
	s_wait_kmcnt 0x0
	global_load_b32 v3, v4, s[8:9] scale_offset
	s_ashr_i32 s1, s0, 31
	s_delay_alu instid0(SALU_CYCLE_1)
	s_lshl_b64 s[0:1], s[0:1], 3
	s_cmp_lt_i32 s2, s7
	s_add_nc_u64 s[0:1], s[10:11], s[0:1]
	s_load_b32 s16, s[0:1], 0x4
	s_cbranch_scc1 .LBB41_4
; %bb.2:
	s_wait_xcnt 0x0
	s_load_b32 s0, s[0:1], 0x0
	s_add_co_i32 s14, s14, 1
	s_mulk_i32 s12, 0xc0
	s_wait_xcnt 0x0
	s_mul_i32 s1, s6, s14
	s_lshl_b32 s2, s4, 6
	s_lshl_b32 s6, s1, 4
	s_mulk_i32 s1, 0x600
	s_add_co_i32 s6, s13, s6
	s_mulk_i32 s13, 0x60
	s_lshl_b32 s4, s4, 4
	s_add_co_i32 s12, s13, s12
	s_ashr_i32 s3, s2, 31
	s_add_co_i32 s12, s12, s1
	s_add_co_i32 s1, s6, s4
	v_add3_u32 v0, s12, v0, 0xfffff400
	s_wait_kmcnt 0x0
	v_mov_b32_e32 v2, s16
	s_lshl_b64 s[2:3], s[2:3], 2
	s_add_co_i32 s4, s1, s5
	s_add_nc_u64 s[2:3], s[10:11], s[2:3]
	s_add_co_i32 s1, s15, -1
	s_sub_co_i32 s4, s4, 32
.LBB41_3:                               ; =>This Inner Loop Header: Depth=1
	global_load_b32 v7, v0, s[2:3] scale_offset
	s_ashr_i32 s5, s4, 31
	v_max_num_f32_e64 v1, s0, s0
	s_lshl_b64 s[12:13], s[4:5], 3
	s_delay_alu instid0(SALU_CYCLE_1) | instskip(SKIP_1) | instid1(VALU_DEP_1)
	s_add_nc_u64 s[12:13], s[10:11], s[12:13]
	s_load_b64 s[12:13], s[12:13], 0x0
	v_readfirstlane_b32 s5, v1
	v_add_nc_u32_e32 v0, 0xfffffa00, v0
	s_wait_kmcnt 0x0
	v_max_num_f32_e64 v1, s12, s12
	s_delay_alu instid0(VALU_DEP_1) | instskip(SKIP_1) | instid1(SALU_CYCLE_3)
	v_readfirstlane_b32 s6, v1
	s_max_num_f32 s5, s5, s6
	s_sub_f32 s0, s0, s5
	s_sub_f32 s6, s12, s5
	s_delay_alu instid0(SALU_CYCLE_2) | instskip(NEXT) | instid1(SALU_CYCLE_2)
	s_mul_f32 s12, s0, 0x3fb8aa3b
	s_mul_f32 s14, s6, 0x3fb8aa3b
	s_delay_alu instid0(SALU_CYCLE_2)
	s_xor_b32 s15, s12, 0x80000000
	s_rndne_f32 s16, s12
	s_fmamk_f32 s15, s0, 0x3fb8aa3b, s15
	s_cmp_nlt_f32 s0, 0xc2ce8ed0
	s_rndne_f32 s17, s14
	s_sub_f32 s12, s12, s16
	s_fmamk_f32 s15, s0, 0x32a5705f, s15
	s_cselect_b32 vcc_lo, -1, 0
	s_cmp_ngt_f32 s0, 0x42b17218
	s_delay_alu instid0(SALU_CYCLE_1) | instskip(SKIP_2) | instid1(SALU_CYCLE_1)
	s_add_f32 s12, s12, s15
	s_cvt_i32_f32 s15, s16
	s_sub_f32 s16, s14, s17
	v_s_exp_f32 s12, s12
	v_nop
	s_delay_alu instid0(TRANS32_DEP_1) | instskip(SKIP_1) | instid1(VALU_DEP_1)
	v_ldexp_f32 v1, s12, s15
	s_cvt_i32_f32 s12, s17
	v_cndmask_b32_e32 v1, 0, v1, vcc_lo
	s_cselect_b32 vcc_lo, -1, 0
	s_cmp_ge_f32 s0, 0xc1a00000
	s_delay_alu instid0(VALU_DEP_1)
	v_cndmask_b32_e32 v1, 0x7f800000, v1, vcc_lo
	s_cselect_b32 vcc_lo, -1, 0
	s_xor_b32 s0, s14, 0x80000000
	s_cmp_nlt_f32 s6, 0xc2ce8ed0
	s_fmamk_f32 s0, s6, 0x3fb8aa3b, s0
	v_cndmask_b32_e32 v10, 0, v1, vcc_lo
	s_delay_alu instid0(SALU_CYCLE_2) | instskip(NEXT) | instid1(SALU_CYCLE_3)
	s_fmamk_f32 s0, s6, 0x32a5705f, s0
	s_add_f32 s0, s16, s0
	s_delay_alu instid0(SALU_CYCLE_3) | instskip(SKIP_1) | instid1(TRANS32_DEP_1)
	v_s_exp_f32 s0, s0
	v_nop
	v_ldexp_f32 v6, s0, s12
	s_cselect_b32 s0, -1, 0
	s_cmp_ngt_f32 s6, 0x42b17218
	s_delay_alu instid0(VALU_DEP_1) | instskip(SKIP_2) | instid1(VALU_DEP_1)
	v_cndmask_b32_e64 v6, 0, v6, s0
	s_cselect_b32 s0, -1, 0
	s_cmp_ge_f32 s6, 0xc1a00000
	v_cndmask_b32_e64 v8, 0x7f800000, v6, s0
	s_cselect_b32 s0, -1, 0
	v_mov_b32_e32 v6, s13
	s_add_co_i32 s1, s1, -1
	s_add_co_i32 s4, s4, -16
	v_cndmask_b32_e64 v8, 0, v8, s0
	s_cmp_le_i32 s1, s7
	s_mov_b32 s0, s5
	s_wait_loadcnt 0x0
	s_delay_alu instid0(VALU_DEP_1) | instskip(NEXT) | instid1(VALU_DEP_1)
	v_pk_mul_f32 v[6:7], v[6:7], v[8:9] op_sel_hi:[1,0]
	v_pk_fma_f32 v[2:3], v[2:3], v[10:11], v[6:7] op_sel_hi:[1,0,1]
	s_cbranch_scc0 .LBB41_3
	s_branch .LBB41_5
.LBB41_4:
	s_wait_kmcnt 0x0
	v_mov_b32_e32 v2, s16
.LBB41_5:
	v_lshl_add_u64 v[0:1], v[4:5], 2, s[8:9]
	s_wait_loadcnt 0x0
	s_delay_alu instid0(VALU_DEP_2) | instskip(NEXT) | instid1(VALU_DEP_1)
	v_div_scale_f32 v4, null, v2, v2, v3
	v_rcp_f32_e32 v5, v4
	v_nop
	s_delay_alu instid0(TRANS32_DEP_1) | instskip(NEXT) | instid1(VALU_DEP_1)
	v_fma_f32 v6, -v4, v5, 1.0
	v_fmac_f32_e32 v5, v6, v5
	v_div_scale_f32 v6, vcc_lo, v3, v2, v3
	s_delay_alu instid0(VALU_DEP_1) | instskip(NEXT) | instid1(VALU_DEP_1)
	v_mul_f32_e32 v7, v6, v5
	v_fma_f32 v8, -v4, v7, v6
	s_delay_alu instid0(VALU_DEP_1) | instskip(NEXT) | instid1(VALU_DEP_1)
	v_fmac_f32_e32 v7, v8, v5
	v_fma_f32 v4, -v4, v7, v6
	s_delay_alu instid0(VALU_DEP_1) | instskip(NEXT) | instid1(VALU_DEP_1)
	v_div_fmas_f32 v4, v4, v5, v7
	v_div_fixup_f32 v2, v4, v2, v3
	global_store_b32 v[0:1], v2, off
.LBB41_6:
	s_endpgm
	.section	.rodata,"a",@progbits
	.p2align	6, 0x0
	.amdhsa_kernel _ZL33flash_attn_stream_k_fixup_uniformILi96ELi8ELi2EEvPfPK15HIP_vector_typeIfLj2EEiiiiiiS1_IjLj3EES5_S5_
		.amdhsa_group_segment_fixed_size 0
		.amdhsa_private_segment_fixed_size 0
		.amdhsa_kernarg_size 76
		.amdhsa_user_sgpr_count 2
		.amdhsa_user_sgpr_dispatch_ptr 0
		.amdhsa_user_sgpr_queue_ptr 0
		.amdhsa_user_sgpr_kernarg_segment_ptr 1
		.amdhsa_user_sgpr_dispatch_id 0
		.amdhsa_user_sgpr_kernarg_preload_length 0
		.amdhsa_user_sgpr_kernarg_preload_offset 0
		.amdhsa_user_sgpr_private_segment_size 0
		.amdhsa_wavefront_size32 1
		.amdhsa_uses_dynamic_stack 0
		.amdhsa_enable_private_segment 0
		.amdhsa_system_sgpr_workgroup_id_x 1
		.amdhsa_system_sgpr_workgroup_id_y 1
		.amdhsa_system_sgpr_workgroup_id_z 1
		.amdhsa_system_sgpr_workgroup_info 0
		.amdhsa_system_vgpr_workitem_id 0
		.amdhsa_next_free_vgpr 12
		.amdhsa_next_free_sgpr 21
		.amdhsa_named_barrier_count 0
		.amdhsa_reserve_vcc 1
		.amdhsa_float_round_mode_32 0
		.amdhsa_float_round_mode_16_64 0
		.amdhsa_float_denorm_mode_32 3
		.amdhsa_float_denorm_mode_16_64 3
		.amdhsa_fp16_overflow 0
		.amdhsa_memory_ordered 1
		.amdhsa_forward_progress 1
		.amdhsa_inst_pref_size 9
		.amdhsa_round_robin_scheduling 0
		.amdhsa_exception_fp_ieee_invalid_op 0
		.amdhsa_exception_fp_denorm_src 0
		.amdhsa_exception_fp_ieee_div_zero 0
		.amdhsa_exception_fp_ieee_overflow 0
		.amdhsa_exception_fp_ieee_underflow 0
		.amdhsa_exception_fp_ieee_inexact 0
		.amdhsa_exception_int_div_zero 0
	.end_amdhsa_kernel
	.section	.text._ZL33flash_attn_stream_k_fixup_uniformILi96ELi8ELi2EEvPfPK15HIP_vector_typeIfLj2EEiiiiiiS1_IjLj3EES5_S5_,"axG",@progbits,_ZL33flash_attn_stream_k_fixup_uniformILi96ELi8ELi2EEvPfPK15HIP_vector_typeIfLj2EEiiiiiiS1_IjLj3EES5_S5_,comdat
.Lfunc_end41:
	.size	_ZL33flash_attn_stream_k_fixup_uniformILi96ELi8ELi2EEvPfPK15HIP_vector_typeIfLj2EEiiiiiiS1_IjLj3EES5_S5_, .Lfunc_end41-_ZL33flash_attn_stream_k_fixup_uniformILi96ELi8ELi2EEvPfPK15HIP_vector_typeIfLj2EEiiiiiiS1_IjLj3EES5_S5_
                                        ; -- End function
	.set _ZL33flash_attn_stream_k_fixup_uniformILi96ELi8ELi2EEvPfPK15HIP_vector_typeIfLj2EEiiiiiiS1_IjLj3EES5_S5_.num_vgpr, 12
	.set _ZL33flash_attn_stream_k_fixup_uniformILi96ELi8ELi2EEvPfPK15HIP_vector_typeIfLj2EEiiiiiiS1_IjLj3EES5_S5_.num_agpr, 0
	.set _ZL33flash_attn_stream_k_fixup_uniformILi96ELi8ELi2EEvPfPK15HIP_vector_typeIfLj2EEiiiiiiS1_IjLj3EES5_S5_.numbered_sgpr, 21
	.set _ZL33flash_attn_stream_k_fixup_uniformILi96ELi8ELi2EEvPfPK15HIP_vector_typeIfLj2EEiiiiiiS1_IjLj3EES5_S5_.num_named_barrier, 0
	.set _ZL33flash_attn_stream_k_fixup_uniformILi96ELi8ELi2EEvPfPK15HIP_vector_typeIfLj2EEiiiiiiS1_IjLj3EES5_S5_.private_seg_size, 0
	.set _ZL33flash_attn_stream_k_fixup_uniformILi96ELi8ELi2EEvPfPK15HIP_vector_typeIfLj2EEiiiiiiS1_IjLj3EES5_S5_.uses_vcc, 1
	.set _ZL33flash_attn_stream_k_fixup_uniformILi96ELi8ELi2EEvPfPK15HIP_vector_typeIfLj2EEiiiiiiS1_IjLj3EES5_S5_.uses_flat_scratch, 0
	.set _ZL33flash_attn_stream_k_fixup_uniformILi96ELi8ELi2EEvPfPK15HIP_vector_typeIfLj2EEiiiiiiS1_IjLj3EES5_S5_.has_dyn_sized_stack, 0
	.set _ZL33flash_attn_stream_k_fixup_uniformILi96ELi8ELi2EEvPfPK15HIP_vector_typeIfLj2EEiiiiiiS1_IjLj3EES5_S5_.has_recursion, 0
	.set _ZL33flash_attn_stream_k_fixup_uniformILi96ELi8ELi2EEvPfPK15HIP_vector_typeIfLj2EEiiiiiiS1_IjLj3EES5_S5_.has_indirect_call, 0
	.section	.AMDGPU.csdata,"",@progbits
; Kernel info:
; codeLenInByte = 1084
; TotalNumSgprs: 23
; NumVgprs: 12
; ScratchSize: 0
; MemoryBound: 0
; FloatMode: 240
; IeeeMode: 1
; LDSByteSize: 0 bytes/workgroup (compile time only)
; SGPRBlocks: 0
; VGPRBlocks: 0
; NumSGPRsForWavesPerEU: 23
; NumVGPRsForWavesPerEU: 12
; NamedBarCnt: 0
; Occupancy: 16
; WaveLimiterHint : 0
; COMPUTE_PGM_RSRC2:SCRATCH_EN: 0
; COMPUTE_PGM_RSRC2:USER_SGPR: 2
; COMPUTE_PGM_RSRC2:TRAP_HANDLER: 0
; COMPUTE_PGM_RSRC2:TGID_X_EN: 1
; COMPUTE_PGM_RSRC2:TGID_Y_EN: 1
; COMPUTE_PGM_RSRC2:TGID_Z_EN: 1
; COMPUTE_PGM_RSRC2:TIDIG_COMP_CNT: 0
	.section	.text._ZL33flash_attn_stream_k_fixup_generalILi96ELi8ELi2EEvPfPK15HIP_vector_typeIfLj2EEiiiiS1_IjLj3EES5_S5_S5_,"axG",@progbits,_ZL33flash_attn_stream_k_fixup_generalILi96ELi8ELi2EEvPfPK15HIP_vector_typeIfLj2EEiiiiS1_IjLj3EES5_S5_S5_,comdat
	.globl	_ZL33flash_attn_stream_k_fixup_generalILi96ELi8ELi2EEvPfPK15HIP_vector_typeIfLj2EEiiiiS1_IjLj3EES5_S5_S5_ ; -- Begin function _ZL33flash_attn_stream_k_fixup_generalILi96ELi8ELi2EEvPfPK15HIP_vector_typeIfLj2EEiiiiS1_IjLj3EES5_S5_S5_
	.p2align	8
	.type	_ZL33flash_attn_stream_k_fixup_generalILi96ELi8ELi2EEvPfPK15HIP_vector_typeIfLj2EEiiiiS1_IjLj3EES5_S5_S5_,@function
_ZL33flash_attn_stream_k_fixup_generalILi96ELi8ELi2EEvPfPK15HIP_vector_typeIfLj2EEiiiiS1_IjLj3EES5_S5_S5_: ; @_ZL33flash_attn_stream_k_fixup_generalILi96ELi8ELi2EEvPfPK15HIP_vector_typeIfLj2EEiiiiS1_IjLj3EES5_S5_S5_
; %bb.0:
	s_clause 0x1
	s_load_b128 s[4:7], s[0:1], 0x10
	s_load_b32 s16, s[0:1], 0x50
	s_bfe_u32 s2, ttmp6, 0x4000c
	s_and_b32 s3, ttmp6, 15
	s_add_co_i32 s2, s2, 1
	s_getreg_b32 s15, hwreg(HW_REG_IB_STS2, 6, 4)
	s_mul_i32 s2, ttmp9, s2
	s_mov_b32 s17, 0
	s_add_co_i32 s3, s3, s2
	s_cmp_eq_u32 s15, 0
	s_cselect_b32 s2, ttmp9, s3
	s_delay_alu instid0(SALU_CYCLE_1) | instskip(SKIP_3) | instid1(SALU_CYCLE_1)
	s_ashr_i32 s3, s2, 31
	s_wait_kmcnt 0x0
	s_ashr_i32 s19, s7, 31
	s_mov_b32 s18, s7
	s_mul_u64 s[8:9], s[18:19], s[2:3]
	s_delay_alu instid0(SALU_CYCLE_1) | instskip(NEXT) | instid1(SALU_CYCLE_1)
	s_and_b64 s[10:11], s[8:9], 0xffffffff00000000
	s_cmp_lg_u64 s[10:11], 0
	s_cbranch_scc0 .LBB42_21
; %bb.1:
	s_add_nc_u64 s[10:11], s[16:17], 0
	s_mov_b32 s23, s17
	s_xor_b64 s[10:11], s[10:11], 0
	s_mov_b32 s27, s17
	s_cvt_f32_u32 s3, s10
	s_cvt_f32_u32 s7, s11
	s_sub_nc_u64 s[20:21], 0, s[10:11]
	s_delay_alu instid0(SALU_CYCLE_2) | instskip(NEXT) | instid1(SALU_CYCLE_3)
	s_fmamk_f32 s3, s7, 0x4f800000, s3
	v_s_rcp_f32 s3, s3
	s_delay_alu instid0(TRANS32_DEP_1) | instskip(NEXT) | instid1(SALU_CYCLE_3)
	s_mul_f32 s3, s3, 0x5f7ffffc
	s_mul_f32 s7, s3, 0x2f800000
	s_delay_alu instid0(SALU_CYCLE_3) | instskip(NEXT) | instid1(SALU_CYCLE_3)
	s_trunc_f32 s7, s7
	s_fmamk_f32 s3, s7, 0xcf800000, s3
	s_cvt_u32_f32 s13, s7
	s_delay_alu instid0(SALU_CYCLE_2) | instskip(NEXT) | instid1(SALU_CYCLE_3)
	s_cvt_u32_f32 s12, s3
	s_mul_u64 s[24:25], s[20:21], s[12:13]
	s_delay_alu instid0(SALU_CYCLE_1)
	s_mul_hi_u32 s29, s12, s25
	s_mul_i32 s28, s12, s25
	s_mul_hi_u32 s22, s12, s24
	s_mul_i32 s7, s13, s24
	s_add_nc_u64 s[22:23], s[22:23], s[28:29]
	s_mul_hi_u32 s3, s13, s24
	s_mul_hi_u32 s14, s13, s25
	s_add_co_u32 s7, s22, s7
	s_add_co_ci_u32 s26, s23, s3
	s_mul_i32 s24, s13, s25
	s_add_co_ci_u32 s25, s14, 0
	s_delay_alu instid0(SALU_CYCLE_1) | instskip(SKIP_3) | instid1(SALU_CYCLE_1)
	s_add_nc_u64 s[22:23], s[26:27], s[24:25]
	s_mov_b32 s25, s17
	s_add_co_u32 s12, s12, s22
	s_cselect_b32 s3, -1, 0
	s_cmp_lg_u32 s3, 0
	s_add_co_ci_u32 s13, s13, s23
	s_mov_b32 s23, s17
	s_mul_u64 s[20:21], s[20:21], s[12:13]
	s_delay_alu instid0(SALU_CYCLE_1)
	s_mul_hi_u32 s27, s12, s21
	s_mul_i32 s26, s12, s21
	s_mul_hi_u32 s22, s12, s20
	s_mul_i32 s7, s13, s20
	s_add_nc_u64 s[22:23], s[22:23], s[26:27]
	s_mul_hi_u32 s3, s13, s20
	s_mul_hi_u32 s14, s13, s21
	s_add_co_u32 s7, s22, s7
	s_add_co_ci_u32 s24, s23, s3
	s_mul_i32 s20, s13, s21
	s_add_co_ci_u32 s21, s14, 0
	s_mov_b32 s23, s17
	s_add_nc_u64 s[20:21], s[24:25], s[20:21]
	s_delay_alu instid0(SALU_CYCLE_1) | instskip(SKIP_1) | instid1(SALU_CYCLE_1)
	s_add_co_u32 s3, s12, s20
	s_cselect_b32 s7, -1, 0
	s_cmp_lg_u32 s7, 0
	s_add_co_ci_u32 s7, s13, s21
	s_ashr_i32 s12, s9, 31
	s_delay_alu instid0(SALU_CYCLE_1) | instskip(NEXT) | instid1(SALU_CYCLE_1)
	s_mov_b32 s13, s12
	s_add_nc_u64 s[20:21], s[8:9], s[12:13]
	s_delay_alu instid0(SALU_CYCLE_1) | instskip(NEXT) | instid1(SALU_CYCLE_1)
	s_xor_b64 s[20:21], s[20:21], s[12:13]
	s_mul_hi_u32 s27, s20, s7
	s_mul_i32 s26, s20, s7
	s_mul_hi_u32 s22, s20, s3
	s_mul_hi_u32 s14, s21, s3
	s_mul_i32 s3, s21, s3
	s_add_nc_u64 s[22:23], s[22:23], s[26:27]
	s_mul_hi_u32 s9, s21, s7
	s_add_co_u32 s3, s22, s3
	s_add_co_ci_u32 s24, s23, s14
	s_mul_i32 s26, s21, s7
	s_add_co_ci_u32 s27, s9, 0
	s_delay_alu instid0(SALU_CYCLE_1) | instskip(NEXT) | instid1(SALU_CYCLE_1)
	s_add_nc_u64 s[22:23], s[24:25], s[26:27]
	s_and_b64 s[24:25], s[22:23], 0xffffffff00000000
	s_delay_alu instid0(SALU_CYCLE_1) | instskip(NEXT) | instid1(SALU_CYCLE_1)
	s_or_b32 s24, s24, s22
	s_mul_u64 s[22:23], s[10:11], s[24:25]
	s_add_nc_u64 s[26:27], s[24:25], 1
	s_sub_co_u32 s3, s20, s22
	s_cselect_b32 s7, -1, 0
	s_sub_co_i32 s9, s21, s23
	s_cmp_lg_u32 s7, 0
	s_add_nc_u64 s[28:29], s[24:25], 2
	s_sub_co_ci_u32 s9, s9, s11
	s_sub_co_u32 s14, s3, s10
	s_cselect_b32 s20, -1, 0
	s_delay_alu instid0(SALU_CYCLE_1) | instskip(SKIP_1) | instid1(SALU_CYCLE_1)
	s_cmp_lg_u32 s20, 0
	s_sub_co_ci_u32 s9, s9, 0
	s_cmp_ge_u32 s9, s11
	s_cselect_b32 s20, -1, 0
	s_cmp_ge_u32 s14, s10
	s_cselect_b32 s14, -1, 0
	s_cmp_eq_u32 s9, s11
	s_cselect_b32 s9, s14, s20
	s_delay_alu instid0(SALU_CYCLE_1) | instskip(SKIP_4) | instid1(SALU_CYCLE_1)
	s_cmp_lg_u32 s9, 0
	s_cselect_b32 s9, s28, s26
	s_cselect_b32 s14, s29, s27
	s_cmp_lg_u32 s7, 0
	s_sub_co_ci_u32 s7, s21, s23
	s_cmp_ge_u32 s7, s11
	s_cselect_b32 s20, -1, 0
	s_cmp_ge_u32 s3, s10
	s_cselect_b32 s3, -1, 0
	s_cmp_eq_u32 s7, s11
	s_cselect_b32 s3, s3, s20
	s_delay_alu instid0(SALU_CYCLE_1) | instskip(SKIP_4) | instid1(SALU_CYCLE_1)
	s_cmp_lg_u32 s3, 0
	s_mov_b32 s3, s17
	s_cselect_b32 s11, s14, s25
	s_cselect_b32 s10, s9, s24
	s_xor_b64 s[12:13], s[12:13], 0
	s_xor_b64 s[10:11], s[10:11], s[12:13]
	s_delay_alu instid0(SALU_CYCLE_1)
	s_sub_nc_u64 s[20:21], s[10:11], s[12:13]
	s_and_not1_b32 vcc_lo, exec_lo, s3
	s_cbranch_vccnz .LBB42_3
.LBB42_2:
	v_cvt_f32_u32_e32 v1, s16
	s_sub_co_i32 s7, 0, s16
	s_mov_b32 s21, 0
	s_delay_alu instid0(VALU_DEP_1) | instskip(SKIP_1) | instid1(TRANS32_DEP_1)
	v_rcp_iflag_f32_e32 v1, v1
	v_nop
	v_mul_f32_e32 v1, 0x4f7ffffe, v1
	s_delay_alu instid0(VALU_DEP_1) | instskip(NEXT) | instid1(VALU_DEP_1)
	v_cvt_u32_f32_e32 v1, v1
	v_readfirstlane_b32 s3, v1
	s_mul_i32 s7, s7, s3
	s_delay_alu instid0(SALU_CYCLE_1) | instskip(NEXT) | instid1(SALU_CYCLE_1)
	s_mul_hi_u32 s7, s3, s7
	s_add_co_i32 s3, s3, s7
	s_delay_alu instid0(SALU_CYCLE_1) | instskip(NEXT) | instid1(SALU_CYCLE_1)
	s_mul_hi_u32 s3, s8, s3
	s_mul_i32 s7, s3, s16
	s_delay_alu instid0(SALU_CYCLE_1)
	s_sub_co_i32 s7, s8, s7
	s_add_co_i32 s8, s3, 1
	s_sub_co_i32 s9, s7, s16
	s_cmp_ge_u32 s7, s16
	s_cselect_b32 s3, s8, s3
	s_cselect_b32 s7, s9, s7
	s_add_co_i32 s8, s3, 1
	s_cmp_ge_u32 s7, s16
	s_cselect_b32 s20, s8, s3
.LBB42_3:
	s_add_co_i32 s8, s2, 1
	s_delay_alu instid0(SALU_CYCLE_1) | instskip(NEXT) | instid1(SALU_CYCLE_1)
	s_ashr_i32 s9, s8, 31
	s_mul_u64 s[8:9], s[18:19], s[8:9]
	s_delay_alu instid0(SALU_CYCLE_1) | instskip(NEXT) | instid1(SALU_CYCLE_1)
	s_and_b64 s[10:11], s[8:9], 0xffffffff00000000
	s_cmp_lg_u64 s[10:11], 0
	s_cbranch_scc0 .LBB42_22
; %bb.4:
	s_add_nc_u64 s[10:11], s[16:17], 0
	s_delay_alu instid0(SALU_CYCLE_1) | instskip(SKIP_4) | instid1(SALU_CYCLE_2)
	s_xor_b64 s[12:13], s[10:11], 0
	s_mov_b32 s11, 0
	s_cvt_f32_u32 s3, s12
	s_cvt_f32_u32 s7, s13
	s_sub_nc_u64 s[24:25], 0, s[12:13]
	s_fmamk_f32 s3, s7, 0x4f800000, s3
	s_delay_alu instid0(SALU_CYCLE_3) | instskip(NEXT) | instid1(TRANS32_DEP_1)
	v_s_rcp_f32 s3, s3
	s_mul_f32 s3, s3, 0x5f7ffffc
	s_delay_alu instid0(SALU_CYCLE_3) | instskip(NEXT) | instid1(SALU_CYCLE_3)
	s_mul_f32 s7, s3, 0x2f800000
	s_trunc_f32 s7, s7
	s_delay_alu instid0(SALU_CYCLE_3) | instskip(SKIP_1) | instid1(SALU_CYCLE_2)
	s_fmamk_f32 s3, s7, 0xcf800000, s3
	s_cvt_u32_f32 s23, s7
	s_cvt_u32_f32 s22, s3
	s_delay_alu instid0(SALU_CYCLE_3) | instskip(NEXT) | instid1(SALU_CYCLE_1)
	s_mul_u64 s[26:27], s[24:25], s[22:23]
	s_mul_hi_u32 s29, s22, s27
	s_mul_i32 s28, s22, s27
	s_mul_hi_u32 s10, s22, s26
	s_mul_i32 s7, s23, s26
	s_add_nc_u64 s[28:29], s[10:11], s[28:29]
	s_mul_hi_u32 s3, s23, s26
	s_mul_hi_u32 s14, s23, s27
	s_add_co_u32 s7, s28, s7
	s_add_co_ci_u32 s10, s29, s3
	s_mul_i32 s26, s23, s27
	s_add_co_ci_u32 s27, s14, 0
	s_delay_alu instid0(SALU_CYCLE_1) | instskip(NEXT) | instid1(SALU_CYCLE_1)
	s_add_nc_u64 s[26:27], s[10:11], s[26:27]
	s_add_co_u32 s22, s22, s26
	s_cselect_b32 s3, -1, 0
	s_delay_alu instid0(SALU_CYCLE_1) | instskip(SKIP_1) | instid1(SALU_CYCLE_1)
	s_cmp_lg_u32 s3, 0
	s_add_co_ci_u32 s23, s23, s27
	s_mul_u64 s[24:25], s[24:25], s[22:23]
	s_delay_alu instid0(SALU_CYCLE_1)
	s_mul_hi_u32 s27, s22, s25
	s_mul_i32 s26, s22, s25
	s_mul_hi_u32 s10, s22, s24
	s_mul_i32 s7, s23, s24
	s_add_nc_u64 s[26:27], s[10:11], s[26:27]
	s_mul_hi_u32 s3, s23, s24
	s_mul_hi_u32 s14, s23, s25
	s_add_co_u32 s7, s26, s7
	s_add_co_ci_u32 s10, s27, s3
	s_mul_i32 s24, s23, s25
	s_add_co_ci_u32 s25, s14, 0
	s_delay_alu instid0(SALU_CYCLE_1) | instskip(NEXT) | instid1(SALU_CYCLE_1)
	s_add_nc_u64 s[24:25], s[10:11], s[24:25]
	s_add_co_u32 s3, s22, s24
	s_cselect_b32 s7, -1, 0
	s_delay_alu instid0(SALU_CYCLE_1) | instskip(SKIP_2) | instid1(SALU_CYCLE_1)
	s_cmp_lg_u32 s7, 0
	s_add_co_ci_u32 s7, s23, s25
	s_ashr_i32 s22, s9, 31
	s_mov_b32 s23, s22
	s_delay_alu instid0(SALU_CYCLE_1) | instskip(NEXT) | instid1(SALU_CYCLE_1)
	s_add_nc_u64 s[24:25], s[8:9], s[22:23]
	s_xor_b64 s[24:25], s[24:25], s[22:23]
	s_delay_alu instid0(SALU_CYCLE_1)
	s_mul_hi_u32 s27, s24, s7
	s_mul_i32 s26, s24, s7
	s_mul_hi_u32 s10, s24, s3
	s_mul_hi_u32 s14, s25, s3
	s_mul_i32 s3, s25, s3
	s_add_nc_u64 s[26:27], s[10:11], s[26:27]
	s_mul_hi_u32 s9, s25, s7
	s_add_co_u32 s3, s26, s3
	s_add_co_ci_u32 s10, s27, s14
	s_mul_i32 s28, s25, s7
	s_add_co_ci_u32 s29, s9, 0
	s_delay_alu instid0(SALU_CYCLE_1) | instskip(NEXT) | instid1(SALU_CYCLE_1)
	s_add_nc_u64 s[26:27], s[10:11], s[28:29]
	s_and_b64 s[28:29], s[26:27], 0xffffffff00000000
	s_delay_alu instid0(SALU_CYCLE_1) | instskip(NEXT) | instid1(SALU_CYCLE_1)
	s_or_b32 s28, s28, s26
	s_mul_u64 s[26:27], s[12:13], s[28:29]
	s_add_nc_u64 s[30:31], s[28:29], 1
	s_sub_co_u32 s3, s24, s26
	s_cselect_b32 s7, -1, 0
	s_sub_co_i32 s9, s25, s27
	s_cmp_lg_u32 s7, 0
	s_add_nc_u64 s[34:35], s[28:29], 2
	s_sub_co_ci_u32 s9, s9, s13
	s_sub_co_u32 s10, s3, s12
	s_cselect_b32 s14, -1, 0
	s_delay_alu instid0(SALU_CYCLE_1) | instskip(SKIP_1) | instid1(SALU_CYCLE_1)
	s_cmp_lg_u32 s14, 0
	s_sub_co_ci_u32 s9, s9, 0
	s_cmp_ge_u32 s9, s13
	s_cselect_b32 s14, -1, 0
	s_cmp_ge_u32 s10, s12
	s_cselect_b32 s10, -1, 0
	s_cmp_eq_u32 s9, s13
	s_cselect_b32 s9, s10, s14
	s_delay_alu instid0(SALU_CYCLE_1) | instskip(SKIP_4) | instid1(SALU_CYCLE_1)
	s_cmp_lg_u32 s9, 0
	s_cselect_b32 s9, s34, s30
	s_cselect_b32 s10, s35, s31
	s_cmp_lg_u32 s7, 0
	s_sub_co_ci_u32 s7, s25, s27
	s_cmp_ge_u32 s7, s13
	s_cselect_b32 s14, -1, 0
	s_cmp_ge_u32 s3, s12
	s_cselect_b32 s3, -1, 0
	s_cmp_eq_u32 s7, s13
	s_cselect_b32 s3, s3, s14
	s_delay_alu instid0(SALU_CYCLE_1) | instskip(SKIP_3) | instid1(SALU_CYCLE_1)
	s_cmp_lg_u32 s3, 0
	s_cselect_b32 s13, s10, s29
	s_cselect_b32 s12, s9, s28
	s_xor_b64 s[22:23], s[22:23], 0
	s_xor_b64 s[12:13], s[12:13], s[22:23]
	s_delay_alu instid0(SALU_CYCLE_1)
	s_sub_nc_u64 s[24:25], s[12:13], s[22:23]
	s_load_b96 s[12:14], s[0:1], 0x44
	s_cbranch_execnz .LBB42_6
.LBB42_5:
	v_cvt_f32_u32_e32 v1, s16
	s_sub_co_i32 s7, 0, s16
	s_delay_alu instid0(VALU_DEP_1) | instskip(SKIP_1) | instid1(TRANS32_DEP_1)
	v_rcp_iflag_f32_e32 v1, v1
	v_nop
	v_mul_f32_e32 v1, 0x4f7ffffe, v1
	s_delay_alu instid0(VALU_DEP_1) | instskip(NEXT) | instid1(VALU_DEP_1)
	v_cvt_u32_f32_e32 v1, v1
	v_readfirstlane_b32 s3, v1
	s_mul_i32 s7, s7, s3
	s_delay_alu instid0(SALU_CYCLE_1) | instskip(NEXT) | instid1(SALU_CYCLE_1)
	s_mul_hi_u32 s7, s3, s7
	s_add_co_i32 s3, s3, s7
	s_delay_alu instid0(SALU_CYCLE_1) | instskip(NEXT) | instid1(SALU_CYCLE_1)
	s_mul_hi_u32 s3, s8, s3
	s_mul_i32 s7, s3, s16
	s_delay_alu instid0(SALU_CYCLE_1)
	s_sub_co_i32 s7, s8, s7
	s_add_co_i32 s8, s3, 1
	s_sub_co_i32 s9, s7, s16
	s_cmp_ge_u32 s7, s16
	s_cselect_b32 s3, s8, s3
	s_cselect_b32 s7, s9, s7
	s_add_co_i32 s8, s3, 1
	s_cmp_ge_u32 s7, s16
	s_cselect_b32 s24, s8, s3
.LBB42_6:
	s_delay_alu instid0(SALU_CYCLE_1)
	s_cmp_eq_u32 s20, s24
	s_mov_b64 s[8:9], 0xffffffff
	s_cselect_b32 s3, -1, 0
	s_and_b64 s[8:9], s[20:21], s[8:9]
	s_mov_b32 s23, 0
	s_wait_kmcnt 0x0
	s_mov_b32 s22, s12
	s_mov_b32 s25, s23
	s_mul_u64 s[10:11], s[8:9], s[22:23]
	s_delay_alu instid0(SALU_CYCLE_1) | instskip(SKIP_2) | instid1(SALU_CYCLE_1)
	s_add_co_i32 s7, s11, s20
	s_mul_u64 s[10:11], s[24:25], s[22:23]
	s_lshr_b32 s12, s7, s13
	s_mul_i32 s7, s12, s14
	s_delay_alu instid0(SALU_CYCLE_1) | instskip(SKIP_2) | instid1(SALU_CYCLE_1)
	s_cmp_eq_u32 s7, s20
	s_cselect_b32 s7, -1, 0
	s_add_co_i32 s10, s11, s24
	s_lshr_b32 s10, s10, s13
	s_delay_alu instid0(SALU_CYCLE_1)
	s_cmp_eq_u32 s12, s10
	s_mul_i32 s10, s10, s14
	s_cselect_b32 s11, -1, 0
	s_cmp_lg_u32 s10, s24
	s_cselect_b32 s10, -1, 0
	s_or_b32 s3, s3, s7
	s_and_b32 s10, s11, s10
	s_delay_alu instid0(SALU_CYCLE_1) | instskip(NEXT) | instid1(SALU_CYCLE_1)
	s_or_b32 s3, s3, s10
	s_and_b32 vcc_lo, exec_lo, s3
	s_cbranch_vccnz .LBB42_24
; %bb.7:
	s_load_b256 s[24:31], s[0:1], 0x20
	s_bfe_u32 s7, ttmp6, 0x40014
	s_bfe_u32 s33, ttmp6, 0x40010
	s_lshr_b32 s3, ttmp7, 16
	s_add_co_i32 s7, s7, 1
	s_and_b32 s21, ttmp7, 0xffff
	s_add_co_i32 s33, s33, 1
	s_bfe_u32 s10, ttmp6, 0x40008
	s_mul_i32 s7, s3, s7
	s_bfe_u32 s34, ttmp6, 0x40004
	s_mul_i32 s33, s21, s33
	s_mov_b32 s11, s23
	s_add_co_i32 s35, s10, s7
	s_add_co_i32 s34, s34, s33
	s_cmp_eq_u32 s15, 0
	s_cselect_b32 s7, s21, s34
	s_cselect_b32 s3, s3, s35
	s_wait_kmcnt 0x0
	s_mov_b32 s10, s24
	s_delay_alu instid0(SALU_CYCLE_1) | instskip(NEXT) | instid1(SALU_CYCLE_1)
	s_mul_u64 s[8:9], s[8:9], s[10:11]
	s_add_co_i32 s8, s9, s20
	s_delay_alu instid0(SALU_CYCLE_1) | instskip(SKIP_2) | instid1(SALU_CYCLE_1)
	s_lshr_b32 s15, s8, s25
	s_load_b32 s8, s[0:1], 0x40
	s_mul_i32 s9, s15, s26
	s_sub_co_i32 s9, s20, s9
	s_delay_alu instid0(SALU_CYCLE_1) | instskip(NEXT) | instid1(SALU_CYCLE_1)
	s_mul_hi_u32 s10, s9, s27
	s_add_co_i32 s10, s9, s10
	s_delay_alu instid0(SALU_CYCLE_1) | instskip(NEXT) | instid1(SALU_CYCLE_1)
	s_lshr_b32 s21, s10, s28
	s_mul_i32 s10, s21, s29
	s_delay_alu instid0(SALU_CYCLE_1) | instskip(NEXT) | instid1(SALU_CYCLE_1)
	s_sub_co_i32 s10, s9, s10
	s_mul_hi_u32 s9, s10, s30
	s_delay_alu instid0(SALU_CYCLE_1) | instskip(NEXT) | instid1(SALU_CYCLE_1)
	s_add_co_i32 s9, s10, s9
	s_lshr_b32 s25, s9, s31
	s_mov_b32 s9, s23
	s_wait_kmcnt 0x0
	s_mul_i32 s8, s25, s8
	s_lshl_b32 s25, s25, 1
	s_sub_co_i32 s8, s10, s8
	s_delay_alu instid0(SALU_CYCLE_1) | instskip(NEXT) | instid1(SALU_CYCLE_1)
	s_mul_u64 s[10:11], s[8:9], s[22:23]
	s_add_co_i32 s8, s8, s11
	s_delay_alu instid0(SALU_CYCLE_1) | instskip(NEXT) | instid1(SALU_CYCLE_1)
	s_lshr_b32 s24, s8, s13
	s_lshl_b32 s8, s24, 3
	s_delay_alu instid0(SALU_CYCLE_1) | instskip(NEXT) | instid1(SALU_CYCLE_1)
	s_add_co_i32 s8, s8, s7
	s_cmp_lt_i32 s8, s4
	s_cselect_b32 s8, -1, 0
	s_add_co_i32 s25, s25, s3
	s_delay_alu instid0(SALU_CYCLE_1) | instskip(SKIP_1) | instid1(SALU_CYCLE_1)
	s_cmp_lt_i32 s25, s6
	s_cselect_b32 s9, -1, 0
	s_and_b32 s8, s8, s9
	s_delay_alu instid0(SALU_CYCLE_1)
	s_and_not1_b32 vcc_lo, exec_lo, s8
	s_cbranch_vccnz .LBB42_24
; %bb.8:
	s_load_b128 s[8:11], s[0:1], 0x0
	s_wait_xcnt 0x0
	s_mul_i32 s0, s15, s4
	s_mul_i32 s21, s21, s6
	s_add_co_i32 s0, s0, s7
	s_add_co_i32 s1, s25, s21
	s_mul_i32 s0, s0, s5
	s_mul_i32 s4, s5, s24
	s_add_co_i32 s0, s1, s0
	s_mulk_i32 s4, 0x300
	s_mulk_i32 s0, 0x60
	s_lshl_b32 s15, s7, 1
	v_add3_u32 v2, s4, s0, v0
	s_add_nc_u64 s[0:1], s[16:17], 0
	s_add_co_i32 s15, s15, s3
	s_xor_b64 s[6:7], s[0:1], 0
	s_lshl_b32 s0, s2, 4
	s_cvt_f32_u32 s3, s6
	s_cvt_f32_u32 s4, s7
	s_add_co_i32 s0, s15, s0
	v_cvt_f32_u32_e32 v4, s16
	s_wait_kmcnt 0x0
	global_load_b32 v1, v2, s[8:9] scale_offset
	s_fmamk_f32 s3, s4, 0x4f800000, s3
	s_ashr_i32 s1, s0, 31
	s_lshl_b32 s24, s16, 6
	s_lshl_b64 s[0:1], s[0:1], 3
	v_s_rcp_f32 s3, s3
	s_add_nc_u64 s[0:1], s[10:11], s[0:1]
	v_rcp_iflag_f32_e32 v4, v4
	s_load_b64 s[28:29], s[0:1], 0x0
	s_mov_b32 s25, 0
	v_mad_u32 v6, 0x60, s15, v0
	v_ashrrev_i32_e32 v3, 31, v2
	s_wait_xcnt 0x0
	s_lshl_b64 s[0:1], s[24:25], 2
	s_mul_f32 s3, s3, 0x5f7ffffc
	v_mul_f32_e32 v4, 0x4f7ffffe, v4
	s_add_nc_u64 s[26:27], s[10:11], s[0:1]
	v_lshl_add_u64 v[2:3], v[2:3], 2, s[8:9]
	s_mul_f32 s4, s3, 0x2f800000
	s_mov_b64 s[8:9], 0xffffffff
	v_cvt_u32_f32_e32 v7, v4
	s_add_co_i32 s36, s2, -1
	s_trunc_f32 s4, s4
	s_sub_nc_u64 s[34:35], 0, s[6:7]
	s_delay_alu instid0(SALU_CYCLE_2)
	s_fmamk_f32 s0, s4, 0xcf800000, s3
	s_cvt_u32_f32 s31, s4
	s_wait_kmcnt 0x0
	v_mov_b32_e32 v0, s29
	s_cvt_u32_f32 s30, s0
.LBB42_9:                               ; =>This Inner Loop Header: Depth=1
	s_ashr_i32 s37, s36, 31
                                        ; implicit-def: $sgpr40_sgpr41
	s_delay_alu instid0(SALU_CYCLE_1) | instskip(NEXT) | instid1(SALU_CYCLE_1)
	s_mul_u64 s[0:1], s[36:37], s[18:19]
	s_and_b64 s[2:3], s[0:1], 0xffffffff00000000
	s_delay_alu instid0(SALU_CYCLE_1)
	s_cmp_lg_u64 s[2:3], 0
	s_mov_b32 s2, -1
	s_cbranch_scc0 .LBB42_11
; %bb.10:                               ;   in Loop: Header=BB42_9 Depth=1
	s_mul_u64 s[2:3], s[34:35], s[30:31]
	s_delay_alu instid0(SALU_CYCLE_1)
	s_mul_hi_u32 s5, s30, s3
	s_mul_i32 s4, s30, s3
	s_mul_hi_u32 s24, s30, s2
	s_mul_hi_u32 s17, s31, s2
	s_add_nc_u64 s[4:5], s[24:25], s[4:5]
	s_mul_i32 s2, s31, s2
	s_mul_hi_u32 s21, s31, s3
	s_add_co_u32 s2, s4, s2
	s_add_co_ci_u32 s24, s5, s17
	s_add_co_ci_u32 s5, s21, 0
	s_mul_i32 s4, s31, s3
	s_delay_alu instid0(SALU_CYCLE_1) | instskip(NEXT) | instid1(SALU_CYCLE_1)
	s_add_nc_u64 s[2:3], s[24:25], s[4:5]
	s_add_co_u32 s2, s30, s2
	s_cselect_b32 s4, -1, 0
	s_delay_alu instid0(SALU_CYCLE_1) | instskip(SKIP_1) | instid1(SALU_CYCLE_1)
	s_cmp_lg_u32 s4, 0
	s_add_co_ci_u32 s3, s31, s3
	s_mul_u64 s[4:5], s[34:35], s[2:3]
	s_delay_alu instid0(SALU_CYCLE_1)
	s_mul_hi_u32 s39, s2, s5
	s_mul_i32 s38, s2, s5
	s_mul_hi_u32 s24, s2, s4
	s_mul_hi_u32 s17, s3, s4
	s_mul_i32 s4, s3, s4
	s_add_nc_u64 s[38:39], s[24:25], s[38:39]
	s_mul_hi_u32 s21, s3, s5
	s_add_co_u32 s4, s38, s4
	s_add_co_ci_u32 s24, s39, s17
	s_mul_i32 s4, s3, s5
	s_add_co_ci_u32 s5, s21, 0
	s_delay_alu instid0(SALU_CYCLE_1) | instskip(NEXT) | instid1(SALU_CYCLE_1)
	s_add_nc_u64 s[4:5], s[24:25], s[4:5]
	s_add_co_u32 s17, s2, s4
	s_cselect_b32 s2, -1, 0
	s_delay_alu instid0(SALU_CYCLE_1) | instskip(SKIP_2) | instid1(SALU_CYCLE_1)
	s_cmp_lg_u32 s2, 0
	s_add_co_ci_u32 s21, s3, s5
	s_ashr_i32 s2, s1, 31
	s_mov_b32 s3, s2
	s_delay_alu instid0(SALU_CYCLE_1) | instskip(NEXT) | instid1(SALU_CYCLE_1)
	s_add_nc_u64 s[4:5], s[0:1], s[2:3]
	s_xor_b64 s[4:5], s[4:5], s[2:3]
	s_delay_alu instid0(SALU_CYCLE_1)
	s_mul_hi_u32 s39, s4, s21
	s_mul_i32 s38, s4, s21
	s_mul_hi_u32 s24, s4, s17
	s_mul_hi_u32 s29, s5, s17
	s_mul_i32 s17, s5, s17
	s_add_nc_u64 s[38:39], s[24:25], s[38:39]
	s_mul_hi_u32 s1, s5, s21
	s_add_co_u32 s17, s38, s17
	s_add_co_ci_u32 s24, s39, s29
	s_mul_i32 s40, s5, s21
	s_add_co_ci_u32 s41, s1, 0
	s_delay_alu instid0(SALU_CYCLE_1) | instskip(NEXT) | instid1(SALU_CYCLE_1)
	s_add_nc_u64 s[38:39], s[24:25], s[40:41]
	s_and_b64 s[40:41], s[38:39], 0xffffffff00000000
	s_delay_alu instid0(SALU_CYCLE_1) | instskip(NEXT) | instid1(SALU_CYCLE_1)
	s_or_b32 s40, s40, s38
	s_mul_u64 s[38:39], s[6:7], s[40:41]
	s_add_nc_u64 s[42:43], s[40:41], 1
	s_sub_co_u32 s1, s4, s38
	s_cselect_b32 s4, -1, 0
	s_sub_co_i32 s17, s5, s39
	s_cmp_lg_u32 s4, 0
	s_add_nc_u64 s[44:45], s[40:41], 2
	s_sub_co_ci_u32 s17, s17, s7
	s_sub_co_u32 s21, s1, s6
	s_cselect_b32 s24, -1, 0
	s_delay_alu instid0(SALU_CYCLE_1) | instskip(SKIP_1) | instid1(SALU_CYCLE_1)
	s_cmp_lg_u32 s24, 0
	s_sub_co_ci_u32 s17, s17, 0
	s_cmp_ge_u32 s17, s7
	s_cselect_b32 s24, -1, 0
	s_cmp_ge_u32 s21, s6
	s_cselect_b32 s21, -1, 0
	s_cmp_eq_u32 s17, s7
	s_cselect_b32 s17, s21, s24
	s_delay_alu instid0(SALU_CYCLE_1) | instskip(SKIP_4) | instid1(SALU_CYCLE_1)
	s_cmp_lg_u32 s17, 0
	s_cselect_b32 s17, s44, s42
	s_cselect_b32 s21, s45, s43
	s_cmp_lg_u32 s4, 0
	s_sub_co_ci_u32 s4, s5, s39
	s_cmp_ge_u32 s4, s7
	s_cselect_b32 s5, -1, 0
	s_cmp_ge_u32 s1, s6
	s_cselect_b32 s1, -1, 0
	s_cmp_eq_u32 s4, s7
	s_cselect_b32 s1, s1, s5
	s_delay_alu instid0(SALU_CYCLE_1) | instskip(SKIP_3) | instid1(SALU_CYCLE_1)
	s_cmp_lg_u32 s1, 0
	s_cselect_b32 s5, s21, s41
	s_cselect_b32 s4, s17, s40
	s_xor_b64 s[2:3], s[2:3], 0
	s_xor_b64 s[4:5], s[4:5], s[2:3]
	s_delay_alu instid0(SALU_CYCLE_1)
	s_sub_nc_u64 s[40:41], s[4:5], s[2:3]
	s_mov_b32 s2, 0
.LBB42_11:                              ;   in Loop: Header=BB42_9 Depth=1
	s_delay_alu instid0(SALU_CYCLE_1)
	s_and_not1_b32 vcc_lo, exec_lo, s2
	s_cbranch_vccnz .LBB42_13
; %bb.12:                               ;   in Loop: Header=BB42_9 Depth=1
	v_readfirstlane_b32 s1, v7
	s_sub_co_i32 s2, 0, s16
	s_delay_alu instid0(SALU_CYCLE_1) | instskip(NEXT) | instid1(SALU_CYCLE_1)
	s_mul_i32 s2, s2, s1
	s_mul_hi_u32 s2, s1, s2
	s_delay_alu instid0(SALU_CYCLE_1) | instskip(NEXT) | instid1(SALU_CYCLE_1)
	s_add_co_i32 s1, s1, s2
	s_mul_hi_u32 s1, s0, s1
	s_delay_alu instid0(SALU_CYCLE_1) | instskip(NEXT) | instid1(SALU_CYCLE_1)
	s_mul_i32 s2, s1, s16
	s_sub_co_i32 s0, s0, s2
	s_add_co_i32 s2, s1, 1
	s_sub_co_i32 s3, s0, s16
	s_cmp_ge_u32 s0, s16
	s_cselect_b32 s1, s2, s1
	s_cselect_b32 s0, s3, s0
	s_add_co_i32 s2, s1, 1
	s_cmp_ge_u32 s0, s16
	s_cselect_b32 s24, s2, s1
	s_delay_alu instid0(SALU_CYCLE_1)
	s_mov_b64 s[40:41], s[24:25]
.LBB42_13:                              ;   in Loop: Header=BB42_9 Depth=1
	s_delay_alu instid0(SALU_CYCLE_1)
	s_cmp_lg_u32 s20, s40
	s_mov_b32 s0, -1
                                        ; implicit-def: $vgpr4_vgpr5
                                        ; implicit-def: $sgpr24
                                        ; implicit-def: $sgpr17
                                        ; implicit-def: $sgpr21
                                        ; implicit-def: $sgpr29
	s_cbranch_scc0 .LBB42_18
; %bb.14:                               ;   in Loop: Header=BB42_9 Depth=1
	s_add_co_i32 s0, s36, s16
	v_max_num_f32_e64 v4, s28, s28
	s_lshl_b32 s0, s0, 4
	s_mov_b32 s29, s20
	s_add_co_i32 s0, s0, s15
	s_load_b64 s[38:39], s[10:11], s0 offset:0x0 scale_offset
	s_wait_xcnt 0x0
	v_readfirstlane_b32 s0, v4
	s_wait_kmcnt 0x0
	v_max_num_f32_e64 v5, s38, s38
	s_delay_alu instid0(VALU_DEP_1) | instskip(SKIP_1) | instid1(SALU_CYCLE_3)
	v_readfirstlane_b32 s1, v5
	s_max_num_f32 s17, s0, s1
	s_sub_f32 s33, s28, s17
	s_sub_f32 s37, s38, s17
	s_delay_alu instid0(SALU_CYCLE_2)
	s_cmp_nlt_f32 s33, 0xc2ce8ed0
	s_cselect_b32 s1, -1, 0
	s_cmp_ngt_f32 s33, 0x42b17218
	s_cselect_b32 s2, -1, 0
	s_cmp_ge_f32 s33, 0xc1a00000
	s_cselect_b32 s0, -1, 0
	s_cmp_nlt_f32 s37, 0xc2ce8ed0
	s_cselect_b32 s3, -1, 0
	s_cmp_ngt_f32 s37, 0x42b17218
	s_cselect_b32 s4, -1, 0
	s_cmp_ge_f32 s37, 0xc1a00000
	s_cselect_b32 s5, -1, 0
	s_and_b64 s[42:43], s[40:41], s[8:9]
	s_delay_alu instid0(SALU_CYCLE_1) | instskip(NEXT) | instid1(SALU_CYCLE_1)
	s_mul_u64 s[42:43], s[42:43], s[22:23]
	s_add_co_i32 s21, s43, s40
	s_delay_alu instid0(SALU_CYCLE_1) | instskip(NEXT) | instid1(SALU_CYCLE_1)
	s_lshr_b32 s21, s21, s13
	s_mul_i32 s24, s21, s14
	s_delay_alu instid0(SALU_CYCLE_1) | instskip(SKIP_3) | instid1(SALU_CYCLE_1)
	s_cmp_eq_u32 s24, s40
	s_cselect_b32 s24, -1, 0
	s_cmp_lt_u32 s21, s12
	s_cselect_b32 s21, -1, 0
	s_or_b32 s21, s21, s24
	s_mov_b32 s24, -1
	s_and_b32 vcc_lo, exec_lo, s21
	s_mov_b32 s21, s36
	s_cbranch_vccnz .LBB42_16
; %bb.15:                               ;   in Loop: Header=BB42_9 Depth=1
	s_add_co_i32 s21, s36, -1
	s_mov_b32 s24, 0
	s_mov_b32 s29, s40
.LBB42_16:                              ;   in Loop: Header=BB42_9 Depth=1
	v_mad_u32 v4, 0x600, s36, v6
	s_mul_f32 s40, s33, 0x3fb8aa3b
	s_mul_f32 s38, s37, 0x3fb8aa3b
	s_delay_alu instid0(SALU_CYCLE_2)
	s_xor_b32 s42, s40, 0x80000000
	s_rndne_f32 s44, s40
	s_fmamk_f32 s42, s33, 0x3fb8aa3b, s42
	s_xor_b32 s41, s38, 0x80000000
	s_rndne_f32 s43, s38
	s_sub_f32 s40, s40, s44
	global_load_b32 v5, v4, s[26:27] scale_offset
	s_fmamk_f32 s33, s33, 0x32a5705f, s42
	s_fmamk_f32 s41, s37, 0x3fb8aa3b, s41
	s_sub_f32 s38, s38, s43
	s_delay_alu instid0(SALU_CYCLE_1) | instskip(NEXT) | instid1(SALU_CYCLE_1)
	s_add_f32 s33, s40, s33
	s_fmamk_f32 s37, s37, 0x32a5705f, s41
	s_cvt_i32_f32 s40, s44
	s_delay_alu instid0(SALU_CYCLE_1) | instskip(NEXT) | instid1(SALU_CYCLE_1)
	v_s_exp_f32 s33, s33
	s_add_f32 s37, s38, s37
	s_cvt_i32_f32 s38, s43
	s_delay_alu instid0(SALU_CYCLE_2) | instskip(NEXT) | instid1(TRANS32_DEP_2)
	v_s_exp_f32 s37, s37
	v_ldexp_f32 v8, s33, s40
	s_wait_xcnt 0x0
	s_delay_alu instid0(TRANS32_DEP_1) | instskip(NEXT) | instid1(VALU_DEP_2)
	v_ldexp_f32 v4, s37, s38
	v_cndmask_b32_e64 v8, 0, v8, s1
	s_delay_alu instid0(VALU_DEP_1) | instskip(NEXT) | instid1(VALU_DEP_1)
	v_cndmask_b32_e64 v9, 0x7f800000, v8, s2
	v_dual_cndmask_b32 v4, 0, v4, s3 :: v_dual_cndmask_b32 v10, 0, v9, s0
	s_delay_alu instid0(VALU_DEP_1) | instskip(NEXT) | instid1(VALU_DEP_1)
	v_cndmask_b32_e64 v4, 0x7f800000, v4, s4
	v_dual_cndmask_b32 v8, 0, v4, s5 :: v_dual_mov_b32 v4, s39
	s_wait_loadcnt 0x0
	s_delay_alu instid0(VALU_DEP_1) | instskip(NEXT) | instid1(VALU_DEP_1)
	v_pk_mul_f32 v[4:5], v[4:5], v[8:9] op_sel_hi:[1,0]
	v_pk_fma_f32 v[4:5], v[0:1], v[10:11], v[4:5] op_sel_hi:[1,0,1]
	s_cbranch_execz .LBB42_19
.LBB42_17:                              ;   in Loop: Header=BB42_9 Depth=1
	s_and_not1_b32 vcc_lo, exec_lo, s24
	s_cbranch_vccnz .LBB42_20
	s_branch .LBB42_23
.LBB42_18:                              ;   in Loop: Header=BB42_9 Depth=1
	s_and_not1_b32 vcc_lo, exec_lo, s0
	s_cbranch_vccnz .LBB42_17
.LBB42_19:                              ;   in Loop: Header=BB42_9 Depth=1
	s_wait_loadcnt 0x0
	v_mov_b64_e32 v[4:5], v[0:1]
	s_add_co_i32 s21, s36, -1
	s_mov_b32 s29, s20
	s_mov_b32 s17, s28
	s_cbranch_execz .LBB42_23
.LBB42_20:                              ;   in Loop: Header=BB42_9 Depth=1
	s_wait_loadcnt 0x0
	s_delay_alu instid0(VALU_DEP_1)
	v_mov_b64_e32 v[0:1], v[4:5]
	s_mov_b32 s20, s29
	s_mov_b32 s36, s21
	;; [unrolled: 1-line block ×3, first 2 shown]
	s_branch .LBB42_9
.LBB42_21:
                                        ; implicit-def: $sgpr20_sgpr21
	s_branch .LBB42_2
.LBB42_22:
                                        ; implicit-def: $sgpr24_sgpr25
	s_load_b96 s[12:14], s[0:1], 0x44
	s_branch .LBB42_5
.LBB42_23:
	s_delay_alu instid0(VALU_DEP_1) | instskip(SKIP_1) | instid1(VALU_DEP_1)
	v_div_scale_f32 v0, null, v4, v4, v5
	s_wait_loadcnt 0x0
	v_rcp_f32_e32 v1, v0
	v_nop
	s_delay_alu instid0(TRANS32_DEP_1) | instskip(NEXT) | instid1(VALU_DEP_1)
	v_fma_f32 v6, -v0, v1, 1.0
	v_fmac_f32_e32 v1, v6, v1
	v_div_scale_f32 v6, vcc_lo, v5, v4, v5
	s_delay_alu instid0(VALU_DEP_1) | instskip(NEXT) | instid1(VALU_DEP_1)
	v_mul_f32_e32 v7, v6, v1
	v_fma_f32 v8, -v0, v7, v6
	s_delay_alu instid0(VALU_DEP_1) | instskip(NEXT) | instid1(VALU_DEP_1)
	v_fmac_f32_e32 v7, v8, v1
	v_fma_f32 v0, -v0, v7, v6
	s_delay_alu instid0(VALU_DEP_1) | instskip(NEXT) | instid1(VALU_DEP_1)
	v_div_fmas_f32 v0, v0, v1, v7
	v_div_fixup_f32 v0, v0, v4, v5
	global_store_b32 v[2:3], v0, off
.LBB42_24:
	s_endpgm
	.section	.rodata,"a",@progbits
	.p2align	6, 0x0
	.amdhsa_kernel _ZL33flash_attn_stream_k_fixup_generalILi96ELi8ELi2EEvPfPK15HIP_vector_typeIfLj2EEiiiiS1_IjLj3EES5_S5_S5_
		.amdhsa_group_segment_fixed_size 0
		.amdhsa_private_segment_fixed_size 0
		.amdhsa_kernarg_size 336
		.amdhsa_user_sgpr_count 2
		.amdhsa_user_sgpr_dispatch_ptr 0
		.amdhsa_user_sgpr_queue_ptr 0
		.amdhsa_user_sgpr_kernarg_segment_ptr 1
		.amdhsa_user_sgpr_dispatch_id 0
		.amdhsa_user_sgpr_kernarg_preload_length 0
		.amdhsa_user_sgpr_kernarg_preload_offset 0
		.amdhsa_user_sgpr_private_segment_size 0
		.amdhsa_wavefront_size32 1
		.amdhsa_uses_dynamic_stack 0
		.amdhsa_enable_private_segment 0
		.amdhsa_system_sgpr_workgroup_id_x 1
		.amdhsa_system_sgpr_workgroup_id_y 1
		.amdhsa_system_sgpr_workgroup_id_z 1
		.amdhsa_system_sgpr_workgroup_info 0
		.amdhsa_system_vgpr_workitem_id 0
		.amdhsa_next_free_vgpr 12
		.amdhsa_next_free_sgpr 46
		.amdhsa_named_barrier_count 0
		.amdhsa_reserve_vcc 1
		.amdhsa_float_round_mode_32 0
		.amdhsa_float_round_mode_16_64 0
		.amdhsa_float_denorm_mode_32 3
		.amdhsa_float_denorm_mode_16_64 3
		.amdhsa_fp16_overflow 0
		.amdhsa_memory_ordered 1
		.amdhsa_forward_progress 1
		.amdhsa_inst_pref_size 27
		.amdhsa_round_robin_scheduling 0
		.amdhsa_exception_fp_ieee_invalid_op 0
		.amdhsa_exception_fp_denorm_src 0
		.amdhsa_exception_fp_ieee_div_zero 0
		.amdhsa_exception_fp_ieee_overflow 0
		.amdhsa_exception_fp_ieee_underflow 0
		.amdhsa_exception_fp_ieee_inexact 0
		.amdhsa_exception_int_div_zero 0
	.end_amdhsa_kernel
	.section	.text._ZL33flash_attn_stream_k_fixup_generalILi96ELi8ELi2EEvPfPK15HIP_vector_typeIfLj2EEiiiiS1_IjLj3EES5_S5_S5_,"axG",@progbits,_ZL33flash_attn_stream_k_fixup_generalILi96ELi8ELi2EEvPfPK15HIP_vector_typeIfLj2EEiiiiS1_IjLj3EES5_S5_S5_,comdat
.Lfunc_end42:
	.size	_ZL33flash_attn_stream_k_fixup_generalILi96ELi8ELi2EEvPfPK15HIP_vector_typeIfLj2EEiiiiS1_IjLj3EES5_S5_S5_, .Lfunc_end42-_ZL33flash_attn_stream_k_fixup_generalILi96ELi8ELi2EEvPfPK15HIP_vector_typeIfLj2EEiiiiS1_IjLj3EES5_S5_S5_
                                        ; -- End function
	.set _ZL33flash_attn_stream_k_fixup_generalILi96ELi8ELi2EEvPfPK15HIP_vector_typeIfLj2EEiiiiS1_IjLj3EES5_S5_S5_.num_vgpr, 12
	.set _ZL33flash_attn_stream_k_fixup_generalILi96ELi8ELi2EEvPfPK15HIP_vector_typeIfLj2EEiiiiS1_IjLj3EES5_S5_S5_.num_agpr, 0
	.set _ZL33flash_attn_stream_k_fixup_generalILi96ELi8ELi2EEvPfPK15HIP_vector_typeIfLj2EEiiiiS1_IjLj3EES5_S5_S5_.numbered_sgpr, 46
	.set _ZL33flash_attn_stream_k_fixup_generalILi96ELi8ELi2EEvPfPK15HIP_vector_typeIfLj2EEiiiiS1_IjLj3EES5_S5_S5_.num_named_barrier, 0
	.set _ZL33flash_attn_stream_k_fixup_generalILi96ELi8ELi2EEvPfPK15HIP_vector_typeIfLj2EEiiiiS1_IjLj3EES5_S5_S5_.private_seg_size, 0
	.set _ZL33flash_attn_stream_k_fixup_generalILi96ELi8ELi2EEvPfPK15HIP_vector_typeIfLj2EEiiiiS1_IjLj3EES5_S5_S5_.uses_vcc, 1
	.set _ZL33flash_attn_stream_k_fixup_generalILi96ELi8ELi2EEvPfPK15HIP_vector_typeIfLj2EEiiiiS1_IjLj3EES5_S5_S5_.uses_flat_scratch, 0
	.set _ZL33flash_attn_stream_k_fixup_generalILi96ELi8ELi2EEvPfPK15HIP_vector_typeIfLj2EEiiiiS1_IjLj3EES5_S5_S5_.has_dyn_sized_stack, 0
	.set _ZL33flash_attn_stream_k_fixup_generalILi96ELi8ELi2EEvPfPK15HIP_vector_typeIfLj2EEiiiiS1_IjLj3EES5_S5_S5_.has_recursion, 0
	.set _ZL33flash_attn_stream_k_fixup_generalILi96ELi8ELi2EEvPfPK15HIP_vector_typeIfLj2EEiiiiS1_IjLj3EES5_S5_S5_.has_indirect_call, 0
	.section	.AMDGPU.csdata,"",@progbits
; Kernel info:
; codeLenInByte = 3352
; TotalNumSgprs: 48
; NumVgprs: 12
; ScratchSize: 0
; MemoryBound: 0
; FloatMode: 240
; IeeeMode: 1
; LDSByteSize: 0 bytes/workgroup (compile time only)
; SGPRBlocks: 0
; VGPRBlocks: 0
; NumSGPRsForWavesPerEU: 48
; NumVGPRsForWavesPerEU: 12
; NamedBarCnt: 0
; Occupancy: 16
; WaveLimiterHint : 0
; COMPUTE_PGM_RSRC2:SCRATCH_EN: 0
; COMPUTE_PGM_RSRC2:USER_SGPR: 2
; COMPUTE_PGM_RSRC2:TRAP_HANDLER: 0
; COMPUTE_PGM_RSRC2:TGID_X_EN: 1
; COMPUTE_PGM_RSRC2:TGID_Y_EN: 1
; COMPUTE_PGM_RSRC2:TGID_Z_EN: 1
; COMPUTE_PGM_RSRC2:TIDIG_COMP_CNT: 0
	.section	.text._ZL15flash_attn_tileILi96ELi96ELi4ELi2ELb0EEvPKcS1_S1_S1_S1_PKiPfP15HIP_vector_typeIfLj2EEffffjfiS5_IjLj3EEiiiiiiiiiiiliiliiiiil,"axG",@progbits,_ZL15flash_attn_tileILi96ELi96ELi4ELi2ELb0EEvPKcS1_S1_S1_S1_PKiPfP15HIP_vector_typeIfLj2EEffffjfiS5_IjLj3EEiiiiiiiiiiiliiliiiiil,comdat
	.globl	_ZL15flash_attn_tileILi96ELi96ELi4ELi2ELb0EEvPKcS1_S1_S1_S1_PKiPfP15HIP_vector_typeIfLj2EEffffjfiS5_IjLj3EEiiiiiiiiiiiliiliiiiil ; -- Begin function _ZL15flash_attn_tileILi96ELi96ELi4ELi2ELb0EEvPKcS1_S1_S1_S1_PKiPfP15HIP_vector_typeIfLj2EEffffjfiS5_IjLj3EEiiiiiiiiiiiliiliiiiil
	.p2align	8
	.type	_ZL15flash_attn_tileILi96ELi96ELi4ELi2ELb0EEvPKcS1_S1_S1_S1_PKiPfP15HIP_vector_typeIfLj2EEffffjfiS5_IjLj3EEiiiiiiiiiiiliiliiiiil,@function
_ZL15flash_attn_tileILi96ELi96ELi4ELi2ELb0EEvPKcS1_S1_S1_S1_PKiPfP15HIP_vector_typeIfLj2EEffffjfiS5_IjLj3EEiiiiiiiiiiiliiliiiiil: ; @_ZL15flash_attn_tileILi96ELi96ELi4ELi2ELb0EEvPKcS1_S1_S1_S1_PKiPfP15HIP_vector_typeIfLj2EEffffjfiS5_IjLj3EEiiiiiiiiiiiliiliiiiil
; %bb.0:
	s_clause 0x1
	s_load_b128 s[20:23], s[0:1], 0x5c
	s_load_b64 s[30:31], s[0:1], 0x80
	s_bfe_u32 s5, ttmp6, 0x40014
	s_lshr_b32 s4, ttmp7, 16
	s_add_co_i32 s5, s5, 1
	s_bfe_u32 s6, ttmp6, 0x40008
	s_mul_i32 s5, s4, s5
	s_getreg_b32 s24, hwreg(HW_REG_IB_STS2, 6, 4)
	s_add_co_i32 s6, s6, s5
	s_mov_b32 s37, 0
	s_mov_b64 s[34:35], 0
	s_wait_kmcnt 0x0
	s_lshr_b32 s2, s23, 31
	s_delay_alu instid0(SALU_CYCLE_1) | instskip(NEXT) | instid1(SALU_CYCLE_1)
	s_add_co_i32 s2, s23, s2
	s_ashr_i32 s2, s2, 1
	s_delay_alu instid0(SALU_CYCLE_1) | instskip(SKIP_1) | instid1(SALU_CYCLE_2)
	s_cvt_f32_u32 s3, s2
	s_sub_co_i32 s7, 0, s2
	v_rcp_iflag_f32_e32 v1, s3
	v_nop
	s_delay_alu instid0(TRANS32_DEP_1) | instskip(SKIP_1) | instid1(SALU_CYCLE_3)
	v_readfirstlane_b32 s3, v1
	s_mul_f32 s3, s3, 0x4f7ffffe
	s_cvt_u32_f32 s3, s3
	s_delay_alu instid0(SALU_CYCLE_3) | instskip(NEXT) | instid1(SALU_CYCLE_1)
	s_mul_i32 s7, s7, s3
	s_mul_hi_u32 s7, s3, s7
	s_delay_alu instid0(SALU_CYCLE_1) | instskip(SKIP_2) | instid1(SALU_CYCLE_1)
	s_add_co_i32 s3, s3, s7
	s_cmp_eq_u32 s24, 0
	s_cselect_b32 s4, s4, s6
	s_mul_hi_u32 s3, s4, s3
	s_delay_alu instid0(SALU_CYCLE_1) | instskip(SKIP_2) | instid1(SALU_CYCLE_1)
	s_mul_i32 s5, s3, s2
	s_add_co_i32 s6, s3, 1
	s_sub_co_i32 s5, s4, s5
	s_sub_co_i32 s7, s5, s2
	s_cmp_ge_u32 s5, s2
	s_cselect_b32 s3, s6, s3
	s_cselect_b32 s5, s7, s5
	s_add_co_i32 s6, s3, 1
	s_cmp_ge_u32 s5, s2
	s_cselect_b32 s28, s6, s3
	s_abs_i32 s2, s31
	s_abs_i32 s6, s23
	s_cvt_f32_u32 s3, s2
	s_sub_co_i32 s5, 0, s2
	s_lshl_b32 s25, s4, 1
	s_xor_b32 s4, s23, s31
	v_rcp_iflag_f32_e32 v1, s3
	s_ashr_i32 s26, s4, 31
	v_nop
	s_delay_alu instid0(TRANS32_DEP_1) | instskip(SKIP_1) | instid1(SALU_CYCLE_3)
	v_readfirstlane_b32 s3, v1
	s_mul_f32 s3, s3, 0x4f7ffffe
	s_cvt_u32_f32 s3, s3
	s_delay_alu instid0(SALU_CYCLE_3) | instskip(NEXT) | instid1(SALU_CYCLE_1)
	s_mul_i32 s5, s5, s3
	s_mul_hi_u32 s5, s3, s5
	s_delay_alu instid0(SALU_CYCLE_1) | instskip(NEXT) | instid1(SALU_CYCLE_1)
	s_add_co_i32 s3, s3, s5
	s_mul_hi_u32 s3, s6, s3
	s_delay_alu instid0(SALU_CYCLE_1) | instskip(NEXT) | instid1(SALU_CYCLE_1)
	s_mul_i32 s5, s3, s2
	s_sub_co_i32 s4, s6, s5
	s_add_co_i32 s5, s3, 1
	s_sub_co_i32 s6, s4, s2
	s_cmp_ge_u32 s4, s2
	s_cselect_b32 s3, s5, s3
	s_cselect_b32 s4, s6, s4
	s_add_co_i32 s5, s3, 1
	s_cmp_ge_u32 s4, s2
	s_cselect_b32 s2, s5, s3
	s_load_b512 s[4:19], s[0:1], 0x0
	s_xor_b32 s27, s2, s26
	s_load_b64 s[2:3], s[0:1], 0xb8
	s_sub_co_i32 s29, s27, s26
	s_delay_alu instid0(SALU_CYCLE_1) | instskip(NEXT) | instid1(SALU_CYCLE_1)
	s_abs_i32 s39, s29
	s_cvt_f32_u32 s26, s39
	s_delay_alu instid0(SALU_CYCLE_3) | instskip(SKIP_2) | instid1(TRANS32_DEP_1)
	v_rcp_iflag_f32_e32 v1, s26
	s_mul_i32 s26, s28, s23
	v_nop
	v_readfirstlane_b32 s36, v1
	s_wait_kmcnt 0x0
	s_cmp_eq_u64 s[10:11], 0
	s_cbranch_scc1 .LBB43_2
; %bb.1:
	s_abs_i32 s2, s2
	s_abs_i32 s33, s28
	s_cvt_f32_u32 s27, s2
	s_sub_co_i32 s31, 0, s2
	s_load_b64 s[34:35], s[0:1], 0xc8
	s_delay_alu instid0(SALU_CYCLE_1) | instskip(SKIP_1) | instid1(TRANS32_DEP_1)
	v_rcp_iflag_f32_e32 v1, s27
	v_nop
	v_readfirstlane_b32 s27, v1
	s_mul_f32 s27, s27, 0x4f7ffffe
	s_delay_alu instid0(SALU_CYCLE_3) | instskip(NEXT) | instid1(SALU_CYCLE_3)
	s_cvt_u32_f32 s27, s27
	s_mul_i32 s31, s31, s27
	s_delay_alu instid0(SALU_CYCLE_1) | instskip(NEXT) | instid1(SALU_CYCLE_1)
	s_mul_hi_u32 s31, s27, s31
	s_add_co_i32 s27, s27, s31
	s_ashr_i32 s31, s28, 31
	s_mul_hi_u32 s27, s33, s27
	s_delay_alu instid0(SALU_CYCLE_1) | instskip(NEXT) | instid1(SALU_CYCLE_1)
	s_mul_i32 s27, s27, s2
	s_sub_co_i32 s27, s33, s27
	s_delay_alu instid0(SALU_CYCLE_1) | instskip(SKIP_2) | instid1(SALU_CYCLE_1)
	s_sub_co_i32 s33, s27, s2
	s_cmp_ge_u32 s27, s2
	s_cselect_b32 s27, s33, s27
	s_sub_co_i32 s33, s27, s2
	s_cmp_ge_u32 s27, s2
	s_cselect_b32 s2, s33, s27
	s_delay_alu instid0(SALU_CYCLE_1) | instskip(NEXT) | instid1(SALU_CYCLE_1)
	s_xor_b32 s2, s2, s31
	s_sub_co_i32 s40, s2, s31
	s_delay_alu instid0(SALU_CYCLE_1) | instskip(SKIP_2) | instid1(SALU_CYCLE_1)
	s_ashr_i32 s41, s40, 31
	s_wait_kmcnt 0x0
	s_mul_u64 s[34:35], s[34:35], s[40:41]
	s_add_nc_u64 s[34:35], s[10:11], s[34:35]
.LBB43_2:
	s_bfe_u32 s2, ttmp6, 0x4000c
	v_and_b32_e32 v51, 0x3ff, v0
	s_add_co_i32 s2, s2, 1
	v_bfe_u32 v0, v0, 10, 10
	s_and_b32 s10, ttmp6, 15
	s_mul_i32 s2, ttmp9, s2
	s_sub_co_i32 s31, s25, s26
	s_add_co_i32 s10, s10, s2
	s_movk_i32 s11, 0xc0
	s_cmp_eq_u32 s24, 0
	v_cmp_gt_u32_e64 s2, 24, v51
	v_mad_u32_u24 v57, v0, s11, 0xe80
	v_dual_lshlrev_b32 v61, 3, v51 :: v_dual_bitop2_b32 v40, 1, v0 bitop3:0x40
	v_lshrrev_b32_e32 v60, 1, v0
	s_cselect_b32 s10, ttmp9, s10
	s_delay_alu instid0(SALU_CYCLE_1)
	s_lshl_b32 s33, s10, 2
	s_and_saveexec_b32 s11, s2
	s_cbranch_execz .LBB43_4
; %bb.3:
	v_add_nc_u32_e32 v1, s33, v60
	s_load_b96 s[40:42], s[0:1], 0x70
	v_dual_mov_b32 v41, 0 :: v_dual_lshlrev_b32 v6, 4, v51
	s_delay_alu instid0(VALU_DEP_2) | instskip(NEXT) | instid1(VALU_DEP_2)
	v_mul_hi_u32 v2, s20, v1
	v_dual_mov_b32 v3, v41 :: v_dual_mov_b32 v7, v41
	s_delay_alu instid0(VALU_DEP_2) | instskip(NEXT) | instid1(VALU_DEP_1)
	v_add_nc_u32_e32 v2, v1, v2
	v_lshrrev_b32_e32 v2, s21, v2
	s_wait_kmcnt 0x0
	s_ashr_i32 s27, s41, 31
	s_mov_b32 s26, s41
	s_mul_i32 s44, s31, s41
	s_lshr_b64 s[26:27], s[26:27], 2
	v_mul_lo_u32 v2, v2, s22
	v_mul_u64_e32 v[4:5], s[26:27], v[40:41]
	s_ashr_i32 s41, s40, 31
	s_ashr_i32 s45, s44, 31
	s_lshr_b64 s[26:27], s[40:41], 2
	s_delay_alu instid0(VALU_DEP_2) | instskip(NEXT) | instid1(VALU_DEP_1)
	v_sub_nc_u32_e32 v2, v1, v2
	v_mul_u64_e32 v[2:3], s[26:27], v[2:3]
	s_mul_i32 s26, s28, s42
	s_delay_alu instid0(SALU_CYCLE_1) | instskip(NEXT) | instid1(SALU_CYCLE_1)
	s_ashr_i32 s27, s26, 31
	s_add_nc_u64 s[4:5], s[4:5], s[26:27]
	s_delay_alu instid0(SALU_CYCLE_1)
	s_add_nc_u64 s[4:5], s[4:5], s[44:45]
	s_delay_alu instid0(VALU_DEP_3) | instid1(SALU_CYCLE_1)
	v_lshl_add_u64 v[4:5], v[4:5], 2, s[4:5]
	s_load_b32 s4, s[0:1], 0x40
	s_delay_alu instid0(VALU_DEP_1) | instskip(NEXT) | instid1(VALU_DEP_1)
	v_lshl_add_u64 v[2:3], v[2:3], 2, v[4:5]
	v_add_nc_u64_e32 v[2:3], v[2:3], v[6:7]
	global_load_b128 v[2:5], v[2:3], off
	s_wait_loadcnt 0x0
	s_wait_kmcnt 0x0
	v_fma_mixlo_f16 v1, s4, v2, 0
	v_mov_b32_e32 v2, v5
	s_delay_alu instid0(VALU_DEP_2) | instskip(NEXT) | instid1(VALU_DEP_2)
	v_and_b32_e32 v1, 0xffff, v1
	v_pk_mul_f32 v[2:3], s[4:5], v[2:3] op_sel_hi:[0,1]
	s_delay_alu instid0(VALU_DEP_1) | instskip(SKIP_1) | instid1(VALU_DEP_2)
	v_cvt_pk_f16_f32 v2, v2, v3
	v_fma_mixlo_f16 v3, s4, v4, 0
	v_and_b32_e32 v4, 0xffff0000, v2
	s_delay_alu instid0(VALU_DEP_2) | instskip(NEXT) | instid1(VALU_DEP_2)
	v_and_b32_e32 v3, 0xffff, v3
	v_dual_lshlrev_b32 v2, 16, v2 :: v_dual_bitop2_b32 v1, v4, v1 bitop3:0x54
	v_add_nc_u32_e32 v4, v57, v61
	s_delay_alu instid0(VALU_DEP_2) | instskip(NEXT) | instid1(VALU_DEP_3)
	v_or3_b32 v3, v2, v3, 0
	v_or3_b32 v2, 0, 0, v1
	ds_store_b64 v4, v[2:3]
.LBB43_4:
	s_or_b32 exec_lo, exec_lo, s11
	s_cmp_eq_u64 s[14:15], 0
	s_wait_dscnt 0x0
	s_barrier_signal -1
	s_barrier_wait -1
	s_cbranch_scc1 .LBB43_6
; %bb.5:
	s_load_b32 s4, s[0:1], 0xd0
	s_wait_kmcnt 0x0
	s_mul_i32 s4, s4, s28
	s_delay_alu instid0(SALU_CYCLE_1)
	s_add_co_i32 s4, s4, s10
	s_load_b32 s30, s[14:15], s4 offset:0x0 scale_offset
.LBB43_6:
	s_wait_xcnt 0x0
	s_bfe_u32 s4, ttmp6, 0x40010
	s_and_b32 s5, ttmp7, 0xffff
	s_add_co_i32 s4, s4, 1
	s_bfe_u32 s10, ttmp6, 0x40004
	s_mul_i32 s4, s5, s4
	v_mbcnt_lo_u32_b32 v41, -1, 0
	s_add_co_i32 s10, s10, s4
	s_cmp_eq_u32 s24, 0
	s_mov_b32 s4, 0
	s_cselect_b32 s38, s5, s10
	s_delay_alu instid0(SALU_CYCLE_1)
	s_lshl_b32 s10, s38, 5
	s_wait_kmcnt 0x0
	s_cmp_lt_i32 s10, s30
	s_cbranch_scc1 .LBB43_9
; %bb.7:
	v_mbcnt_lo_u32_b32 v1, -1, 0
	s_delay_alu instid0(VALU_DEP_1)
	v_dual_mov_b32 v62, 32 :: v_dual_bitop2_b32 v74, 16, v1 bitop3:0x14
	v_xor_b32_e32 v75, 8, v1
	v_xor_b32_e32 v76, 4, v1
	;; [unrolled: 1-line block ×4, first 2 shown]
	s_and_not1_b32 vcc_lo, exec_lo, s4
	s_cbranch_vccz .LBB43_10
; %bb.8:
	v_dual_mov_b32 v71, 0 :: v_dual_mov_b32 v79, 0
	v_mov_b32_e32 v56, 0xfeffffff
	v_mov_b32_e32 v72, 0
	s_branch .LBB43_30
.LBB43_9:
                                        ; implicit-def: $vgpr1
                                        ; implicit-def: $vgpr62
                                        ; implicit-def: $vgpr74
                                        ; implicit-def: $vgpr75
                                        ; implicit-def: $vgpr76
                                        ; implicit-def: $vgpr77
                                        ; implicit-def: $vgpr78
.LBB43_10:
	v_dual_add_nc_u32 v1, s33, v60 :: v_dual_lshrrev_b32 v3, 1, v51
	s_clause 0x1
	s_load_b64 s[4:5], s[0:1], 0x8c
	s_load_b128 s[24:27], s[0:1], 0x98
	s_mul_f32 s11, s36, 0x4f7ffffe
	s_sub_co_i32 s14, 0, s39
	v_mul_hi_u32 v2, s20, v1
	v_dual_lshlrev_b32 v5, 2, v51 :: v_dual_lshrrev_b32 v4, 2, v51
	s_cvt_u32_f32 s11, s11
	s_abs_i32 s36, s31
	s_mov_b32 s15, s37
	v_lshl_add_u32 v3, v0, 4, v3
	s_mul_i32 s14, s14, s11
	v_lshl_add_u32 v7, v0, 3, v4
	s_mul_hi_u32 s14, s11, s14
	s_ashr_i32 s42, s31, 31
	s_delay_alu instid0(VALU_DEP_4) | instskip(SKIP_3) | instid1(VALU_DEP_1)
	v_dual_add_nc_u32 v6, v1, v2 :: v_dual_bitop2_b32 v2, 4, v5 bitop3:0x40
	s_add_co_i32 s14, s11, s14
	s_ashr_i32 s11, s3, 1
	s_mul_u64 s[14:15], s[36:37], s[14:15]
	v_dual_lshrrev_b32 v6, s21, v6 :: v_dual_bitop2_b32 v4, 12, v5 bitop3:0x40
	s_wait_kmcnt 0x0
	s_ashr_i32 s14, s26, 2
	s_ashr_i32 s26, s4, 2
	s_mul_i32 s3, s15, s39
	v_mul_lo_u32 v42, s26, v3
	v_mul_lo_u32 v6, v6, s22
	v_mul_u32_u24_e32 v8, 0x70, v3
	v_lshlrev_b32_e32 v9, 2, v2
	s_ashr_i32 s43, s29, 31
	s_load_b64 s[40:41], s[0:1], 0xa8
	s_sub_co_i32 s3, s36, s3
	s_ashr_i32 s29, s28, 31
	s_xor_b32 s37, s42, s43
	s_add_co_i32 s4, s15, 1
	s_sub_co_i32 s36, s3, s39
	s_cmp_ge_u32 s3, s39
	v_cmp_gt_u32_e32 vcc_lo, 32, v3
	v_lshlrev_b32_e32 v3, 2, v4
	v_add3_u32 v64, v8, v9, 64
	v_dual_lshrrev_b32 v8, 3, v51 :: v_dual_ashrrev_i32 v43, 31, v42
	s_cselect_b32 s4, s4, s15
	s_cselect_b32 s3, s36, s3
	s_add_co_i32 s15, s4, 1
	s_cmp_ge_u32 s3, s39
	v_mul_lo_u32 v44, s26, v7
	v_dual_mov_b32 v47, 0 :: v_dual_sub_nc_u32 v1, v1, v6
	v_lshl_add_u32 v6, v0, 2, v8
	s_cselect_b32 s3, s15, s4
	v_mul_lo_u32 v48, s14, v7
	s_xor_b32 s3, s3, s37
	v_lshl_add_u32 v66, v0, 6, 0x1480
	v_mul_lo_u32 v52, s14, v6
	s_sub_co_i32 s3, s3, s37
	v_mul_u32_u24_e32 v0, 0xc0, v7
	v_dual_ashrrev_i32 v45, 31, v44 :: v_dual_bitop2_b32 v50, 28, v5 bitop3:0x40
	s_mul_u64 s[24:25], s[24:25], s[28:29]
	s_mul_i32 s4, s3, s5
	s_add_nc_u64 s[6:7], s[6:7], s[24:25]
	s_ashr_i32 s5, s4, 31
	v_mad_u32 v67, v1, s11, v51
	v_dual_lshlrev_b32 v1, 2, v50 :: v_dual_bitop2_b32 v0, v0, v3 bitop3:0x54
	s_wait_kmcnt 0x0
	s_mul_u64 s[36:37], s[40:41], s[28:29]
	s_add_nc_u64 s[24:25], s[6:7], s[4:5]
	s_mul_i32 s6, s3, s27
	s_add_nc_u64 s[4:5], s[8:9], s[36:37]
	s_ashr_i32 s7, s6, 31
	v_cmp_gt_u32_e64 s3, 32, v7
	s_add_nc_u64 s[8:9], s[4:5], s[6:7]
	v_mul_u32_u24_e32 v63, 0x70, v51
	v_mad_u32_u24 v65, 0x70, v7, v3
	v_lshl_add_u32 v68, v51, 1, v66
	v_cmp_gt_u32_e64 s4, 16, v7
	v_cmp_gt_u32_e64 s5, 16, v6
	v_dual_mov_b32 v62, 32 :: v_dual_add_nc_u32 v69, 0x80, v0
	v_dual_mov_b32 v80, 0xfeffffff :: v_dual_ashrrev_i32 v49, 31, v48
	v_mad_u32_u24 v70, 0xc0, v6, v1
	v_dual_ashrrev_i32 v53, 31, v52 :: v_dual_lshlrev_b32 v46, 2, v2
	v_dual_lshlrev_b32 v54, 2, v4 :: v_dual_mov_b32 v72, v47
	v_dual_mov_b32 v71, v47 :: v_dual_mov_b32 v73, v47
	s_ashr_i32 s27, s26, 31
	s_ashr_i32 s15, s14, 31
	s_add_nc_u64 s[20:21], s[0:1], 0xd0
.LBB43_11:                              ; =>This Inner Loop Header: Depth=1
	s_ashr_i32 s11, s10, 31
	s_delay_alu instid0(SALU_CYCLE_1) | instskip(NEXT) | instid1(SALU_CYCLE_1)
	s_mul_u64 s[6:7], s[10:11], s[26:27]
	s_lshl_b64 s[6:7], s[6:7], 2
	s_delay_alu instid0(SALU_CYCLE_1) | instskip(NEXT) | instid1(SALU_CYCLE_1)
	s_add_nc_u64 s[6:7], s[24:25], s[6:7]
	v_lshl_add_u64 v[0:1], v[42:43], 2, s[6:7]
	s_and_saveexec_b32 s29, vcc_lo
	s_cbranch_execz .LBB43_13
; %bb.12:                               ;   in Loop: Header=BB43_11 Depth=1
	s_delay_alu instid0(VALU_DEP_1)
	v_add_nc_u64_e32 v[2:3], v[0:1], v[46:47]
	global_load_b128 v[2:5], v[2:3], off offset:64
	s_wait_loadcnt 0x0
	ds_store_b128 v64, v[2:5]
.LBB43_13:                              ;   in Loop: Header=BB43_11 Depth=1
	s_or_b32 exec_lo, exec_lo, s29
	v_lshl_add_u64 v[2:3], v[44:45], 2, s[6:7]
	s_and_saveexec_b32 s6, s3
	s_cbranch_execz .LBB43_15
; %bb.14:                               ;   in Loop: Header=BB43_11 Depth=1
	v_mov_b32_e32 v55, v47
	s_delay_alu instid0(VALU_DEP_1)
	v_add_nc_u64_e32 v[4:5], v[2:3], v[54:55]
	global_load_b128 v[4:7], v[4:5], off
	s_wait_loadcnt 0x0
	ds_store_b128 v65, v[4:7]
.LBB43_15:                              ;   in Loop: Header=BB43_11 Depth=1
	s_or_b32 exec_lo, exec_lo, s6
	s_wait_dscnt 0x0
	s_barrier_signal -1
	s_barrier_wait -1
	ds_load_b128 v[6:9], v63
	ds_load_b128 v[10:13], v57
	v_mov_b32_e32 v4, 0
	s_wait_dscnt 0x0
	;;#ASMSTART
	v_dot2_f32_f16 v4, v6, v10, v4
	;;#ASMEND
	;;#ASMSTART
	v_dot2_f32_f16 v4, v7, v11, v4
	;;#ASMEND
	;;#ASMSTART
	v_dot2_f32_f16 v4, v8, v12, v4
	;;#ASMEND
	;;#ASMSTART
	v_dot2_f32_f16 v4, v9, v13, v4
	;;#ASMEND
	ds_load_b128 v[6:9], v63 offset:16
	ds_load_b128 v[10:13], v57 offset:16
	s_wait_dscnt 0x0
	;;#ASMSTART
	v_dot2_f32_f16 v4, v6, v10, v4
	;;#ASMEND
	;;#ASMSTART
	v_dot2_f32_f16 v4, v7, v11, v4
	;;#ASMEND
	;;#ASMSTART
	v_dot2_f32_f16 v4, v8, v12, v4
	;;#ASMEND
	;;#ASMSTART
	v_dot2_f32_f16 v4, v9, v13, v4
	;;#ASMEND
	ds_load_b128 v[6:9], v63 offset:32
	ds_load_b128 v[10:13], v57 offset:32
	;; [unrolled: 15-line block ×5, first 2 shown]
	s_wait_dscnt 0x0
	;;#ASMSTART
	v_dot2_f32_f16 v4, v6, v10, v4
	;;#ASMEND
	;;#ASMSTART
	v_dot2_f32_f16 v4, v7, v11, v4
	;;#ASMEND
	;; [unrolled: 3-line block ×4, first 2 shown]
	s_barrier_signal -1
	s_barrier_wait -1
	s_and_saveexec_b32 s6, vcc_lo
	s_cbranch_execz .LBB43_17
; %bb.16:                               ;   in Loop: Header=BB43_11 Depth=1
	v_add_nc_u64_e32 v[0:1], v[0:1], v[46:47]
	global_load_b128 v[6:9], v[0:1], off offset:160
	s_wait_loadcnt 0x0
	ds_store_b128 v64, v[6:9]
.LBB43_17:                              ;   in Loop: Header=BB43_11 Depth=1
	s_or_b32 exec_lo, exec_lo, s6
	s_and_saveexec_b32 s6, s3
	s_cbranch_execz .LBB43_19
; %bb.18:                               ;   in Loop: Header=BB43_11 Depth=1
	v_mov_b32_e32 v55, v47
	s_delay_alu instid0(VALU_DEP_1)
	v_add_nc_u64_e32 v[0:1], v[2:3], v[54:55]
	global_load_b128 v[0:3], v[0:1], off offset:96
	s_wait_loadcnt 0x0
	ds_store_b128 v65, v[0:3]
.LBB43_19:                              ;   in Loop: Header=BB43_11 Depth=1
	s_or_b32 exec_lo, exec_lo, s6
	s_wait_dscnt 0x0
	s_barrier_signal -1
	s_barrier_wait -1
	ds_load_b128 v[0:3], v63
	ds_load_b128 v[6:9], v57 offset:96
	v_dual_add_nc_u32 v5, s10, v67 :: v_dual_bitop2_b32 v74, 16, v41 bitop3:0x14
	v_xor_b32_e32 v78, 1, v41
	s_wait_dscnt 0x0
	;;#ASMSTART
	v_dot2_f32_f16 v4, v0, v6, v4
	;;#ASMEND
	;;#ASMSTART
	v_dot2_f32_f16 v4, v1, v7, v4
	;;#ASMEND
	;; [unrolled: 3-line block ×4, first 2 shown]
	ds_load_b128 v[0:3], v63 offset:16
	ds_load_b128 v[6:9], v57 offset:112
	v_cmp_gt_i32_e64 s6, 32, v74
	s_wait_dscnt 0x0
	;;#ASMSTART
	v_dot2_f32_f16 v4, v0, v6, v4
	;;#ASMEND
	;;#ASMSTART
	v_dot2_f32_f16 v4, v1, v7, v4
	;;#ASMEND
	;;#ASMSTART
	v_dot2_f32_f16 v4, v2, v8, v4
	;;#ASMEND
	;;#ASMSTART
	v_dot2_f32_f16 v4, v3, v9, v4
	;;#ASMEND
	ds_load_b128 v[0:3], v63 offset:32
	ds_load_b128 v[6:9], v57 offset:128
	s_wait_dscnt 0x0
	;;#ASMSTART
	v_dot2_f32_f16 v4, v0, v6, v4
	;;#ASMEND
	;;#ASMSTART
	v_dot2_f32_f16 v4, v1, v7, v4
	;;#ASMEND
	;;#ASMSTART
	v_dot2_f32_f16 v4, v2, v8, v4
	;;#ASMEND
	;;#ASMSTART
	v_dot2_f32_f16 v4, v3, v9, v4
	;;#ASMEND
	ds_load_b128 v[0:3], v63 offset:48
	ds_load_b128 v[6:9], v57 offset:144
	;; [unrolled: 15-line block ×4, first 2 shown]
	s_wait_dscnt 0x0
	;;#ASMSTART
	v_dot2_f32_f16 v4, v0, v6, v4
	;;#ASMEND
	;;#ASMSTART
	v_dot2_f32_f16 v4, v1, v7, v4
	;;#ASMEND
	;; [unrolled: 3-line block ×4, first 2 shown]
	global_load_u16 v0, v5, s[34:35] scale_offset
	s_wait_loadcnt 0x0
	s_barrier_signal -1
	s_barrier_wait -1
	v_dual_cndmask_b32 v2, v41, v74, s6 :: v_dual_max_num_f32 v1, v80, v80
	v_xor_b32_e32 v75, 8, v41
	s_delay_alu instid0(VALU_DEP_2) | instskip(NEXT) | instid1(VALU_DEP_2)
	v_dual_lshlrev_b32 v2, 2, v2 :: v_dual_bitop2_b32 v76, 4, v41 bitop3:0x14
	v_cmp_gt_i32_e64 s6, 32, v75
	v_cvt_f32_f16_e32 v0, v0
	s_delay_alu instid0(VALU_DEP_1) | instskip(NEXT) | instid1(VALU_DEP_1)
	v_add_f32_e32 v0, v4, v0
	v_add_f32_e32 v3, 0x40051340, v0
	s_delay_alu instid0(VALU_DEP_1)
	v_max_num_f32_e32 v1, v1, v3
	v_cndmask_b32_e64 v3, v41, v75, s6
	v_cmp_gt_i32_e64 s6, 32, v76
	ds_bpermute_b32 v2, v2, v1
	s_wait_dscnt 0x0
	v_dual_max_num_f32 v2, v2, v2 :: v_dual_lshlrev_b32 v3, 2, v3
	s_delay_alu instid0(VALU_DEP_1) | instskip(SKIP_3) | instid1(VALU_DEP_1)
	v_max_num_f32_e32 v1, v1, v2
	ds_bpermute_b32 v2, v3, v1
	s_wait_dscnt 0x0
	v_dual_cndmask_b32 v3, v41, v76, s6 :: v_dual_max_num_f32 v2, v2, v2
	v_dual_lshlrev_b32 v3, 2, v3 :: v_dual_max_num_f32 v1, v1, v2
	ds_bpermute_b32 v2, v3, v1
	s_wait_dscnt 0x0
	v_dual_max_num_f32 v2, v2, v2 :: v_dual_bitop2_b32 v77, 2, v41 bitop3:0x14
	s_delay_alu instid0(VALU_DEP_1) | instskip(NEXT) | instid1(VALU_DEP_2)
	v_cmp_gt_i32_e64 s6, 32, v77
	v_max_num_f32_e32 v1, v1, v2
	s_delay_alu instid0(VALU_DEP_2) | instskip(SKIP_1) | instid1(VALU_DEP_2)
	v_cndmask_b32_e64 v3, v41, v77, s6
	v_cmp_gt_i32_e64 s6, 32, v78
	v_lshlrev_b32_e32 v3, 2, v3
	ds_bpermute_b32 v2, v3, v1
	v_cndmask_b32_e64 v3, v41, v78, s6
	s_wait_dscnt 0x0
	s_delay_alu instid0(VALU_DEP_1) | instskip(NEXT) | instid1(VALU_DEP_1)
	v_dual_max_num_f32 v2, v2, v2 :: v_dual_lshlrev_b32 v3, 2, v3
	v_max_num_f32_e32 v1, v1, v2
	ds_bpermute_b32 v2, v3, v1
	s_wait_dscnt 0x0
	v_max_num_f32_e32 v2, v2, v2
	s_delay_alu instid0(VALU_DEP_1) | instskip(NEXT) | instid1(VALU_DEP_1)
	v_max_num_f32_e32 v56, v1, v2
	v_sub_f32_e32 v0, v0, v56
	s_delay_alu instid0(VALU_DEP_1) | instskip(SKIP_1) | instid1(VALU_DEP_2)
	v_mul_f32_e32 v1, 0x3fb8aa3b, v0
	v_cmp_ngt_f32_e64 s6, 0xc2ce8ed0, v0
	v_fma_f32 v2, 0x3fb8aa3b, v0, -v1
	v_rndne_f32_e32 v3, v1
	s_delay_alu instid0(VALU_DEP_1) | instskip(NEXT) | instid1(VALU_DEP_1)
	v_dual_fmac_f32 v2, 0x32a5705f, v0 :: v_dual_sub_f32 v1, v1, v3
	v_add_f32_e32 v1, v1, v2
	v_cvt_i32_f32_e32 v2, v3
	s_delay_alu instid0(VALU_DEP_2) | instskip(SKIP_1) | instid1(TRANS32_DEP_1)
	v_exp_f32_e32 v1, v1
	v_nop
	v_ldexp_f32 v1, v1, v2
	s_delay_alu instid0(VALU_DEP_1) | instskip(SKIP_1) | instid1(VALU_DEP_1)
	v_cndmask_b32_e64 v1, 0, v1, s6
	v_cmp_nlt_f32_e64 s6, 0x42b17218, v0
	v_cndmask_b32_e64 v79, 0x7f800000, v1, s6
	s_mul_u64 s[6:7], s[10:11], s[14:15]
	s_delay_alu instid0(SALU_CYCLE_1) | instskip(NEXT) | instid1(VALU_DEP_1)
	s_lshl_b64 s[6:7], s[6:7], 2
	v_cvt_f16_f32_e32 v0, v79
	s_add_nc_u64 s[6:7], s[8:9], s[6:7]
	ds_store_b16 v68, v0
	s_wait_xcnt 0x0
	s_and_saveexec_b32 s11, s4
	s_cbranch_execz .LBB43_21
; %bb.20:                               ;   in Loop: Header=BB43_11 Depth=1
	v_lshl_add_u64 v[0:1], v[48:49], 2, s[6:7]
	v_mov_b32_e32 v55, v47
	s_delay_alu instid0(VALU_DEP_1)
	v_add_nc_u64_e32 v[0:1], v[0:1], v[54:55]
	global_load_b128 v[0:3], v[0:1], off offset:128
	s_wait_loadcnt 0x0
	ds_store_b128 v69, v[0:3]
.LBB43_21:                              ;   in Loop: Header=BB43_11 Depth=1
	s_or_b32 exec_lo, exec_lo, s11
	v_lshlrev_b32_e32 v58, 2, v50
	s_and_saveexec_b32 s11, s5
	s_cbranch_execz .LBB43_23
; %bb.22:                               ;   in Loop: Header=BB43_11 Depth=1
	v_lshl_add_u64 v[0:1], v[52:53], 2, s[6:7]
	v_mov_b32_e32 v59, v47
	s_delay_alu instid0(VALU_DEP_1)
	v_add_nc_u64_e32 v[0:1], v[0:1], v[58:59]
	global_load_b128 v[0:3], v[0:1], off
	s_wait_loadcnt 0x0
	ds_store_b128 v70, v[0:3]
.LBB43_23:                              ;   in Loop: Header=BB43_11 Depth=1
	s_or_b32 exec_lo, exec_lo, s11
	v_add_nc_u32_e32 v82, 0x400, v61
	v_dual_sub_f32 v80, v80, v56 :: v_dual_add_nc_u32 v81, 0x800, v61
	s_wait_dscnt 0x0
	s_barrier_signal -1
	s_barrier_wait -1
	ds_load_2addr_b64 v[32:35], v61 offset1:24
	ds_load_b128 v[20:23], v66
	ds_load_b128 v[0:3], v66 offset:16
	ds_load_2addr_b64 v[24:27], v61 offset0:48 offset1:72
	ds_load_2addr_b64 v[36:39], v61 offset0:96 offset1:120
	;; [unrolled: 1-line block ×7, first 2 shown]
	s_or_b32 s36, s10, 16
	v_cmp_ngt_f32_e64 s6, 0xc2ce8ed0, v80
	s_ashr_i32 s37, s36, 31
	v_cmp_nlt_f32_e64 s7, 0x42b17218, v80
	s_mul_u64 s[36:37], s[36:37], s[14:15]
	s_wait_dscnt 0x0
	s_lshl_b64 s[36:37], s[36:37], 2
	s_barrier_signal -1
	s_add_nc_u64 s[36:37], s[8:9], s[36:37]
	s_barrier_wait -1
	s_and_saveexec_b32 s11, s4
	s_cbranch_execz .LBB43_25
; %bb.24:                               ;   in Loop: Header=BB43_11 Depth=1
	v_lshl_add_u64 v[84:85], v[48:49], 2, s[36:37]
	v_mov_b32_e32 v55, v47
	s_delay_alu instid0(VALU_DEP_1)
	v_add_nc_u64_e32 v[84:85], v[84:85], v[54:55]
	global_load_b128 v[84:87], v[84:85], off offset:128
	s_wait_loadcnt 0x0
	ds_store_b128 v69, v[84:87]
.LBB43_25:                              ;   in Loop: Header=BB43_11 Depth=1
	s_or_b32 exec_lo, exec_lo, s11
	s_and_saveexec_b32 s11, s5
	s_cbranch_execz .LBB43_27
; %bb.26:                               ;   in Loop: Header=BB43_11 Depth=1
	v_lshl_add_u64 v[84:85], v[52:53], 2, s[36:37]
	v_mov_b32_e32 v59, v47
	s_delay_alu instid0(VALU_DEP_1)
	v_add_nc_u64_e32 v[58:59], v[84:85], v[58:59]
	global_load_b128 v[84:87], v[58:59], off
	s_wait_loadcnt 0x0
	ds_store_b128 v70, v[84:87]
.LBB43_27:                              ;   in Loop: Header=BB43_11 Depth=1
	s_or_b32 exec_lo, exec_lo, s11
	v_mul_f32_e32 v55, 0x3fb8aa3b, v80
	s_wait_dscnt 0x0
	s_barrier_signal -1
	s_barrier_wait -1
	s_delay_alu instid0(VALU_DEP_1) | instskip(SKIP_1) | instid1(VALU_DEP_1)
	v_fma_f32 v58, 0x3fb8aa3b, v80, -v55
	v_rndne_f32_e32 v59, v55
	v_dual_fmac_f32 v58, 0x32a5705f, v80 :: v_dual_sub_f32 v55, v55, v59
	s_delay_alu instid0(VALU_DEP_1) | instskip(SKIP_1) | instid1(VALU_DEP_2)
	v_add_f32_e32 v55, v55, v58
	v_cvt_i32_f32_e32 v58, v59
	v_exp_f32_e32 v55, v55
	v_nop
	s_delay_alu instid0(TRANS32_DEP_1) | instskip(SKIP_1) | instid1(VALU_DEP_2)
	v_ldexp_f32 v55, v55, v58
	v_and_b32_e32 v58, 0xffff, v20
	v_dual_lshrrev_b32 v20, 16, v20 :: v_dual_cndmask_b32 v55, 0, v55, s6
	s_delay_alu instid0(VALU_DEP_2) | instskip(NEXT) | instid1(VALU_DEP_2)
	v_mul_u32_u24_e32 v58, 0x10001, v58
	v_mul_u32_u24_e32 v20, 0x10001, v20
	s_delay_alu instid0(VALU_DEP_2) | instskip(SKIP_4) | instid1(VALU_DEP_3)
	v_pk_mul_f16 v32, v32, v58
	v_pk_mul_f16 v33, v33, v58
	v_and_b32_e32 v58, 0xffff, v21
	v_lshrrev_b32_e32 v21, 16, v21
	v_cndmask_b32_e64 v55, 0x7f800000, v55, s7
	v_mul_u32_u24_e32 v58, 0x10001, v58
	s_delay_alu instid0(VALU_DEP_3) | instskip(NEXT) | instid1(VALU_DEP_3)
	v_mul_u32_u24_e32 v21, 0x10001, v21
	v_cvt_f16_f32_e32 v59, v55
	v_fmac_f32_e32 v79, v73, v55
	s_delay_alu instid0(VALU_DEP_2) | instskip(NEXT) | instid1(VALU_DEP_1)
	v_and_b32_e32 v59, 0xffff, v59
	v_mul_u32_u24_e32 v59, 0x10001, v59
	s_delay_alu instid0(VALU_DEP_1) | instskip(SKIP_1) | instid1(VALU_DEP_2)
	v_pk_fma_f16 v32, v72, v59, v32
	v_pk_fma_f16 v33, v71, v59, v33
	;; [unrolled: 1-line block ×3, first 2 shown]
	s_delay_alu instid0(VALU_DEP_2) | instskip(SKIP_2) | instid1(VALU_DEP_4)
	v_pk_fma_f16 v20, v35, v20, v33
	v_and_b32_e32 v33, 0xffff, v22
	v_lshrrev_b32_e32 v22, 16, v22
	v_pk_fma_f16 v24, v24, v58, v32
	s_delay_alu instid0(VALU_DEP_4) | instskip(NEXT) | instid1(VALU_DEP_4)
	v_pk_fma_f16 v20, v25, v58, v20
	v_mul_u32_u24_e32 v25, 0x10001, v33
	s_delay_alu instid0(VALU_DEP_4) | instskip(NEXT) | instid1(VALU_DEP_4)
	v_mul_u32_u24_e32 v22, 0x10001, v22
	v_pk_fma_f16 v24, v26, v21, v24
	s_delay_alu instid0(VALU_DEP_4) | instskip(SKIP_2) | instid1(VALU_DEP_4)
	v_pk_fma_f16 v20, v27, v21, v20
	v_and_b32_e32 v21, 0xffff, v23
	v_lshrrev_b32_e32 v23, 16, v23
	v_pk_fma_f16 v24, v36, v25, v24
	s_delay_alu instid0(VALU_DEP_4) | instskip(NEXT) | instid1(VALU_DEP_4)
	v_pk_fma_f16 v20, v37, v25, v20
	v_mul_u32_u24_e32 v21, 0x10001, v21
	s_delay_alu instid0(VALU_DEP_3) | instskip(NEXT) | instid1(VALU_DEP_3)
	v_pk_fma_f16 v24, v38, v22, v24
	v_pk_fma_f16 v20, v39, v22, v20
	v_lshrrev_b32_e32 v22, 16, v0
	v_and_b32_e32 v0, 0xffff, v0
	v_mul_u32_u24_e32 v23, 0x10001, v23
	v_pk_fma_f16 v24, v28, v21, v24
	v_pk_fma_f16 v20, v29, v21, v20
	v_lshrrev_b32_e32 v21, 16, v1
	v_mul_u32_u24_e32 v0, 0x10001, v0
	v_and_b32_e32 v1, 0xffff, v1
	v_pk_fma_f16 v24, v30, v23, v24
	v_pk_fma_f16 v20, v31, v23, v20
	v_mul_u32_u24_e32 v22, 0x10001, v22
	v_and_b32_e32 v23, 0xffff, v2
	v_mul_u32_u24_e32 v1, 0x10001, v1
	v_pk_fma_f16 v16, v16, v0, v24
	v_pk_fma_f16 v0, v17, v0, v20
	s_delay_alu instid0(VALU_DEP_2) | instskip(NEXT) | instid1(VALU_DEP_2)
	v_pk_fma_f16 v20, v18, v22, v16
	v_pk_fma_f16 v0, v19, v22, v0
	ds_load_b128 v[16:19], v66 offset:32
	v_pk_fma_f16 v12, v12, v1, v20
	v_pk_fma_f16 v0, v13, v1, v0
	v_lshrrev_b32_e32 v1, 16, v2
	v_mul_u32_u24_e32 v21, 0x10001, v21
	v_mul_u32_u24_e32 v2, 0x10001, v23
	s_delay_alu instid0(VALU_DEP_3) | instskip(NEXT) | instid1(VALU_DEP_3)
	v_mul_u32_u24_e32 v22, 0x10001, v1
	v_pk_fma_f16 v20, v14, v21, v12
	v_pk_fma_f16 v0, v15, v21, v0
	v_and_b32_e32 v21, 0xffff, v3
	ds_load_2addr_b64 v[12:15], v61 offset1:24
	v_pk_fma_f16 v8, v8, v2, v20
	v_pk_fma_f16 v9, v9, v2, v0
	v_lshrrev_b32_e32 v20, 16, v3
	v_mul_u32_u24_e32 v21, 0x10001, v21
	ds_load_b128 v[0:3], v66 offset:48
	v_pk_fma_f16 v23, v10, v22, v8
	v_pk_fma_f16 v22, v11, v22, v9
	ds_load_2addr_b64 v[8:11], v61 offset0:48 offset1:72
	s_wait_dscnt 0x3
	v_and_b32_e32 v24, 0xffff, v16
	v_lshrrev_b32_e32 v16, 16, v16
	v_mul_u32_u24_e32 v20, 0x10001, v20
	v_pk_fma_f16 v4, v4, v21, v23
	v_pk_fma_f16 v5, v5, v21, v22
	v_mul_u32_u24_e32 v21, 0x10001, v24
	v_and_b32_e32 v23, 0xffff, v17
	v_mul_u32_u24_e32 v16, 0x10001, v16
	v_pk_fma_f16 v22, v6, v20, v4
	v_pk_fma_f16 v20, v7, v20, v5
	ds_load_2addr_b64 v[4:7], v61 offset0:96 offset1:120
	v_lshrrev_b32_e32 v17, 16, v17
	v_and_b32_e32 v24, 0xffff, v18
	s_wait_dscnt 0x3
	v_pk_fma_f16 v12, v12, v21, v22
	v_pk_fma_f16 v13, v13, v21, v20
	v_mul_u32_u24_e32 v20, 0x10001, v23
	v_and_b32_e32 v28, 0xffff, v19
	s_delay_alu instid0(VALU_DEP_4) | instskip(NEXT) | instid1(VALU_DEP_4)
	v_pk_fma_f16 v21, v14, v16, v12
	v_pk_fma_f16 v16, v15, v16, v13
	ds_load_2addr_b64 v[12:15], v61 offset0:144 offset1:168
	s_wait_dscnt 0x2
	v_pk_fma_f16 v8, v8, v20, v21
	v_pk_fma_f16 v9, v9, v20, v16
	v_lshrrev_b32_e32 v16, 16, v18
	v_mul_u32_u24_e32 v17, 0x10001, v17
	v_mul_u32_u24_e32 v18, 0x10001, v24
	ds_load_2addr_b64 v[20:23], v61 offset0:192 offset1:216
	v_mul_u32_u24_e32 v16, 0x10001, v16
	v_pk_fma_f16 v24, v10, v17, v8
	v_pk_fma_f16 v17, v11, v17, v9
	ds_load_2addr_b64 v[8:11], v82 offset0:112 offset1:136
	s_wait_dscnt 0x3
	v_pk_fma_f16 v4, v4, v18, v24
	v_pk_fma_f16 v5, v5, v18, v17
	v_lshrrev_b32_e32 v17, 16, v19
	v_mul_u32_u24_e32 v18, 0x10001, v28
	v_and_b32_e32 v28, 0xffff, v0
	v_pk_fma_f16 v19, v6, v16, v4
	v_pk_fma_f16 v16, v7, v16, v5
	v_lshrrev_b32_e32 v0, 16, v0
	v_mul_u32_u24_e32 v17, 0x10001, v17
	ds_load_2addr_b64 v[24:27], v81 offset0:32 offset1:56
	s_wait_dscnt 0x3
	v_pk_fma_f16 v12, v12, v18, v19
	v_pk_fma_f16 v13, v13, v18, v16
	v_mul_u32_u24_e32 v16, 0x10001, v28
	v_mul_u32_u24_e32 v0, 0x10001, v0
	ds_load_2addr_b64 v[4:7], v81 offset0:80 offset1:104
	v_pk_fma_f16 v12, v14, v17, v12
	v_pk_fma_f16 v13, v15, v17, v13
	v_and_b32_e32 v14, 0xffff, v1
	v_lshrrev_b32_e32 v1, 16, v1
	s_wait_dscnt 0x0
	v_pk_fma_f16 v12, v20, v16, v12
	v_pk_fma_f16 v13, v21, v16, v13
	v_mul_u32_u24_e32 v14, 0x10001, v14
	s_barrier_signal -1
	s_barrier_wait -1
	v_pk_fma_f16 v12, v22, v0, v12
	v_pk_fma_f16 v0, v23, v0, v13
	v_and_b32_e32 v13, 0xffff, v2
	v_lshrrev_b32_e32 v2, 16, v2
	v_mul_u32_u24_e32 v1, 0x10001, v1
	v_pk_fma_f16 v8, v8, v14, v12
	v_pk_fma_f16 v0, v9, v14, v0
	s_load_b32 s6, s[20:21], 0x4
	v_mul_u32_u24_e32 v9, 0x10001, v13
	s_delay_alu instid0(VALU_DEP_3) | instskip(NEXT) | instid1(VALU_DEP_3)
	v_pk_fma_f16 v8, v10, v1, v8
	v_pk_fma_f16 v0, v11, v1, v0
	v_and_b32_e32 v1, 0xffff, v3
	v_mul_u32_u24_e32 v2, 0x10001, v2
	v_lshrrev_b32_e32 v3, 16, v3
	v_pk_fma_f16 v8, v24, v9, v8
	v_pk_fma_f16 v0, v25, v9, v0
	v_mul_u32_u24_e32 v1, 0x10001, v1
	s_delay_alu instid0(VALU_DEP_3) | instskip(NEXT) | instid1(VALU_DEP_3)
	v_pk_fma_f16 v8, v26, v2, v8
	v_pk_fma_f16 v0, v27, v2, v0
	v_mul_u32_u24_e32 v2, 0x10001, v3
	s_delay_alu instid0(VALU_DEP_3) | instskip(NEXT) | instid1(VALU_DEP_3)
	v_pk_fma_f16 v3, v4, v1, v8
	v_pk_fma_f16 v0, v5, v1, v0
	s_wait_kmcnt 0x0
	s_lshl_b32 s6, s6, 5
	s_delay_alu instid0(VALU_DEP_2) | instskip(NEXT) | instid1(VALU_DEP_2)
	v_pk_fma_f16 v72, v6, v2, v3
	v_pk_fma_f16 v71, v7, v2, v0
	s_add_co_i32 s10, s6, s10
	s_delay_alu instid0(SALU_CYCLE_1)
	s_cmp_ge_i32 s10, s30
	s_cbranch_scc1 .LBB43_29
; %bb.28:                               ;   in Loop: Header=BB43_11 Depth=1
	v_dual_mov_b32 v80, v56 :: v_dual_mov_b32 v73, v79
	s_branch .LBB43_11
.LBB43_29:
	v_mov_b32_e32 v1, v41
.LBB43_30:
	v_cmp_lt_i32_e32 vcc_lo, v74, v62
	s_cmp_lg_u64 s[12:13], 0
	s_cselect_b32 s3, -1, 0
	s_cmp_eq_u32 s38, 0
	v_cndmask_b32_e32 v0, v1, v74, vcc_lo
	v_cmp_lt_i32_e32 vcc_lo, v75, v62
	s_cselect_b32 s4, -1, 0
	s_delay_alu instid0(SALU_CYCLE_1) | instskip(NEXT) | instid1(VALU_DEP_2)
	s_and_b32 s3, s4, s3
	v_dual_cndmask_b32 v2, v1, v75, vcc_lo :: v_dual_lshlrev_b32 v0, 2, v0
	v_cmp_lt_i32_e32 vcc_lo, v76, v62
	s_delay_alu instid0(VALU_DEP_2) | instskip(SKIP_4) | instid1(VALU_DEP_2)
	v_lshlrev_b32_e32 v2, 2, v2
	ds_bpermute_b32 v0, v0, v79
	v_cndmask_b32_e32 v3, v1, v76, vcc_lo
	v_cmp_lt_i32_e32 vcc_lo, v77, v62
	s_wait_dscnt 0x0
	v_dual_add_f32 v0, v79, v0 :: v_dual_lshlrev_b32 v3, 2, v3
	ds_bpermute_b32 v2, v2, v0
	s_wait_dscnt 0x0
	v_add_f32_e32 v0, v0, v2
	ds_bpermute_b32 v2, v3, v0
	v_cndmask_b32_e32 v3, v1, v77, vcc_lo
	v_cmp_lt_i32_e32 vcc_lo, v78, v62
	v_cndmask_b32_e32 v1, v1, v78, vcc_lo
	s_and_b32 vcc_lo, exec_lo, s3
	s_wait_dscnt 0x0
	v_dual_add_f32 v0, v0, v2 :: v_dual_lshlrev_b32 v3, 2, v3
	ds_bpermute_b32 v2, v3, v0
	s_wait_dscnt 0x0
	v_dual_add_f32 v0, v0, v2 :: v_dual_lshlrev_b32 v1, 2, v1
	ds_bpermute_b32 v1, v1, v0
	s_wait_dscnt 0x0
	v_add_f32_e32 v57, v0, v1
	s_cbranch_vccz .LBB43_33
; %bb.31:
	v_add_nc_u32_e32 v0, s31, v40
	global_load_b32 v1, v0, s[12:13] scale_offset
	s_wait_loadcnt 0x0
	v_dual_max_num_f32 v0, v56, v56 :: v_dual_max_num_f32 v2, v1, v1
	s_delay_alu instid0(VALU_DEP_1) | instskip(NEXT) | instid1(VALU_DEP_1)
	v_max_num_f32_e32 v0, v0, v2
	v_sub_f32_e32 v2, v56, v0
	s_delay_alu instid0(VALU_DEP_1) | instskip(NEXT) | instid1(VALU_DEP_1)
	v_mul_f32_e32 v3, 0x3fb8aa3b, v2
	v_fma_f32 v4, 0x3fb8aa3b, v2, -v3
	v_rndne_f32_e32 v5, v3
	s_delay_alu instid0(VALU_DEP_1) | instskip(NEXT) | instid1(VALU_DEP_3)
	v_dual_sub_f32 v3, v3, v5 :: v_dual_sub_f32 v1, v1, v0
	v_fmac_f32_e32 v4, 0x32a5705f, v2
	v_cvt_i32_f32_e32 v5, v5
	v_cmp_ngt_f32_e32 vcc_lo, 0xc2ce8ed0, v2
	s_delay_alu instid0(VALU_DEP_3) | instskip(NEXT) | instid1(VALU_DEP_1)
	v_dual_mul_f32 v6, 0x3fb8aa3b, v1 :: v_dual_add_f32 v3, v3, v4
	v_fma_f32 v7, 0x3fb8aa3b, v1, -v6
	s_delay_alu instid0(VALU_DEP_2) | instskip(SKIP_1) | instid1(VALU_DEP_2)
	v_exp_f32_e32 v3, v3
	v_rndne_f32_e32 v8, v6
	v_fmac_f32_e32 v7, 0x32a5705f, v1
	s_delay_alu instid0(TRANS32_DEP_1) | instskip(NEXT) | instid1(VALU_DEP_3)
	v_ldexp_f32 v3, v3, v5
	v_sub_f32_e32 v4, v6, v8
	v_cvt_i32_f32_e32 v5, v8
	s_delay_alu instid0(VALU_DEP_3) | instskip(SKIP_1) | instid1(VALU_DEP_2)
	v_cndmask_b32_e32 v3, 0, v3, vcc_lo
	v_cmp_nlt_f32_e32 vcc_lo, 0x42b17218, v2
	v_cndmask_b32_e32 v2, 0x7f800000, v3, vcc_lo
	v_add_f32_e32 v4, v4, v7
	v_cmp_ngt_f32_e32 vcc_lo, 0xc2ce8ed0, v1
	s_delay_alu instid0(VALU_DEP_2) | instskip(SKIP_1) | instid1(TRANS32_DEP_1)
	v_exp_f32_e32 v4, v4
	v_nop
	v_ldexp_f32 v3, v4, v5
	v_cvt_f16_f32_e32 v4, v2
	s_delay_alu instid0(VALU_DEP_2) | instskip(SKIP_1) | instid1(VALU_DEP_3)
	v_cndmask_b32_e32 v3, 0, v3, vcc_lo
	v_cmp_nlt_f32_e32 vcc_lo, 0x42b17218, v1
	v_and_b32_e32 v4, 0xffff, v4
	s_delay_alu instid0(VALU_DEP_3) | instskip(NEXT) | instid1(VALU_DEP_2)
	v_cndmask_b32_e32 v1, 0x7f800000, v3, vcc_lo
	v_mul_u32_u24_e32 v3, 0x10001, v4
	s_delay_alu instid0(VALU_DEP_2) | instskip(NEXT) | instid1(VALU_DEP_2)
	v_fmac_f32_e32 v1, v57, v2
	v_pk_mul_f16 v72, v72, v3
	v_pk_mul_f16 v71, v71, v3
	s_delay_alu instid0(VALU_DEP_3) | instskip(SKIP_2) | instid1(VALU_DEP_1)
	v_mov_b64_e32 v[56:57], v[0:1]
	v_add_nc_u32_e32 v0, s33, v60
	s_mov_b32 s3, exec_lo
	v_cmpx_gt_i32_e64 s22, v0
	s_cbranch_execnz .LBB43_34
.LBB43_32:
	s_sendmsg sendmsg(MSG_DEALLOC_VGPRS)
	s_endpgm
.LBB43_33:
	s_delay_alu instid0(VALU_DEP_1) | instskip(SKIP_1) | instid1(VALU_DEP_1)
	v_dual_mov_b32 v1, v57 :: v_dual_add_nc_u32 v0, s33, v60
	s_mov_b32 s3, exec_lo
	v_cmpx_gt_i32_e64 s22, v0
	s_cbranch_execz .LBB43_32
.LBB43_34:
	v_mad_u32 v0, s28, s22, v0
	s_load_b32 s0, s[0:1], 0xd4
	v_add_nc_u32_e32 v2, s31, v40
	s_delay_alu instid0(VALU_DEP_1) | instskip(SKIP_2) | instid1(VALU_DEP_1)
	v_mad_u32 v0, v0, s23, v2
	s_wait_kmcnt 0x0
	s_cmp_lg_u32 s0, 1
	v_mad_u32 v0, s0, v0, s38
	s_cselect_b32 s0, -1, 0
	s_and_saveexec_b32 s1, s2
	s_cbranch_execz .LBB43_36
; %bb.35:
	v_div_scale_f32 v2, null, v1, v1, 1.0
	v_div_scale_f32 v5, vcc_lo, 1.0, v1, 1.0
	v_lshrrev_b32_e32 v7, 16, v71
	s_delay_alu instid0(VALU_DEP_3) | instskip(NEXT) | instid1(VALU_DEP_1)
	v_rcp_f32_e32 v3, v2
	v_cvt_f32_f16_e32 v7, v7
	s_delay_alu instid0(TRANS32_DEP_1) | instskip(NEXT) | instid1(VALU_DEP_1)
	v_fma_f32 v4, -v2, v3, 1.0
	v_fmac_f32_e32 v3, v4, v3
	s_delay_alu instid0(VALU_DEP_1) | instskip(NEXT) | instid1(VALU_DEP_1)
	v_mul_f32_e32 v4, v5, v3
	v_fma_f32 v6, -v2, v4, v5
	s_delay_alu instid0(VALU_DEP_1) | instskip(SKIP_1) | instid1(VALU_DEP_2)
	v_fmac_f32_e32 v4, v6, v3
	v_cvt_f32_f16_e32 v6, v71
	v_dual_fma_f32 v2, -v2, v4, v5 :: v_dual_lshlrev_b32 v5, 2, v51
	s_delay_alu instid0(VALU_DEP_1) | instskip(NEXT) | instid1(VALU_DEP_2)
	v_div_fmas_f32 v4, v2, v3, v4
	v_mad_u32 v2, 0x60, v0, v5
	v_dual_lshrrev_b32 v5, 16, v72 :: v_dual_mov_b32 v3, 0
	s_delay_alu instid0(VALU_DEP_3) | instskip(SKIP_1) | instid1(VALU_DEP_3)
	v_div_fixup_f32 v1, v4, v1, 1.0
	v_cvt_f32_f16_e32 v4, v72
	v_cvt_f32_f16_e32 v5, v5
	s_delay_alu instid0(VALU_DEP_3) | instskip(SKIP_1) | instid1(VALU_DEP_2)
	v_cndmask_b32_e64 v8, v1, 1.0, s0
	v_lshl_add_u64 v[10:11], v[2:3], 2, s[16:17]
	v_pk_mul_f32 v[2:3], v[8:9], v[4:5] op_sel_hi:[0,1]
	v_pk_mul_f32 v[4:5], v[8:9], v[6:7] op_sel_hi:[0,1]
	global_store_b128 v[10:11], v[2:5], off
.LBB43_36:
	s_wait_xcnt 0x0
	s_or_b32 exec_lo, exec_lo, s1
	v_cmp_eq_u32_e32 vcc_lo, 0, v51
	s_and_b32 s0, vcc_lo, s0
	s_delay_alu instid0(SALU_CYCLE_1)
	s_and_b32 exec_lo, exec_lo, s0
	s_cbranch_execz .LBB43_32
; %bb.37:
	global_store_b64 v0, v[56:57], s[18:19] scale_offset
	s_sendmsg sendmsg(MSG_DEALLOC_VGPRS)
	s_endpgm
	.section	.rodata,"a",@progbits
	.p2align	6, 0x0
	.amdhsa_kernel _ZL15flash_attn_tileILi96ELi96ELi4ELi2ELb0EEvPKcS1_S1_S1_S1_PKiPfP15HIP_vector_typeIfLj2EEffffjfiS5_IjLj3EEiiiiiiiiiiiliiliiiiil
		.amdhsa_group_segment_fixed_size 5760
		.amdhsa_private_segment_fixed_size 0
		.amdhsa_kernarg_size 464
		.amdhsa_user_sgpr_count 2
		.amdhsa_user_sgpr_dispatch_ptr 0
		.amdhsa_user_sgpr_queue_ptr 0
		.amdhsa_user_sgpr_kernarg_segment_ptr 1
		.amdhsa_user_sgpr_dispatch_id 0
		.amdhsa_user_sgpr_kernarg_preload_length 0
		.amdhsa_user_sgpr_kernarg_preload_offset 0
		.amdhsa_user_sgpr_private_segment_size 0
		.amdhsa_wavefront_size32 1
		.amdhsa_uses_dynamic_stack 0
		.amdhsa_enable_private_segment 0
		.amdhsa_system_sgpr_workgroup_id_x 1
		.amdhsa_system_sgpr_workgroup_id_y 1
		.amdhsa_system_sgpr_workgroup_id_z 1
		.amdhsa_system_sgpr_workgroup_info 0
		.amdhsa_system_vgpr_workitem_id 1
		.amdhsa_next_free_vgpr 88
		.amdhsa_next_free_sgpr 46
		.amdhsa_named_barrier_count 0
		.amdhsa_reserve_vcc 1
		.amdhsa_float_round_mode_32 0
		.amdhsa_float_round_mode_16_64 0
		.amdhsa_float_denorm_mode_32 3
		.amdhsa_float_denorm_mode_16_64 3
		.amdhsa_fp16_overflow 0
		.amdhsa_memory_ordered 1
		.amdhsa_forward_progress 1
		.amdhsa_inst_pref_size 42
		.amdhsa_round_robin_scheduling 0
		.amdhsa_exception_fp_ieee_invalid_op 0
		.amdhsa_exception_fp_denorm_src 0
		.amdhsa_exception_fp_ieee_div_zero 0
		.amdhsa_exception_fp_ieee_overflow 0
		.amdhsa_exception_fp_ieee_underflow 0
		.amdhsa_exception_fp_ieee_inexact 0
		.amdhsa_exception_int_div_zero 0
	.end_amdhsa_kernel
	.section	.text._ZL15flash_attn_tileILi96ELi96ELi4ELi2ELb0EEvPKcS1_S1_S1_S1_PKiPfP15HIP_vector_typeIfLj2EEffffjfiS5_IjLj3EEiiiiiiiiiiiliiliiiiil,"axG",@progbits,_ZL15flash_attn_tileILi96ELi96ELi4ELi2ELb0EEvPKcS1_S1_S1_S1_PKiPfP15HIP_vector_typeIfLj2EEffffjfiS5_IjLj3EEiiiiiiiiiiiliiliiiiil,comdat
.Lfunc_end43:
	.size	_ZL15flash_attn_tileILi96ELi96ELi4ELi2ELb0EEvPKcS1_S1_S1_S1_PKiPfP15HIP_vector_typeIfLj2EEffffjfiS5_IjLj3EEiiiiiiiiiiiliiliiiiil, .Lfunc_end43-_ZL15flash_attn_tileILi96ELi96ELi4ELi2ELb0EEvPKcS1_S1_S1_S1_PKiPfP15HIP_vector_typeIfLj2EEffffjfiS5_IjLj3EEiiiiiiiiiiiliiliiiiil
                                        ; -- End function
	.set _ZL15flash_attn_tileILi96ELi96ELi4ELi2ELb0EEvPKcS1_S1_S1_S1_PKiPfP15HIP_vector_typeIfLj2EEffffjfiS5_IjLj3EEiiiiiiiiiiiliiliiiiil.num_vgpr, 88
	.set _ZL15flash_attn_tileILi96ELi96ELi4ELi2ELb0EEvPKcS1_S1_S1_S1_PKiPfP15HIP_vector_typeIfLj2EEffffjfiS5_IjLj3EEiiiiiiiiiiiliiliiiiil.num_agpr, 0
	.set _ZL15flash_attn_tileILi96ELi96ELi4ELi2ELb0EEvPKcS1_S1_S1_S1_PKiPfP15HIP_vector_typeIfLj2EEffffjfiS5_IjLj3EEiiiiiiiiiiiliiliiiiil.numbered_sgpr, 46
	.set _ZL15flash_attn_tileILi96ELi96ELi4ELi2ELb0EEvPKcS1_S1_S1_S1_PKiPfP15HIP_vector_typeIfLj2EEffffjfiS5_IjLj3EEiiiiiiiiiiiliiliiiiil.num_named_barrier, 0
	.set _ZL15flash_attn_tileILi96ELi96ELi4ELi2ELb0EEvPKcS1_S1_S1_S1_PKiPfP15HIP_vector_typeIfLj2EEffffjfiS5_IjLj3EEiiiiiiiiiiiliiliiiiil.private_seg_size, 0
	.set _ZL15flash_attn_tileILi96ELi96ELi4ELi2ELb0EEvPKcS1_S1_S1_S1_PKiPfP15HIP_vector_typeIfLj2EEffffjfiS5_IjLj3EEiiiiiiiiiiiliiliiiiil.uses_vcc, 1
	.set _ZL15flash_attn_tileILi96ELi96ELi4ELi2ELb0EEvPKcS1_S1_S1_S1_PKiPfP15HIP_vector_typeIfLj2EEffffjfiS5_IjLj3EEiiiiiiiiiiiliiliiiiil.uses_flat_scratch, 0
	.set _ZL15flash_attn_tileILi96ELi96ELi4ELi2ELb0EEvPKcS1_S1_S1_S1_PKiPfP15HIP_vector_typeIfLj2EEffffjfiS5_IjLj3EEiiiiiiiiiiiliiliiiiil.has_dyn_sized_stack, 0
	.set _ZL15flash_attn_tileILi96ELi96ELi4ELi2ELb0EEvPKcS1_S1_S1_S1_PKiPfP15HIP_vector_typeIfLj2EEffffjfiS5_IjLj3EEiiiiiiiiiiiliiliiiiil.has_recursion, 0
	.set _ZL15flash_attn_tileILi96ELi96ELi4ELi2ELb0EEvPKcS1_S1_S1_S1_PKiPfP15HIP_vector_typeIfLj2EEffffjfiS5_IjLj3EEiiiiiiiiiiiliiliiiiil.has_indirect_call, 0
	.section	.AMDGPU.csdata,"",@progbits
; Kernel info:
; codeLenInByte = 5284
; TotalNumSgprs: 48
; NumVgprs: 88
; ScratchSize: 0
; MemoryBound: 0
; FloatMode: 240
; IeeeMode: 1
; LDSByteSize: 5760 bytes/workgroup (compile time only)
; SGPRBlocks: 0
; VGPRBlocks: 5
; NumSGPRsForWavesPerEU: 48
; NumVGPRsForWavesPerEU: 88
; NamedBarCnt: 0
; Occupancy: 10
; WaveLimiterHint : 1
; COMPUTE_PGM_RSRC2:SCRATCH_EN: 0
; COMPUTE_PGM_RSRC2:USER_SGPR: 2
; COMPUTE_PGM_RSRC2:TRAP_HANDLER: 0
; COMPUTE_PGM_RSRC2:TGID_X_EN: 1
; COMPUTE_PGM_RSRC2:TGID_Y_EN: 1
; COMPUTE_PGM_RSRC2:TGID_Z_EN: 1
; COMPUTE_PGM_RSRC2:TIDIG_COMP_CNT: 1
	.section	.text._ZL33flash_attn_stream_k_fixup_uniformILi96ELi4ELi2EEvPfPK15HIP_vector_typeIfLj2EEiiiiiiS1_IjLj3EES5_S5_,"axG",@progbits,_ZL33flash_attn_stream_k_fixup_uniformILi96ELi4ELi2EEvPfPK15HIP_vector_typeIfLj2EEiiiiiiS1_IjLj3EES5_S5_,comdat
	.globl	_ZL33flash_attn_stream_k_fixup_uniformILi96ELi4ELi2EEvPfPK15HIP_vector_typeIfLj2EEiiiiiiS1_IjLj3EES5_S5_ ; -- Begin function _ZL33flash_attn_stream_k_fixup_uniformILi96ELi4ELi2EEvPfPK15HIP_vector_typeIfLj2EEiiiiiiS1_IjLj3EES5_S5_
	.p2align	8
	.type	_ZL33flash_attn_stream_k_fixup_uniformILi96ELi4ELi2EEvPfPK15HIP_vector_typeIfLj2EEiiiiiiS1_IjLj3EES5_S5_,@function
_ZL33flash_attn_stream_k_fixup_uniformILi96ELi4ELi2EEvPfPK15HIP_vector_typeIfLj2EEiiiiiiS1_IjLj3EES5_S5_: ; @_ZL33flash_attn_stream_k_fixup_uniformILi96ELi4ELi2EEvPfPK15HIP_vector_typeIfLj2EEiiiiiiS1_IjLj3EES5_S5_
; %bb.0:
	s_load_b256 s[4:11], s[0:1], 0x1c
	s_bfe_u32 s2, ttmp6, 0x40014
	s_lshr_b32 s3, ttmp7, 16
	s_add_co_i32 s2, s2, 1
	s_bfe_u32 s13, ttmp6, 0x40010
	s_mul_i32 s2, s3, s2
	s_bfe_u32 s12, ttmp6, 0x40008
	s_and_b32 s15, ttmp7, 0xffff
	s_add_co_i32 s13, s13, 1
	s_bfe_u32 s14, ttmp6, 0x4000c
	s_add_co_i32 s2, s12, s2
	s_mul_i32 s12, s15, s13
	s_bfe_u32 s13, ttmp6, 0x40004
	s_add_co_i32 s14, s14, 1
	s_add_co_i32 s13, s13, s12
	s_and_b32 s12, ttmp6, 15
	s_mul_i32 s14, ttmp9, s14
	s_getreg_b32 s20, hwreg(HW_REG_IB_STS2, 6, 4)
	s_add_co_i32 s12, s12, s14
	s_load_b128 s[16:19], s[0:1], 0x3c
	s_cmp_eq_u32 s20, 0
	s_cselect_b32 s14, ttmp9, s12
	s_cselect_b32 s12, s15, s13
	s_wait_kmcnt 0x0
	s_mul_hi_u32 s7, s7, s14
	s_cselect_b32 s13, s3, s2
	s_add_co_i32 s2, s14, s7
	s_delay_alu instid0(SALU_CYCLE_1) | instskip(NEXT) | instid1(SALU_CYCLE_1)
	s_lshr_b32 s7, s2, s8
	s_mul_i32 s2, s7, s9
	s_delay_alu instid0(SALU_CYCLE_1) | instskip(NEXT) | instid1(SALU_CYCLE_1)
	s_sub_co_i32 s8, s14, s2
	s_mul_hi_u32 s2, s8, s10
	s_delay_alu instid0(SALU_CYCLE_1) | instskip(SKIP_2) | instid1(SALU_CYCLE_1)
	s_add_co_i32 s9, s8, s2
	s_load_b64 s[2:3], s[0:1], 0x10
	s_lshr_b32 s15, s9, s11
	s_mul_i32 s9, s15, s16
	s_delay_alu instid0(SALU_CYCLE_1) | instskip(NEXT) | instid1(SALU_CYCLE_1)
	s_sub_co_i32 s8, s8, s9
	s_mul_hi_u32 s9, s8, s17
	s_delay_alu instid0(SALU_CYCLE_1) | instskip(NEXT) | instid1(SALU_CYCLE_1)
	s_add_co_i32 s9, s8, s9
	s_lshr_b32 s9, s9, s18
	s_delay_alu instid0(SALU_CYCLE_1) | instskip(SKIP_2) | instid1(SALU_CYCLE_1)
	s_mul_i32 s10, s9, s19
	s_lshl_b32 s17, s9, 1
	s_sub_co_i32 s16, s8, s10
	s_lshl_b32 s8, s16, 2
	s_delay_alu instid0(SALU_CYCLE_1) | instskip(SKIP_4) | instid1(SALU_CYCLE_1)
	s_add_co_i32 s8, s8, s12
	s_wait_kmcnt 0x0
	s_cmp_lt_i32 s8, s2
	s_cselect_b32 s8, -1, 0
	s_add_co_i32 s17, s17, s13
	s_cmp_lt_i32 s17, s5
	s_cselect_b32 s9, -1, 0
	s_delay_alu instid0(SALU_CYCLE_1) | instskip(NEXT) | instid1(SALU_CYCLE_1)
	s_and_b32 s8, s8, s9
	s_and_not1_b32 vcc_lo, exec_lo, s8
	s_cbranch_vccnz .LBB44_6
; %bb.1:
	s_load_b128 s[8:11], s[0:1], 0x0
	s_wait_xcnt 0x0
	s_mul_i32 s0, s7, s2
	s_mul_i32 s15, s15, s5
	s_add_co_i32 s0, s0, s12
	s_add_co_i32 s1, s17, s15
	s_mul_i32 s0, s0, s3
	s_mul_i32 s2, s3, s16
	s_add_co_i32 s0, s1, s0
	s_mulk_i32 s2, 0x180
	s_mulk_i32 s0, 0x60
	s_mul_i32 s7, s6, s14
	v_add3_u32 v4, s0, s2, v0
	s_lshl_b32 s5, s12, 1
	s_add_co_i32 s15, s7, s6
	s_add_co_i32 s0, s5, s13
	s_lshl_b32 s1, s15, 3
	v_ashrrev_i32_e32 v5, 31, v4
	s_add_co_i32 s0, s0, s1
	s_add_co_i32 s2, s15, -2
	s_add_co_i32 s0, s0, -8
	s_wait_kmcnt 0x0
	global_load_b32 v3, v4, s[8:9] scale_offset
	s_ashr_i32 s1, s0, 31
	s_delay_alu instid0(SALU_CYCLE_1)
	s_lshl_b64 s[0:1], s[0:1], 3
	s_cmp_lt_i32 s2, s7
	s_add_nc_u64 s[0:1], s[10:11], s[0:1]
	s_load_b32 s16, s[0:1], 0x4
	s_cbranch_scc1 .LBB44_4
; %bb.2:
	s_wait_xcnt 0x0
	s_load_b32 s0, s[0:1], 0x0
	s_add_co_i32 s14, s14, 1
	s_mulk_i32 s12, 0xc0
	s_wait_xcnt 0x0
	s_mul_i32 s1, s6, s14
	s_lshl_b32 s2, s4, 5
	s_lshl_b32 s6, s1, 3
	s_mulk_i32 s1, 0x300
	s_add_co_i32 s6, s13, s6
	s_mulk_i32 s13, 0x60
	s_lshl_b32 s4, s4, 3
	s_add_co_i32 s12, s13, s12
	s_ashr_i32 s3, s2, 31
	s_add_co_i32 s12, s12, s1
	s_add_co_i32 s1, s6, s4
	v_add3_u32 v0, s12, v0, 0xfffffa00
	s_wait_kmcnt 0x0
	v_mov_b32_e32 v2, s16
	s_lshl_b64 s[2:3], s[2:3], 2
	s_add_co_i32 s4, s1, s5
	s_add_nc_u64 s[2:3], s[10:11], s[2:3]
	s_add_co_i32 s1, s15, -1
	s_add_co_i32 s4, s4, -16
.LBB44_3:                               ; =>This Inner Loop Header: Depth=1
	global_load_b32 v7, v0, s[2:3] scale_offset
	s_ashr_i32 s5, s4, 31
	v_max_num_f32_e64 v1, s0, s0
	s_lshl_b64 s[12:13], s[4:5], 3
	s_delay_alu instid0(SALU_CYCLE_1) | instskip(SKIP_1) | instid1(VALU_DEP_1)
	s_add_nc_u64 s[12:13], s[10:11], s[12:13]
	s_load_b64 s[12:13], s[12:13], 0x0
	v_readfirstlane_b32 s5, v1
	v_add_nc_u32_e32 v0, 0xfffffd00, v0
	s_wait_kmcnt 0x0
	v_max_num_f32_e64 v1, s12, s12
	s_delay_alu instid0(VALU_DEP_1) | instskip(SKIP_1) | instid1(SALU_CYCLE_3)
	v_readfirstlane_b32 s6, v1
	s_max_num_f32 s5, s5, s6
	s_sub_f32 s0, s0, s5
	s_sub_f32 s6, s12, s5
	s_delay_alu instid0(SALU_CYCLE_2) | instskip(NEXT) | instid1(SALU_CYCLE_2)
	s_mul_f32 s12, s0, 0x3fb8aa3b
	s_mul_f32 s14, s6, 0x3fb8aa3b
	s_delay_alu instid0(SALU_CYCLE_2)
	s_xor_b32 s15, s12, 0x80000000
	s_rndne_f32 s16, s12
	s_fmamk_f32 s15, s0, 0x3fb8aa3b, s15
	s_cmp_nlt_f32 s0, 0xc2ce8ed0
	s_rndne_f32 s17, s14
	s_sub_f32 s12, s12, s16
	s_fmamk_f32 s15, s0, 0x32a5705f, s15
	s_cselect_b32 vcc_lo, -1, 0
	s_cmp_ngt_f32 s0, 0x42b17218
	s_delay_alu instid0(SALU_CYCLE_1) | instskip(SKIP_2) | instid1(SALU_CYCLE_1)
	s_add_f32 s12, s12, s15
	s_cvt_i32_f32 s15, s16
	s_sub_f32 s16, s14, s17
	v_s_exp_f32 s12, s12
	v_nop
	s_delay_alu instid0(TRANS32_DEP_1) | instskip(SKIP_1) | instid1(VALU_DEP_1)
	v_ldexp_f32 v1, s12, s15
	s_cvt_i32_f32 s12, s17
	v_cndmask_b32_e32 v1, 0, v1, vcc_lo
	s_cselect_b32 vcc_lo, -1, 0
	s_cmp_ge_f32 s0, 0xc1a00000
	s_delay_alu instid0(VALU_DEP_1)
	v_cndmask_b32_e32 v1, 0x7f800000, v1, vcc_lo
	s_cselect_b32 vcc_lo, -1, 0
	s_xor_b32 s0, s14, 0x80000000
	s_cmp_nlt_f32 s6, 0xc2ce8ed0
	s_fmamk_f32 s0, s6, 0x3fb8aa3b, s0
	v_cndmask_b32_e32 v10, 0, v1, vcc_lo
	s_delay_alu instid0(SALU_CYCLE_2) | instskip(NEXT) | instid1(SALU_CYCLE_3)
	s_fmamk_f32 s0, s6, 0x32a5705f, s0
	s_add_f32 s0, s16, s0
	s_delay_alu instid0(SALU_CYCLE_3) | instskip(SKIP_1) | instid1(TRANS32_DEP_1)
	v_s_exp_f32 s0, s0
	v_nop
	v_ldexp_f32 v6, s0, s12
	s_cselect_b32 s0, -1, 0
	s_cmp_ngt_f32 s6, 0x42b17218
	s_delay_alu instid0(VALU_DEP_1) | instskip(SKIP_2) | instid1(VALU_DEP_1)
	v_cndmask_b32_e64 v6, 0, v6, s0
	s_cselect_b32 s0, -1, 0
	s_cmp_ge_f32 s6, 0xc1a00000
	v_cndmask_b32_e64 v8, 0x7f800000, v6, s0
	s_cselect_b32 s0, -1, 0
	v_mov_b32_e32 v6, s13
	s_add_co_i32 s1, s1, -1
	s_add_co_i32 s4, s4, -8
	v_cndmask_b32_e64 v8, 0, v8, s0
	s_cmp_le_i32 s1, s7
	s_mov_b32 s0, s5
	s_wait_loadcnt 0x0
	s_delay_alu instid0(VALU_DEP_1) | instskip(NEXT) | instid1(VALU_DEP_1)
	v_pk_mul_f32 v[6:7], v[6:7], v[8:9] op_sel_hi:[1,0]
	v_pk_fma_f32 v[2:3], v[2:3], v[10:11], v[6:7] op_sel_hi:[1,0,1]
	s_cbranch_scc0 .LBB44_3
	s_branch .LBB44_5
.LBB44_4:
	s_wait_kmcnt 0x0
	v_mov_b32_e32 v2, s16
.LBB44_5:
	v_lshl_add_u64 v[0:1], v[4:5], 2, s[8:9]
	s_wait_loadcnt 0x0
	s_delay_alu instid0(VALU_DEP_2) | instskip(NEXT) | instid1(VALU_DEP_1)
	v_div_scale_f32 v4, null, v2, v2, v3
	v_rcp_f32_e32 v5, v4
	v_nop
	s_delay_alu instid0(TRANS32_DEP_1) | instskip(NEXT) | instid1(VALU_DEP_1)
	v_fma_f32 v6, -v4, v5, 1.0
	v_fmac_f32_e32 v5, v6, v5
	v_div_scale_f32 v6, vcc_lo, v3, v2, v3
	s_delay_alu instid0(VALU_DEP_1) | instskip(NEXT) | instid1(VALU_DEP_1)
	v_mul_f32_e32 v7, v6, v5
	v_fma_f32 v8, -v4, v7, v6
	s_delay_alu instid0(VALU_DEP_1) | instskip(NEXT) | instid1(VALU_DEP_1)
	v_fmac_f32_e32 v7, v8, v5
	v_fma_f32 v4, -v4, v7, v6
	s_delay_alu instid0(VALU_DEP_1) | instskip(NEXT) | instid1(VALU_DEP_1)
	v_div_fmas_f32 v4, v4, v5, v7
	v_div_fixup_f32 v2, v4, v2, v3
	global_store_b32 v[0:1], v2, off
.LBB44_6:
	s_endpgm
	.section	.rodata,"a",@progbits
	.p2align	6, 0x0
	.amdhsa_kernel _ZL33flash_attn_stream_k_fixup_uniformILi96ELi4ELi2EEvPfPK15HIP_vector_typeIfLj2EEiiiiiiS1_IjLj3EES5_S5_
		.amdhsa_group_segment_fixed_size 0
		.amdhsa_private_segment_fixed_size 0
		.amdhsa_kernarg_size 76
		.amdhsa_user_sgpr_count 2
		.amdhsa_user_sgpr_dispatch_ptr 0
		.amdhsa_user_sgpr_queue_ptr 0
		.amdhsa_user_sgpr_kernarg_segment_ptr 1
		.amdhsa_user_sgpr_dispatch_id 0
		.amdhsa_user_sgpr_kernarg_preload_length 0
		.amdhsa_user_sgpr_kernarg_preload_offset 0
		.amdhsa_user_sgpr_private_segment_size 0
		.amdhsa_wavefront_size32 1
		.amdhsa_uses_dynamic_stack 0
		.amdhsa_enable_private_segment 0
		.amdhsa_system_sgpr_workgroup_id_x 1
		.amdhsa_system_sgpr_workgroup_id_y 1
		.amdhsa_system_sgpr_workgroup_id_z 1
		.amdhsa_system_sgpr_workgroup_info 0
		.amdhsa_system_vgpr_workitem_id 0
		.amdhsa_next_free_vgpr 12
		.amdhsa_next_free_sgpr 21
		.amdhsa_named_barrier_count 0
		.amdhsa_reserve_vcc 1
		.amdhsa_float_round_mode_32 0
		.amdhsa_float_round_mode_16_64 0
		.amdhsa_float_denorm_mode_32 3
		.amdhsa_float_denorm_mode_16_64 3
		.amdhsa_fp16_overflow 0
		.amdhsa_memory_ordered 1
		.amdhsa_forward_progress 1
		.amdhsa_inst_pref_size 9
		.amdhsa_round_robin_scheduling 0
		.amdhsa_exception_fp_ieee_invalid_op 0
		.amdhsa_exception_fp_denorm_src 0
		.amdhsa_exception_fp_ieee_div_zero 0
		.amdhsa_exception_fp_ieee_overflow 0
		.amdhsa_exception_fp_ieee_underflow 0
		.amdhsa_exception_fp_ieee_inexact 0
		.amdhsa_exception_int_div_zero 0
	.end_amdhsa_kernel
	.section	.text._ZL33flash_attn_stream_k_fixup_uniformILi96ELi4ELi2EEvPfPK15HIP_vector_typeIfLj2EEiiiiiiS1_IjLj3EES5_S5_,"axG",@progbits,_ZL33flash_attn_stream_k_fixup_uniformILi96ELi4ELi2EEvPfPK15HIP_vector_typeIfLj2EEiiiiiiS1_IjLj3EES5_S5_,comdat
.Lfunc_end44:
	.size	_ZL33flash_attn_stream_k_fixup_uniformILi96ELi4ELi2EEvPfPK15HIP_vector_typeIfLj2EEiiiiiiS1_IjLj3EES5_S5_, .Lfunc_end44-_ZL33flash_attn_stream_k_fixup_uniformILi96ELi4ELi2EEvPfPK15HIP_vector_typeIfLj2EEiiiiiiS1_IjLj3EES5_S5_
                                        ; -- End function
	.set _ZL33flash_attn_stream_k_fixup_uniformILi96ELi4ELi2EEvPfPK15HIP_vector_typeIfLj2EEiiiiiiS1_IjLj3EES5_S5_.num_vgpr, 12
	.set _ZL33flash_attn_stream_k_fixup_uniformILi96ELi4ELi2EEvPfPK15HIP_vector_typeIfLj2EEiiiiiiS1_IjLj3EES5_S5_.num_agpr, 0
	.set _ZL33flash_attn_stream_k_fixup_uniformILi96ELi4ELi2EEvPfPK15HIP_vector_typeIfLj2EEiiiiiiS1_IjLj3EES5_S5_.numbered_sgpr, 21
	.set _ZL33flash_attn_stream_k_fixup_uniformILi96ELi4ELi2EEvPfPK15HIP_vector_typeIfLj2EEiiiiiiS1_IjLj3EES5_S5_.num_named_barrier, 0
	.set _ZL33flash_attn_stream_k_fixup_uniformILi96ELi4ELi2EEvPfPK15HIP_vector_typeIfLj2EEiiiiiiS1_IjLj3EES5_S5_.private_seg_size, 0
	.set _ZL33flash_attn_stream_k_fixup_uniformILi96ELi4ELi2EEvPfPK15HIP_vector_typeIfLj2EEiiiiiiS1_IjLj3EES5_S5_.uses_vcc, 1
	.set _ZL33flash_attn_stream_k_fixup_uniformILi96ELi4ELi2EEvPfPK15HIP_vector_typeIfLj2EEiiiiiiS1_IjLj3EES5_S5_.uses_flat_scratch, 0
	.set _ZL33flash_attn_stream_k_fixup_uniformILi96ELi4ELi2EEvPfPK15HIP_vector_typeIfLj2EEiiiiiiS1_IjLj3EES5_S5_.has_dyn_sized_stack, 0
	.set _ZL33flash_attn_stream_k_fixup_uniformILi96ELi4ELi2EEvPfPK15HIP_vector_typeIfLj2EEiiiiiiS1_IjLj3EES5_S5_.has_recursion, 0
	.set _ZL33flash_attn_stream_k_fixup_uniformILi96ELi4ELi2EEvPfPK15HIP_vector_typeIfLj2EEiiiiiiS1_IjLj3EES5_S5_.has_indirect_call, 0
	.section	.AMDGPU.csdata,"",@progbits
; Kernel info:
; codeLenInByte = 1084
; TotalNumSgprs: 23
; NumVgprs: 12
; ScratchSize: 0
; MemoryBound: 0
; FloatMode: 240
; IeeeMode: 1
; LDSByteSize: 0 bytes/workgroup (compile time only)
; SGPRBlocks: 0
; VGPRBlocks: 0
; NumSGPRsForWavesPerEU: 23
; NumVGPRsForWavesPerEU: 12
; NamedBarCnt: 0
; Occupancy: 16
; WaveLimiterHint : 0
; COMPUTE_PGM_RSRC2:SCRATCH_EN: 0
; COMPUTE_PGM_RSRC2:USER_SGPR: 2
; COMPUTE_PGM_RSRC2:TRAP_HANDLER: 0
; COMPUTE_PGM_RSRC2:TGID_X_EN: 1
; COMPUTE_PGM_RSRC2:TGID_Y_EN: 1
; COMPUTE_PGM_RSRC2:TGID_Z_EN: 1
; COMPUTE_PGM_RSRC2:TIDIG_COMP_CNT: 0
	.section	.text._ZL33flash_attn_stream_k_fixup_generalILi96ELi4ELi2EEvPfPK15HIP_vector_typeIfLj2EEiiiiS1_IjLj3EES5_S5_S5_,"axG",@progbits,_ZL33flash_attn_stream_k_fixup_generalILi96ELi4ELi2EEvPfPK15HIP_vector_typeIfLj2EEiiiiS1_IjLj3EES5_S5_S5_,comdat
	.globl	_ZL33flash_attn_stream_k_fixup_generalILi96ELi4ELi2EEvPfPK15HIP_vector_typeIfLj2EEiiiiS1_IjLj3EES5_S5_S5_ ; -- Begin function _ZL33flash_attn_stream_k_fixup_generalILi96ELi4ELi2EEvPfPK15HIP_vector_typeIfLj2EEiiiiS1_IjLj3EES5_S5_S5_
	.p2align	8
	.type	_ZL33flash_attn_stream_k_fixup_generalILi96ELi4ELi2EEvPfPK15HIP_vector_typeIfLj2EEiiiiS1_IjLj3EES5_S5_S5_,@function
_ZL33flash_attn_stream_k_fixup_generalILi96ELi4ELi2EEvPfPK15HIP_vector_typeIfLj2EEiiiiS1_IjLj3EES5_S5_S5_: ; @_ZL33flash_attn_stream_k_fixup_generalILi96ELi4ELi2EEvPfPK15HIP_vector_typeIfLj2EEiiiiS1_IjLj3EES5_S5_S5_
; %bb.0:
	s_clause 0x1
	s_load_b128 s[4:7], s[0:1], 0x10
	s_load_b32 s16, s[0:1], 0x50
	s_bfe_u32 s2, ttmp6, 0x4000c
	s_and_b32 s3, ttmp6, 15
	s_add_co_i32 s2, s2, 1
	s_getreg_b32 s15, hwreg(HW_REG_IB_STS2, 6, 4)
	s_mul_i32 s2, ttmp9, s2
	s_mov_b32 s17, 0
	s_add_co_i32 s3, s3, s2
	s_cmp_eq_u32 s15, 0
	s_cselect_b32 s2, ttmp9, s3
	s_delay_alu instid0(SALU_CYCLE_1) | instskip(SKIP_3) | instid1(SALU_CYCLE_1)
	s_ashr_i32 s3, s2, 31
	s_wait_kmcnt 0x0
	s_ashr_i32 s19, s7, 31
	s_mov_b32 s18, s7
	s_mul_u64 s[8:9], s[18:19], s[2:3]
	s_delay_alu instid0(SALU_CYCLE_1) | instskip(NEXT) | instid1(SALU_CYCLE_1)
	s_and_b64 s[10:11], s[8:9], 0xffffffff00000000
	s_cmp_lg_u64 s[10:11], 0
	s_cbranch_scc0 .LBB45_21
; %bb.1:
	s_add_nc_u64 s[10:11], s[16:17], 0
	s_mov_b32 s23, s17
	s_xor_b64 s[10:11], s[10:11], 0
	s_mov_b32 s27, s17
	s_cvt_f32_u32 s3, s10
	s_cvt_f32_u32 s7, s11
	s_sub_nc_u64 s[20:21], 0, s[10:11]
	s_delay_alu instid0(SALU_CYCLE_2) | instskip(NEXT) | instid1(SALU_CYCLE_3)
	s_fmamk_f32 s3, s7, 0x4f800000, s3
	v_s_rcp_f32 s3, s3
	s_delay_alu instid0(TRANS32_DEP_1) | instskip(NEXT) | instid1(SALU_CYCLE_3)
	s_mul_f32 s3, s3, 0x5f7ffffc
	s_mul_f32 s7, s3, 0x2f800000
	s_delay_alu instid0(SALU_CYCLE_3) | instskip(NEXT) | instid1(SALU_CYCLE_3)
	s_trunc_f32 s7, s7
	s_fmamk_f32 s3, s7, 0xcf800000, s3
	s_cvt_u32_f32 s13, s7
	s_delay_alu instid0(SALU_CYCLE_2) | instskip(NEXT) | instid1(SALU_CYCLE_3)
	s_cvt_u32_f32 s12, s3
	s_mul_u64 s[24:25], s[20:21], s[12:13]
	s_delay_alu instid0(SALU_CYCLE_1)
	s_mul_hi_u32 s29, s12, s25
	s_mul_i32 s28, s12, s25
	s_mul_hi_u32 s22, s12, s24
	s_mul_i32 s7, s13, s24
	s_add_nc_u64 s[22:23], s[22:23], s[28:29]
	s_mul_hi_u32 s3, s13, s24
	s_mul_hi_u32 s14, s13, s25
	s_add_co_u32 s7, s22, s7
	s_add_co_ci_u32 s26, s23, s3
	s_mul_i32 s24, s13, s25
	s_add_co_ci_u32 s25, s14, 0
	s_delay_alu instid0(SALU_CYCLE_1) | instskip(SKIP_3) | instid1(SALU_CYCLE_1)
	s_add_nc_u64 s[22:23], s[26:27], s[24:25]
	s_mov_b32 s25, s17
	s_add_co_u32 s12, s12, s22
	s_cselect_b32 s3, -1, 0
	s_cmp_lg_u32 s3, 0
	s_add_co_ci_u32 s13, s13, s23
	s_mov_b32 s23, s17
	s_mul_u64 s[20:21], s[20:21], s[12:13]
	s_delay_alu instid0(SALU_CYCLE_1)
	s_mul_hi_u32 s27, s12, s21
	s_mul_i32 s26, s12, s21
	s_mul_hi_u32 s22, s12, s20
	s_mul_i32 s7, s13, s20
	s_add_nc_u64 s[22:23], s[22:23], s[26:27]
	s_mul_hi_u32 s3, s13, s20
	s_mul_hi_u32 s14, s13, s21
	s_add_co_u32 s7, s22, s7
	s_add_co_ci_u32 s24, s23, s3
	s_mul_i32 s20, s13, s21
	s_add_co_ci_u32 s21, s14, 0
	s_mov_b32 s23, s17
	s_add_nc_u64 s[20:21], s[24:25], s[20:21]
	s_delay_alu instid0(SALU_CYCLE_1) | instskip(SKIP_1) | instid1(SALU_CYCLE_1)
	s_add_co_u32 s3, s12, s20
	s_cselect_b32 s7, -1, 0
	s_cmp_lg_u32 s7, 0
	s_add_co_ci_u32 s7, s13, s21
	s_ashr_i32 s12, s9, 31
	s_delay_alu instid0(SALU_CYCLE_1) | instskip(NEXT) | instid1(SALU_CYCLE_1)
	s_mov_b32 s13, s12
	s_add_nc_u64 s[20:21], s[8:9], s[12:13]
	s_delay_alu instid0(SALU_CYCLE_1) | instskip(NEXT) | instid1(SALU_CYCLE_1)
	s_xor_b64 s[20:21], s[20:21], s[12:13]
	s_mul_hi_u32 s27, s20, s7
	s_mul_i32 s26, s20, s7
	s_mul_hi_u32 s22, s20, s3
	s_mul_hi_u32 s14, s21, s3
	s_mul_i32 s3, s21, s3
	s_add_nc_u64 s[22:23], s[22:23], s[26:27]
	s_mul_hi_u32 s9, s21, s7
	s_add_co_u32 s3, s22, s3
	s_add_co_ci_u32 s24, s23, s14
	s_mul_i32 s26, s21, s7
	s_add_co_ci_u32 s27, s9, 0
	s_delay_alu instid0(SALU_CYCLE_1) | instskip(NEXT) | instid1(SALU_CYCLE_1)
	s_add_nc_u64 s[22:23], s[24:25], s[26:27]
	s_and_b64 s[24:25], s[22:23], 0xffffffff00000000
	s_delay_alu instid0(SALU_CYCLE_1) | instskip(NEXT) | instid1(SALU_CYCLE_1)
	s_or_b32 s24, s24, s22
	s_mul_u64 s[22:23], s[10:11], s[24:25]
	s_add_nc_u64 s[26:27], s[24:25], 1
	s_sub_co_u32 s3, s20, s22
	s_cselect_b32 s7, -1, 0
	s_sub_co_i32 s9, s21, s23
	s_cmp_lg_u32 s7, 0
	s_add_nc_u64 s[28:29], s[24:25], 2
	s_sub_co_ci_u32 s9, s9, s11
	s_sub_co_u32 s14, s3, s10
	s_cselect_b32 s20, -1, 0
	s_delay_alu instid0(SALU_CYCLE_1) | instskip(SKIP_1) | instid1(SALU_CYCLE_1)
	s_cmp_lg_u32 s20, 0
	s_sub_co_ci_u32 s9, s9, 0
	s_cmp_ge_u32 s9, s11
	s_cselect_b32 s20, -1, 0
	s_cmp_ge_u32 s14, s10
	s_cselect_b32 s14, -1, 0
	s_cmp_eq_u32 s9, s11
	s_cselect_b32 s9, s14, s20
	s_delay_alu instid0(SALU_CYCLE_1) | instskip(SKIP_4) | instid1(SALU_CYCLE_1)
	s_cmp_lg_u32 s9, 0
	s_cselect_b32 s9, s28, s26
	s_cselect_b32 s14, s29, s27
	s_cmp_lg_u32 s7, 0
	s_sub_co_ci_u32 s7, s21, s23
	s_cmp_ge_u32 s7, s11
	s_cselect_b32 s20, -1, 0
	s_cmp_ge_u32 s3, s10
	s_cselect_b32 s3, -1, 0
	s_cmp_eq_u32 s7, s11
	s_cselect_b32 s3, s3, s20
	s_delay_alu instid0(SALU_CYCLE_1) | instskip(SKIP_4) | instid1(SALU_CYCLE_1)
	s_cmp_lg_u32 s3, 0
	s_mov_b32 s3, s17
	s_cselect_b32 s11, s14, s25
	s_cselect_b32 s10, s9, s24
	s_xor_b64 s[12:13], s[12:13], 0
	s_xor_b64 s[10:11], s[10:11], s[12:13]
	s_delay_alu instid0(SALU_CYCLE_1)
	s_sub_nc_u64 s[20:21], s[10:11], s[12:13]
	s_and_not1_b32 vcc_lo, exec_lo, s3
	s_cbranch_vccnz .LBB45_3
.LBB45_2:
	v_cvt_f32_u32_e32 v1, s16
	s_sub_co_i32 s7, 0, s16
	s_mov_b32 s21, 0
	s_delay_alu instid0(VALU_DEP_1) | instskip(SKIP_1) | instid1(TRANS32_DEP_1)
	v_rcp_iflag_f32_e32 v1, v1
	v_nop
	v_mul_f32_e32 v1, 0x4f7ffffe, v1
	s_delay_alu instid0(VALU_DEP_1) | instskip(NEXT) | instid1(VALU_DEP_1)
	v_cvt_u32_f32_e32 v1, v1
	v_readfirstlane_b32 s3, v1
	s_mul_i32 s7, s7, s3
	s_delay_alu instid0(SALU_CYCLE_1) | instskip(NEXT) | instid1(SALU_CYCLE_1)
	s_mul_hi_u32 s7, s3, s7
	s_add_co_i32 s3, s3, s7
	s_delay_alu instid0(SALU_CYCLE_1) | instskip(NEXT) | instid1(SALU_CYCLE_1)
	s_mul_hi_u32 s3, s8, s3
	s_mul_i32 s7, s3, s16
	s_delay_alu instid0(SALU_CYCLE_1)
	s_sub_co_i32 s7, s8, s7
	s_add_co_i32 s8, s3, 1
	s_sub_co_i32 s9, s7, s16
	s_cmp_ge_u32 s7, s16
	s_cselect_b32 s3, s8, s3
	s_cselect_b32 s7, s9, s7
	s_add_co_i32 s8, s3, 1
	s_cmp_ge_u32 s7, s16
	s_cselect_b32 s20, s8, s3
.LBB45_3:
	s_add_co_i32 s8, s2, 1
	s_delay_alu instid0(SALU_CYCLE_1) | instskip(NEXT) | instid1(SALU_CYCLE_1)
	s_ashr_i32 s9, s8, 31
	s_mul_u64 s[8:9], s[18:19], s[8:9]
	s_delay_alu instid0(SALU_CYCLE_1) | instskip(NEXT) | instid1(SALU_CYCLE_1)
	s_and_b64 s[10:11], s[8:9], 0xffffffff00000000
	s_cmp_lg_u64 s[10:11], 0
	s_cbranch_scc0 .LBB45_22
; %bb.4:
	s_add_nc_u64 s[10:11], s[16:17], 0
	s_delay_alu instid0(SALU_CYCLE_1) | instskip(SKIP_4) | instid1(SALU_CYCLE_2)
	s_xor_b64 s[12:13], s[10:11], 0
	s_mov_b32 s11, 0
	s_cvt_f32_u32 s3, s12
	s_cvt_f32_u32 s7, s13
	s_sub_nc_u64 s[24:25], 0, s[12:13]
	s_fmamk_f32 s3, s7, 0x4f800000, s3
	s_delay_alu instid0(SALU_CYCLE_3) | instskip(NEXT) | instid1(TRANS32_DEP_1)
	v_s_rcp_f32 s3, s3
	s_mul_f32 s3, s3, 0x5f7ffffc
	s_delay_alu instid0(SALU_CYCLE_3) | instskip(NEXT) | instid1(SALU_CYCLE_3)
	s_mul_f32 s7, s3, 0x2f800000
	s_trunc_f32 s7, s7
	s_delay_alu instid0(SALU_CYCLE_3) | instskip(SKIP_1) | instid1(SALU_CYCLE_2)
	s_fmamk_f32 s3, s7, 0xcf800000, s3
	s_cvt_u32_f32 s23, s7
	s_cvt_u32_f32 s22, s3
	s_delay_alu instid0(SALU_CYCLE_3) | instskip(NEXT) | instid1(SALU_CYCLE_1)
	s_mul_u64 s[26:27], s[24:25], s[22:23]
	s_mul_hi_u32 s29, s22, s27
	s_mul_i32 s28, s22, s27
	s_mul_hi_u32 s10, s22, s26
	s_mul_i32 s7, s23, s26
	s_add_nc_u64 s[28:29], s[10:11], s[28:29]
	s_mul_hi_u32 s3, s23, s26
	s_mul_hi_u32 s14, s23, s27
	s_add_co_u32 s7, s28, s7
	s_add_co_ci_u32 s10, s29, s3
	s_mul_i32 s26, s23, s27
	s_add_co_ci_u32 s27, s14, 0
	s_delay_alu instid0(SALU_CYCLE_1) | instskip(NEXT) | instid1(SALU_CYCLE_1)
	s_add_nc_u64 s[26:27], s[10:11], s[26:27]
	s_add_co_u32 s22, s22, s26
	s_cselect_b32 s3, -1, 0
	s_delay_alu instid0(SALU_CYCLE_1) | instskip(SKIP_1) | instid1(SALU_CYCLE_1)
	s_cmp_lg_u32 s3, 0
	s_add_co_ci_u32 s23, s23, s27
	s_mul_u64 s[24:25], s[24:25], s[22:23]
	s_delay_alu instid0(SALU_CYCLE_1)
	s_mul_hi_u32 s27, s22, s25
	s_mul_i32 s26, s22, s25
	s_mul_hi_u32 s10, s22, s24
	s_mul_i32 s7, s23, s24
	s_add_nc_u64 s[26:27], s[10:11], s[26:27]
	s_mul_hi_u32 s3, s23, s24
	s_mul_hi_u32 s14, s23, s25
	s_add_co_u32 s7, s26, s7
	s_add_co_ci_u32 s10, s27, s3
	s_mul_i32 s24, s23, s25
	s_add_co_ci_u32 s25, s14, 0
	s_delay_alu instid0(SALU_CYCLE_1) | instskip(NEXT) | instid1(SALU_CYCLE_1)
	s_add_nc_u64 s[24:25], s[10:11], s[24:25]
	s_add_co_u32 s3, s22, s24
	s_cselect_b32 s7, -1, 0
	s_delay_alu instid0(SALU_CYCLE_1) | instskip(SKIP_2) | instid1(SALU_CYCLE_1)
	s_cmp_lg_u32 s7, 0
	s_add_co_ci_u32 s7, s23, s25
	s_ashr_i32 s22, s9, 31
	s_mov_b32 s23, s22
	s_delay_alu instid0(SALU_CYCLE_1) | instskip(NEXT) | instid1(SALU_CYCLE_1)
	s_add_nc_u64 s[24:25], s[8:9], s[22:23]
	s_xor_b64 s[24:25], s[24:25], s[22:23]
	s_delay_alu instid0(SALU_CYCLE_1)
	s_mul_hi_u32 s27, s24, s7
	s_mul_i32 s26, s24, s7
	s_mul_hi_u32 s10, s24, s3
	s_mul_hi_u32 s14, s25, s3
	s_mul_i32 s3, s25, s3
	s_add_nc_u64 s[26:27], s[10:11], s[26:27]
	s_mul_hi_u32 s9, s25, s7
	s_add_co_u32 s3, s26, s3
	s_add_co_ci_u32 s10, s27, s14
	s_mul_i32 s28, s25, s7
	s_add_co_ci_u32 s29, s9, 0
	s_delay_alu instid0(SALU_CYCLE_1) | instskip(NEXT) | instid1(SALU_CYCLE_1)
	s_add_nc_u64 s[26:27], s[10:11], s[28:29]
	s_and_b64 s[28:29], s[26:27], 0xffffffff00000000
	s_delay_alu instid0(SALU_CYCLE_1) | instskip(NEXT) | instid1(SALU_CYCLE_1)
	s_or_b32 s28, s28, s26
	s_mul_u64 s[26:27], s[12:13], s[28:29]
	s_add_nc_u64 s[30:31], s[28:29], 1
	s_sub_co_u32 s3, s24, s26
	s_cselect_b32 s7, -1, 0
	s_sub_co_i32 s9, s25, s27
	s_cmp_lg_u32 s7, 0
	s_add_nc_u64 s[34:35], s[28:29], 2
	s_sub_co_ci_u32 s9, s9, s13
	s_sub_co_u32 s10, s3, s12
	s_cselect_b32 s14, -1, 0
	s_delay_alu instid0(SALU_CYCLE_1) | instskip(SKIP_1) | instid1(SALU_CYCLE_1)
	s_cmp_lg_u32 s14, 0
	s_sub_co_ci_u32 s9, s9, 0
	s_cmp_ge_u32 s9, s13
	s_cselect_b32 s14, -1, 0
	s_cmp_ge_u32 s10, s12
	s_cselect_b32 s10, -1, 0
	s_cmp_eq_u32 s9, s13
	s_cselect_b32 s9, s10, s14
	s_delay_alu instid0(SALU_CYCLE_1) | instskip(SKIP_4) | instid1(SALU_CYCLE_1)
	s_cmp_lg_u32 s9, 0
	s_cselect_b32 s9, s34, s30
	s_cselect_b32 s10, s35, s31
	s_cmp_lg_u32 s7, 0
	s_sub_co_ci_u32 s7, s25, s27
	s_cmp_ge_u32 s7, s13
	s_cselect_b32 s14, -1, 0
	s_cmp_ge_u32 s3, s12
	s_cselect_b32 s3, -1, 0
	s_cmp_eq_u32 s7, s13
	s_cselect_b32 s3, s3, s14
	s_delay_alu instid0(SALU_CYCLE_1) | instskip(SKIP_3) | instid1(SALU_CYCLE_1)
	s_cmp_lg_u32 s3, 0
	s_cselect_b32 s13, s10, s29
	s_cselect_b32 s12, s9, s28
	s_xor_b64 s[22:23], s[22:23], 0
	s_xor_b64 s[12:13], s[12:13], s[22:23]
	s_delay_alu instid0(SALU_CYCLE_1)
	s_sub_nc_u64 s[24:25], s[12:13], s[22:23]
	s_load_b96 s[12:14], s[0:1], 0x44
	s_cbranch_execnz .LBB45_6
.LBB45_5:
	v_cvt_f32_u32_e32 v1, s16
	s_sub_co_i32 s7, 0, s16
	s_delay_alu instid0(VALU_DEP_1) | instskip(SKIP_1) | instid1(TRANS32_DEP_1)
	v_rcp_iflag_f32_e32 v1, v1
	v_nop
	v_mul_f32_e32 v1, 0x4f7ffffe, v1
	s_delay_alu instid0(VALU_DEP_1) | instskip(NEXT) | instid1(VALU_DEP_1)
	v_cvt_u32_f32_e32 v1, v1
	v_readfirstlane_b32 s3, v1
	s_mul_i32 s7, s7, s3
	s_delay_alu instid0(SALU_CYCLE_1) | instskip(NEXT) | instid1(SALU_CYCLE_1)
	s_mul_hi_u32 s7, s3, s7
	s_add_co_i32 s3, s3, s7
	s_delay_alu instid0(SALU_CYCLE_1) | instskip(NEXT) | instid1(SALU_CYCLE_1)
	s_mul_hi_u32 s3, s8, s3
	s_mul_i32 s7, s3, s16
	s_delay_alu instid0(SALU_CYCLE_1)
	s_sub_co_i32 s7, s8, s7
	s_add_co_i32 s8, s3, 1
	s_sub_co_i32 s9, s7, s16
	s_cmp_ge_u32 s7, s16
	s_cselect_b32 s3, s8, s3
	s_cselect_b32 s7, s9, s7
	s_add_co_i32 s8, s3, 1
	s_cmp_ge_u32 s7, s16
	s_cselect_b32 s24, s8, s3
.LBB45_6:
	s_delay_alu instid0(SALU_CYCLE_1)
	s_cmp_eq_u32 s20, s24
	s_mov_b64 s[8:9], 0xffffffff
	s_cselect_b32 s3, -1, 0
	s_and_b64 s[8:9], s[20:21], s[8:9]
	s_mov_b32 s23, 0
	s_wait_kmcnt 0x0
	s_mov_b32 s22, s12
	s_mov_b32 s25, s23
	s_mul_u64 s[10:11], s[8:9], s[22:23]
	s_delay_alu instid0(SALU_CYCLE_1) | instskip(SKIP_2) | instid1(SALU_CYCLE_1)
	s_add_co_i32 s7, s11, s20
	s_mul_u64 s[10:11], s[24:25], s[22:23]
	s_lshr_b32 s12, s7, s13
	s_mul_i32 s7, s12, s14
	s_delay_alu instid0(SALU_CYCLE_1) | instskip(SKIP_2) | instid1(SALU_CYCLE_1)
	s_cmp_eq_u32 s7, s20
	s_cselect_b32 s7, -1, 0
	s_add_co_i32 s10, s11, s24
	s_lshr_b32 s10, s10, s13
	s_delay_alu instid0(SALU_CYCLE_1)
	s_cmp_eq_u32 s12, s10
	s_mul_i32 s10, s10, s14
	s_cselect_b32 s11, -1, 0
	s_cmp_lg_u32 s10, s24
	s_cselect_b32 s10, -1, 0
	s_or_b32 s3, s3, s7
	s_and_b32 s10, s11, s10
	s_delay_alu instid0(SALU_CYCLE_1) | instskip(NEXT) | instid1(SALU_CYCLE_1)
	s_or_b32 s3, s3, s10
	s_and_b32 vcc_lo, exec_lo, s3
	s_cbranch_vccnz .LBB45_24
; %bb.7:
	s_load_b256 s[24:31], s[0:1], 0x20
	s_bfe_u32 s7, ttmp6, 0x40014
	s_bfe_u32 s33, ttmp6, 0x40010
	s_lshr_b32 s3, ttmp7, 16
	s_add_co_i32 s7, s7, 1
	s_and_b32 s21, ttmp7, 0xffff
	s_add_co_i32 s33, s33, 1
	s_bfe_u32 s10, ttmp6, 0x40008
	s_mul_i32 s7, s3, s7
	s_bfe_u32 s34, ttmp6, 0x40004
	s_mul_i32 s33, s21, s33
	s_mov_b32 s11, s23
	s_add_co_i32 s35, s10, s7
	s_add_co_i32 s34, s34, s33
	s_cmp_eq_u32 s15, 0
	s_cselect_b32 s7, s21, s34
	s_cselect_b32 s3, s3, s35
	s_wait_kmcnt 0x0
	s_mov_b32 s10, s24
	s_delay_alu instid0(SALU_CYCLE_1) | instskip(NEXT) | instid1(SALU_CYCLE_1)
	s_mul_u64 s[8:9], s[8:9], s[10:11]
	s_add_co_i32 s8, s9, s20
	s_delay_alu instid0(SALU_CYCLE_1) | instskip(SKIP_2) | instid1(SALU_CYCLE_1)
	s_lshr_b32 s15, s8, s25
	s_load_b32 s8, s[0:1], 0x40
	s_mul_i32 s9, s15, s26
	s_sub_co_i32 s9, s20, s9
	s_delay_alu instid0(SALU_CYCLE_1) | instskip(NEXT) | instid1(SALU_CYCLE_1)
	s_mul_hi_u32 s10, s9, s27
	s_add_co_i32 s10, s9, s10
	s_delay_alu instid0(SALU_CYCLE_1) | instskip(NEXT) | instid1(SALU_CYCLE_1)
	s_lshr_b32 s21, s10, s28
	s_mul_i32 s10, s21, s29
	s_delay_alu instid0(SALU_CYCLE_1) | instskip(NEXT) | instid1(SALU_CYCLE_1)
	s_sub_co_i32 s10, s9, s10
	s_mul_hi_u32 s9, s10, s30
	s_delay_alu instid0(SALU_CYCLE_1) | instskip(NEXT) | instid1(SALU_CYCLE_1)
	s_add_co_i32 s9, s10, s9
	s_lshr_b32 s25, s9, s31
	s_mov_b32 s9, s23
	s_wait_kmcnt 0x0
	s_mul_i32 s8, s25, s8
	s_lshl_b32 s25, s25, 1
	s_sub_co_i32 s8, s10, s8
	s_delay_alu instid0(SALU_CYCLE_1) | instskip(NEXT) | instid1(SALU_CYCLE_1)
	s_mul_u64 s[10:11], s[8:9], s[22:23]
	s_add_co_i32 s8, s8, s11
	s_delay_alu instid0(SALU_CYCLE_1) | instskip(NEXT) | instid1(SALU_CYCLE_1)
	s_lshr_b32 s24, s8, s13
	s_lshl_b32 s8, s24, 2
	s_delay_alu instid0(SALU_CYCLE_1) | instskip(NEXT) | instid1(SALU_CYCLE_1)
	s_add_co_i32 s8, s8, s7
	s_cmp_lt_i32 s8, s4
	s_cselect_b32 s8, -1, 0
	s_add_co_i32 s25, s25, s3
	s_delay_alu instid0(SALU_CYCLE_1) | instskip(SKIP_1) | instid1(SALU_CYCLE_1)
	s_cmp_lt_i32 s25, s6
	s_cselect_b32 s9, -1, 0
	s_and_b32 s8, s8, s9
	s_delay_alu instid0(SALU_CYCLE_1)
	s_and_not1_b32 vcc_lo, exec_lo, s8
	s_cbranch_vccnz .LBB45_24
; %bb.8:
	s_load_b128 s[8:11], s[0:1], 0x0
	s_wait_xcnt 0x0
	s_mul_i32 s0, s15, s4
	s_mul_i32 s21, s21, s6
	s_add_co_i32 s0, s0, s7
	s_add_co_i32 s1, s25, s21
	s_mul_i32 s0, s0, s5
	s_mul_i32 s4, s5, s24
	s_add_co_i32 s0, s1, s0
	s_mulk_i32 s4, 0x180
	s_mulk_i32 s0, 0x60
	s_lshl_b32 s15, s7, 1
	v_add3_u32 v2, s4, s0, v0
	s_add_nc_u64 s[0:1], s[16:17], 0
	s_add_co_i32 s15, s15, s3
	s_xor_b64 s[6:7], s[0:1], 0
	s_lshl_b32 s0, s2, 3
	s_cvt_f32_u32 s3, s6
	s_cvt_f32_u32 s4, s7
	s_add_co_i32 s0, s15, s0
	v_cvt_f32_u32_e32 v4, s16
	s_wait_kmcnt 0x0
	global_load_b32 v1, v2, s[8:9] scale_offset
	s_fmamk_f32 s3, s4, 0x4f800000, s3
	s_ashr_i32 s1, s0, 31
	s_lshl_b32 s24, s16, 5
	s_lshl_b64 s[0:1], s[0:1], 3
	v_s_rcp_f32 s3, s3
	s_add_nc_u64 s[0:1], s[10:11], s[0:1]
	v_rcp_iflag_f32_e32 v4, v4
	s_load_b64 s[28:29], s[0:1], 0x0
	s_mov_b32 s25, 0
	v_mad_u32 v6, 0x60, s15, v0
	v_ashrrev_i32_e32 v3, 31, v2
	s_wait_xcnt 0x0
	s_lshl_b64 s[0:1], s[24:25], 2
	s_mul_f32 s3, s3, 0x5f7ffffc
	v_mul_f32_e32 v4, 0x4f7ffffe, v4
	s_add_nc_u64 s[26:27], s[10:11], s[0:1]
	v_lshl_add_u64 v[2:3], v[2:3], 2, s[8:9]
	s_mul_f32 s4, s3, 0x2f800000
	s_mov_b64 s[8:9], 0xffffffff
	v_cvt_u32_f32_e32 v7, v4
	s_add_co_i32 s36, s2, -1
	s_trunc_f32 s4, s4
	s_sub_nc_u64 s[34:35], 0, s[6:7]
	s_delay_alu instid0(SALU_CYCLE_2)
	s_fmamk_f32 s0, s4, 0xcf800000, s3
	s_cvt_u32_f32 s31, s4
	s_wait_kmcnt 0x0
	v_mov_b32_e32 v0, s29
	s_cvt_u32_f32 s30, s0
.LBB45_9:                               ; =>This Inner Loop Header: Depth=1
	s_ashr_i32 s37, s36, 31
                                        ; implicit-def: $sgpr40_sgpr41
	s_delay_alu instid0(SALU_CYCLE_1) | instskip(NEXT) | instid1(SALU_CYCLE_1)
	s_mul_u64 s[0:1], s[36:37], s[18:19]
	s_and_b64 s[2:3], s[0:1], 0xffffffff00000000
	s_delay_alu instid0(SALU_CYCLE_1)
	s_cmp_lg_u64 s[2:3], 0
	s_mov_b32 s2, -1
	s_cbranch_scc0 .LBB45_11
; %bb.10:                               ;   in Loop: Header=BB45_9 Depth=1
	s_mul_u64 s[2:3], s[34:35], s[30:31]
	s_delay_alu instid0(SALU_CYCLE_1)
	s_mul_hi_u32 s5, s30, s3
	s_mul_i32 s4, s30, s3
	s_mul_hi_u32 s24, s30, s2
	s_mul_hi_u32 s17, s31, s2
	s_add_nc_u64 s[4:5], s[24:25], s[4:5]
	s_mul_i32 s2, s31, s2
	s_mul_hi_u32 s21, s31, s3
	s_add_co_u32 s2, s4, s2
	s_add_co_ci_u32 s24, s5, s17
	s_add_co_ci_u32 s5, s21, 0
	s_mul_i32 s4, s31, s3
	s_delay_alu instid0(SALU_CYCLE_1) | instskip(NEXT) | instid1(SALU_CYCLE_1)
	s_add_nc_u64 s[2:3], s[24:25], s[4:5]
	s_add_co_u32 s2, s30, s2
	s_cselect_b32 s4, -1, 0
	s_delay_alu instid0(SALU_CYCLE_1) | instskip(SKIP_1) | instid1(SALU_CYCLE_1)
	s_cmp_lg_u32 s4, 0
	s_add_co_ci_u32 s3, s31, s3
	s_mul_u64 s[4:5], s[34:35], s[2:3]
	s_delay_alu instid0(SALU_CYCLE_1)
	s_mul_hi_u32 s39, s2, s5
	s_mul_i32 s38, s2, s5
	s_mul_hi_u32 s24, s2, s4
	s_mul_hi_u32 s17, s3, s4
	s_mul_i32 s4, s3, s4
	s_add_nc_u64 s[38:39], s[24:25], s[38:39]
	s_mul_hi_u32 s21, s3, s5
	s_add_co_u32 s4, s38, s4
	s_add_co_ci_u32 s24, s39, s17
	s_mul_i32 s4, s3, s5
	s_add_co_ci_u32 s5, s21, 0
	s_delay_alu instid0(SALU_CYCLE_1) | instskip(NEXT) | instid1(SALU_CYCLE_1)
	s_add_nc_u64 s[4:5], s[24:25], s[4:5]
	s_add_co_u32 s17, s2, s4
	s_cselect_b32 s2, -1, 0
	s_delay_alu instid0(SALU_CYCLE_1) | instskip(SKIP_2) | instid1(SALU_CYCLE_1)
	s_cmp_lg_u32 s2, 0
	s_add_co_ci_u32 s21, s3, s5
	s_ashr_i32 s2, s1, 31
	s_mov_b32 s3, s2
	s_delay_alu instid0(SALU_CYCLE_1) | instskip(NEXT) | instid1(SALU_CYCLE_1)
	s_add_nc_u64 s[4:5], s[0:1], s[2:3]
	s_xor_b64 s[4:5], s[4:5], s[2:3]
	s_delay_alu instid0(SALU_CYCLE_1)
	s_mul_hi_u32 s39, s4, s21
	s_mul_i32 s38, s4, s21
	s_mul_hi_u32 s24, s4, s17
	s_mul_hi_u32 s29, s5, s17
	s_mul_i32 s17, s5, s17
	s_add_nc_u64 s[38:39], s[24:25], s[38:39]
	s_mul_hi_u32 s1, s5, s21
	s_add_co_u32 s17, s38, s17
	s_add_co_ci_u32 s24, s39, s29
	s_mul_i32 s40, s5, s21
	s_add_co_ci_u32 s41, s1, 0
	s_delay_alu instid0(SALU_CYCLE_1) | instskip(NEXT) | instid1(SALU_CYCLE_1)
	s_add_nc_u64 s[38:39], s[24:25], s[40:41]
	s_and_b64 s[40:41], s[38:39], 0xffffffff00000000
	s_delay_alu instid0(SALU_CYCLE_1) | instskip(NEXT) | instid1(SALU_CYCLE_1)
	s_or_b32 s40, s40, s38
	s_mul_u64 s[38:39], s[6:7], s[40:41]
	s_add_nc_u64 s[42:43], s[40:41], 1
	s_sub_co_u32 s1, s4, s38
	s_cselect_b32 s4, -1, 0
	s_sub_co_i32 s17, s5, s39
	s_cmp_lg_u32 s4, 0
	s_add_nc_u64 s[44:45], s[40:41], 2
	s_sub_co_ci_u32 s17, s17, s7
	s_sub_co_u32 s21, s1, s6
	s_cselect_b32 s24, -1, 0
	s_delay_alu instid0(SALU_CYCLE_1) | instskip(SKIP_1) | instid1(SALU_CYCLE_1)
	s_cmp_lg_u32 s24, 0
	s_sub_co_ci_u32 s17, s17, 0
	s_cmp_ge_u32 s17, s7
	s_cselect_b32 s24, -1, 0
	s_cmp_ge_u32 s21, s6
	s_cselect_b32 s21, -1, 0
	s_cmp_eq_u32 s17, s7
	s_cselect_b32 s17, s21, s24
	s_delay_alu instid0(SALU_CYCLE_1) | instskip(SKIP_4) | instid1(SALU_CYCLE_1)
	s_cmp_lg_u32 s17, 0
	s_cselect_b32 s17, s44, s42
	s_cselect_b32 s21, s45, s43
	s_cmp_lg_u32 s4, 0
	s_sub_co_ci_u32 s4, s5, s39
	s_cmp_ge_u32 s4, s7
	s_cselect_b32 s5, -1, 0
	s_cmp_ge_u32 s1, s6
	s_cselect_b32 s1, -1, 0
	s_cmp_eq_u32 s4, s7
	s_cselect_b32 s1, s1, s5
	s_delay_alu instid0(SALU_CYCLE_1) | instskip(SKIP_3) | instid1(SALU_CYCLE_1)
	s_cmp_lg_u32 s1, 0
	s_cselect_b32 s5, s21, s41
	s_cselect_b32 s4, s17, s40
	s_xor_b64 s[2:3], s[2:3], 0
	s_xor_b64 s[4:5], s[4:5], s[2:3]
	s_delay_alu instid0(SALU_CYCLE_1)
	s_sub_nc_u64 s[40:41], s[4:5], s[2:3]
	s_mov_b32 s2, 0
.LBB45_11:                              ;   in Loop: Header=BB45_9 Depth=1
	s_delay_alu instid0(SALU_CYCLE_1)
	s_and_not1_b32 vcc_lo, exec_lo, s2
	s_cbranch_vccnz .LBB45_13
; %bb.12:                               ;   in Loop: Header=BB45_9 Depth=1
	v_readfirstlane_b32 s1, v7
	s_sub_co_i32 s2, 0, s16
	s_delay_alu instid0(SALU_CYCLE_1) | instskip(NEXT) | instid1(SALU_CYCLE_1)
	s_mul_i32 s2, s2, s1
	s_mul_hi_u32 s2, s1, s2
	s_delay_alu instid0(SALU_CYCLE_1) | instskip(NEXT) | instid1(SALU_CYCLE_1)
	s_add_co_i32 s1, s1, s2
	s_mul_hi_u32 s1, s0, s1
	s_delay_alu instid0(SALU_CYCLE_1) | instskip(NEXT) | instid1(SALU_CYCLE_1)
	s_mul_i32 s2, s1, s16
	s_sub_co_i32 s0, s0, s2
	s_add_co_i32 s2, s1, 1
	s_sub_co_i32 s3, s0, s16
	s_cmp_ge_u32 s0, s16
	s_cselect_b32 s1, s2, s1
	s_cselect_b32 s0, s3, s0
	s_add_co_i32 s2, s1, 1
	s_cmp_ge_u32 s0, s16
	s_cselect_b32 s24, s2, s1
	s_delay_alu instid0(SALU_CYCLE_1)
	s_mov_b64 s[40:41], s[24:25]
.LBB45_13:                              ;   in Loop: Header=BB45_9 Depth=1
	s_delay_alu instid0(SALU_CYCLE_1)
	s_cmp_lg_u32 s20, s40
	s_mov_b32 s0, -1
                                        ; implicit-def: $vgpr4_vgpr5
                                        ; implicit-def: $sgpr24
                                        ; implicit-def: $sgpr17
                                        ; implicit-def: $sgpr21
                                        ; implicit-def: $sgpr29
	s_cbranch_scc0 .LBB45_18
; %bb.14:                               ;   in Loop: Header=BB45_9 Depth=1
	s_add_co_i32 s0, s36, s16
	v_max_num_f32_e64 v4, s28, s28
	s_lshl_b32 s0, s0, 3
	s_mov_b32 s29, s20
	s_add_co_i32 s0, s0, s15
	s_load_b64 s[38:39], s[10:11], s0 offset:0x0 scale_offset
	s_wait_xcnt 0x0
	v_readfirstlane_b32 s0, v4
	s_wait_kmcnt 0x0
	v_max_num_f32_e64 v5, s38, s38
	s_delay_alu instid0(VALU_DEP_1) | instskip(SKIP_1) | instid1(SALU_CYCLE_3)
	v_readfirstlane_b32 s1, v5
	s_max_num_f32 s17, s0, s1
	s_sub_f32 s33, s28, s17
	s_sub_f32 s37, s38, s17
	s_delay_alu instid0(SALU_CYCLE_2)
	s_cmp_nlt_f32 s33, 0xc2ce8ed0
	s_cselect_b32 s1, -1, 0
	s_cmp_ngt_f32 s33, 0x42b17218
	s_cselect_b32 s2, -1, 0
	s_cmp_ge_f32 s33, 0xc1a00000
	s_cselect_b32 s0, -1, 0
	s_cmp_nlt_f32 s37, 0xc2ce8ed0
	s_cselect_b32 s3, -1, 0
	s_cmp_ngt_f32 s37, 0x42b17218
	s_cselect_b32 s4, -1, 0
	s_cmp_ge_f32 s37, 0xc1a00000
	s_cselect_b32 s5, -1, 0
	s_and_b64 s[42:43], s[40:41], s[8:9]
	s_delay_alu instid0(SALU_CYCLE_1) | instskip(NEXT) | instid1(SALU_CYCLE_1)
	s_mul_u64 s[42:43], s[42:43], s[22:23]
	s_add_co_i32 s21, s43, s40
	s_delay_alu instid0(SALU_CYCLE_1) | instskip(NEXT) | instid1(SALU_CYCLE_1)
	s_lshr_b32 s21, s21, s13
	s_mul_i32 s24, s21, s14
	s_delay_alu instid0(SALU_CYCLE_1) | instskip(SKIP_3) | instid1(SALU_CYCLE_1)
	s_cmp_eq_u32 s24, s40
	s_cselect_b32 s24, -1, 0
	s_cmp_lt_u32 s21, s12
	s_cselect_b32 s21, -1, 0
	s_or_b32 s21, s21, s24
	s_mov_b32 s24, -1
	s_and_b32 vcc_lo, exec_lo, s21
	s_mov_b32 s21, s36
	s_cbranch_vccnz .LBB45_16
; %bb.15:                               ;   in Loop: Header=BB45_9 Depth=1
	s_add_co_i32 s21, s36, -1
	s_mov_b32 s24, 0
	s_mov_b32 s29, s40
.LBB45_16:                              ;   in Loop: Header=BB45_9 Depth=1
	v_mad_u32 v4, 0x300, s36, v6
	s_mul_f32 s40, s33, 0x3fb8aa3b
	s_mul_f32 s38, s37, 0x3fb8aa3b
	s_delay_alu instid0(SALU_CYCLE_2)
	s_xor_b32 s42, s40, 0x80000000
	s_rndne_f32 s44, s40
	s_fmamk_f32 s42, s33, 0x3fb8aa3b, s42
	s_xor_b32 s41, s38, 0x80000000
	s_rndne_f32 s43, s38
	s_sub_f32 s40, s40, s44
	global_load_b32 v5, v4, s[26:27] scale_offset
	s_fmamk_f32 s33, s33, 0x32a5705f, s42
	s_fmamk_f32 s41, s37, 0x3fb8aa3b, s41
	s_sub_f32 s38, s38, s43
	s_delay_alu instid0(SALU_CYCLE_1) | instskip(NEXT) | instid1(SALU_CYCLE_1)
	s_add_f32 s33, s40, s33
	s_fmamk_f32 s37, s37, 0x32a5705f, s41
	s_cvt_i32_f32 s40, s44
	s_delay_alu instid0(SALU_CYCLE_1) | instskip(NEXT) | instid1(SALU_CYCLE_1)
	v_s_exp_f32 s33, s33
	s_add_f32 s37, s38, s37
	s_cvt_i32_f32 s38, s43
	s_delay_alu instid0(SALU_CYCLE_2) | instskip(NEXT) | instid1(TRANS32_DEP_2)
	v_s_exp_f32 s37, s37
	v_ldexp_f32 v8, s33, s40
	s_wait_xcnt 0x0
	s_delay_alu instid0(TRANS32_DEP_1) | instskip(NEXT) | instid1(VALU_DEP_2)
	v_ldexp_f32 v4, s37, s38
	v_cndmask_b32_e64 v8, 0, v8, s1
	s_delay_alu instid0(VALU_DEP_1) | instskip(NEXT) | instid1(VALU_DEP_1)
	v_cndmask_b32_e64 v9, 0x7f800000, v8, s2
	v_dual_cndmask_b32 v4, 0, v4, s3 :: v_dual_cndmask_b32 v10, 0, v9, s0
	s_delay_alu instid0(VALU_DEP_1) | instskip(NEXT) | instid1(VALU_DEP_1)
	v_cndmask_b32_e64 v4, 0x7f800000, v4, s4
	v_dual_cndmask_b32 v8, 0, v4, s5 :: v_dual_mov_b32 v4, s39
	s_wait_loadcnt 0x0
	s_delay_alu instid0(VALU_DEP_1) | instskip(NEXT) | instid1(VALU_DEP_1)
	v_pk_mul_f32 v[4:5], v[4:5], v[8:9] op_sel_hi:[1,0]
	v_pk_fma_f32 v[4:5], v[0:1], v[10:11], v[4:5] op_sel_hi:[1,0,1]
	s_cbranch_execz .LBB45_19
.LBB45_17:                              ;   in Loop: Header=BB45_9 Depth=1
	s_and_not1_b32 vcc_lo, exec_lo, s24
	s_cbranch_vccnz .LBB45_20
	s_branch .LBB45_23
.LBB45_18:                              ;   in Loop: Header=BB45_9 Depth=1
	s_and_not1_b32 vcc_lo, exec_lo, s0
	s_cbranch_vccnz .LBB45_17
.LBB45_19:                              ;   in Loop: Header=BB45_9 Depth=1
	s_wait_loadcnt 0x0
	v_mov_b64_e32 v[4:5], v[0:1]
	s_add_co_i32 s21, s36, -1
	s_mov_b32 s29, s20
	s_mov_b32 s17, s28
	s_cbranch_execz .LBB45_23
.LBB45_20:                              ;   in Loop: Header=BB45_9 Depth=1
	s_wait_loadcnt 0x0
	s_delay_alu instid0(VALU_DEP_1)
	v_mov_b64_e32 v[0:1], v[4:5]
	s_mov_b32 s20, s29
	s_mov_b32 s36, s21
	;; [unrolled: 1-line block ×3, first 2 shown]
	s_branch .LBB45_9
.LBB45_21:
                                        ; implicit-def: $sgpr20_sgpr21
	s_branch .LBB45_2
.LBB45_22:
                                        ; implicit-def: $sgpr24_sgpr25
	s_load_b96 s[12:14], s[0:1], 0x44
	s_branch .LBB45_5
.LBB45_23:
	s_delay_alu instid0(VALU_DEP_1) | instskip(SKIP_1) | instid1(VALU_DEP_1)
	v_div_scale_f32 v0, null, v4, v4, v5
	s_wait_loadcnt 0x0
	v_rcp_f32_e32 v1, v0
	v_nop
	s_delay_alu instid0(TRANS32_DEP_1) | instskip(NEXT) | instid1(VALU_DEP_1)
	v_fma_f32 v6, -v0, v1, 1.0
	v_fmac_f32_e32 v1, v6, v1
	v_div_scale_f32 v6, vcc_lo, v5, v4, v5
	s_delay_alu instid0(VALU_DEP_1) | instskip(NEXT) | instid1(VALU_DEP_1)
	v_mul_f32_e32 v7, v6, v1
	v_fma_f32 v8, -v0, v7, v6
	s_delay_alu instid0(VALU_DEP_1) | instskip(NEXT) | instid1(VALU_DEP_1)
	v_fmac_f32_e32 v7, v8, v1
	v_fma_f32 v0, -v0, v7, v6
	s_delay_alu instid0(VALU_DEP_1) | instskip(NEXT) | instid1(VALU_DEP_1)
	v_div_fmas_f32 v0, v0, v1, v7
	v_div_fixup_f32 v0, v0, v4, v5
	global_store_b32 v[2:3], v0, off
.LBB45_24:
	s_endpgm
	.section	.rodata,"a",@progbits
	.p2align	6, 0x0
	.amdhsa_kernel _ZL33flash_attn_stream_k_fixup_generalILi96ELi4ELi2EEvPfPK15HIP_vector_typeIfLj2EEiiiiS1_IjLj3EES5_S5_S5_
		.amdhsa_group_segment_fixed_size 0
		.amdhsa_private_segment_fixed_size 0
		.amdhsa_kernarg_size 336
		.amdhsa_user_sgpr_count 2
		.amdhsa_user_sgpr_dispatch_ptr 0
		.amdhsa_user_sgpr_queue_ptr 0
		.amdhsa_user_sgpr_kernarg_segment_ptr 1
		.amdhsa_user_sgpr_dispatch_id 0
		.amdhsa_user_sgpr_kernarg_preload_length 0
		.amdhsa_user_sgpr_kernarg_preload_offset 0
		.amdhsa_user_sgpr_private_segment_size 0
		.amdhsa_wavefront_size32 1
		.amdhsa_uses_dynamic_stack 0
		.amdhsa_enable_private_segment 0
		.amdhsa_system_sgpr_workgroup_id_x 1
		.amdhsa_system_sgpr_workgroup_id_y 1
		.amdhsa_system_sgpr_workgroup_id_z 1
		.amdhsa_system_sgpr_workgroup_info 0
		.amdhsa_system_vgpr_workitem_id 0
		.amdhsa_next_free_vgpr 12
		.amdhsa_next_free_sgpr 46
		.amdhsa_named_barrier_count 0
		.amdhsa_reserve_vcc 1
		.amdhsa_float_round_mode_32 0
		.amdhsa_float_round_mode_16_64 0
		.amdhsa_float_denorm_mode_32 3
		.amdhsa_float_denorm_mode_16_64 3
		.amdhsa_fp16_overflow 0
		.amdhsa_memory_ordered 1
		.amdhsa_forward_progress 1
		.amdhsa_inst_pref_size 27
		.amdhsa_round_robin_scheduling 0
		.amdhsa_exception_fp_ieee_invalid_op 0
		.amdhsa_exception_fp_denorm_src 0
		.amdhsa_exception_fp_ieee_div_zero 0
		.amdhsa_exception_fp_ieee_overflow 0
		.amdhsa_exception_fp_ieee_underflow 0
		.amdhsa_exception_fp_ieee_inexact 0
		.amdhsa_exception_int_div_zero 0
	.end_amdhsa_kernel
	.section	.text._ZL33flash_attn_stream_k_fixup_generalILi96ELi4ELi2EEvPfPK15HIP_vector_typeIfLj2EEiiiiS1_IjLj3EES5_S5_S5_,"axG",@progbits,_ZL33flash_attn_stream_k_fixup_generalILi96ELi4ELi2EEvPfPK15HIP_vector_typeIfLj2EEiiiiS1_IjLj3EES5_S5_S5_,comdat
.Lfunc_end45:
	.size	_ZL33flash_attn_stream_k_fixup_generalILi96ELi4ELi2EEvPfPK15HIP_vector_typeIfLj2EEiiiiS1_IjLj3EES5_S5_S5_, .Lfunc_end45-_ZL33flash_attn_stream_k_fixup_generalILi96ELi4ELi2EEvPfPK15HIP_vector_typeIfLj2EEiiiiS1_IjLj3EES5_S5_S5_
                                        ; -- End function
	.set _ZL33flash_attn_stream_k_fixup_generalILi96ELi4ELi2EEvPfPK15HIP_vector_typeIfLj2EEiiiiS1_IjLj3EES5_S5_S5_.num_vgpr, 12
	.set _ZL33flash_attn_stream_k_fixup_generalILi96ELi4ELi2EEvPfPK15HIP_vector_typeIfLj2EEiiiiS1_IjLj3EES5_S5_S5_.num_agpr, 0
	.set _ZL33flash_attn_stream_k_fixup_generalILi96ELi4ELi2EEvPfPK15HIP_vector_typeIfLj2EEiiiiS1_IjLj3EES5_S5_S5_.numbered_sgpr, 46
	.set _ZL33flash_attn_stream_k_fixup_generalILi96ELi4ELi2EEvPfPK15HIP_vector_typeIfLj2EEiiiiS1_IjLj3EES5_S5_S5_.num_named_barrier, 0
	.set _ZL33flash_attn_stream_k_fixup_generalILi96ELi4ELi2EEvPfPK15HIP_vector_typeIfLj2EEiiiiS1_IjLj3EES5_S5_S5_.private_seg_size, 0
	.set _ZL33flash_attn_stream_k_fixup_generalILi96ELi4ELi2EEvPfPK15HIP_vector_typeIfLj2EEiiiiS1_IjLj3EES5_S5_S5_.uses_vcc, 1
	.set _ZL33flash_attn_stream_k_fixup_generalILi96ELi4ELi2EEvPfPK15HIP_vector_typeIfLj2EEiiiiS1_IjLj3EES5_S5_S5_.uses_flat_scratch, 0
	.set _ZL33flash_attn_stream_k_fixup_generalILi96ELi4ELi2EEvPfPK15HIP_vector_typeIfLj2EEiiiiS1_IjLj3EES5_S5_S5_.has_dyn_sized_stack, 0
	.set _ZL33flash_attn_stream_k_fixup_generalILi96ELi4ELi2EEvPfPK15HIP_vector_typeIfLj2EEiiiiS1_IjLj3EES5_S5_S5_.has_recursion, 0
	.set _ZL33flash_attn_stream_k_fixup_generalILi96ELi4ELi2EEvPfPK15HIP_vector_typeIfLj2EEiiiiS1_IjLj3EES5_S5_S5_.has_indirect_call, 0
	.section	.AMDGPU.csdata,"",@progbits
; Kernel info:
; codeLenInByte = 3352
; TotalNumSgprs: 48
; NumVgprs: 12
; ScratchSize: 0
; MemoryBound: 0
; FloatMode: 240
; IeeeMode: 1
; LDSByteSize: 0 bytes/workgroup (compile time only)
; SGPRBlocks: 0
; VGPRBlocks: 0
; NumSGPRsForWavesPerEU: 48
; NumVGPRsForWavesPerEU: 12
; NamedBarCnt: 0
; Occupancy: 16
; WaveLimiterHint : 0
; COMPUTE_PGM_RSRC2:SCRATCH_EN: 0
; COMPUTE_PGM_RSRC2:USER_SGPR: 2
; COMPUTE_PGM_RSRC2:TRAP_HANDLER: 0
; COMPUTE_PGM_RSRC2:TGID_X_EN: 1
; COMPUTE_PGM_RSRC2:TGID_Y_EN: 1
; COMPUTE_PGM_RSRC2:TGID_Z_EN: 1
; COMPUTE_PGM_RSRC2:TIDIG_COMP_CNT: 0
	.section	.text._ZL15flash_attn_tileILi96ELi96ELi2ELi2ELb0EEvPKcS1_S1_S1_S1_PKiPfP15HIP_vector_typeIfLj2EEffffjfiS5_IjLj3EEiiiiiiiiiiiliiliiiiil,"axG",@progbits,_ZL15flash_attn_tileILi96ELi96ELi2ELi2ELb0EEvPKcS1_S1_S1_S1_PKiPfP15HIP_vector_typeIfLj2EEffffjfiS5_IjLj3EEiiiiiiiiiiiliiliiiiil,comdat
	.globl	_ZL15flash_attn_tileILi96ELi96ELi2ELi2ELb0EEvPKcS1_S1_S1_S1_PKiPfP15HIP_vector_typeIfLj2EEffffjfiS5_IjLj3EEiiiiiiiiiiiliiliiiiil ; -- Begin function _ZL15flash_attn_tileILi96ELi96ELi2ELi2ELb0EEvPKcS1_S1_S1_S1_PKiPfP15HIP_vector_typeIfLj2EEffffjfiS5_IjLj3EEiiiiiiiiiiiliiliiiiil
	.p2align	8
	.type	_ZL15flash_attn_tileILi96ELi96ELi2ELi2ELb0EEvPKcS1_S1_S1_S1_PKiPfP15HIP_vector_typeIfLj2EEffffjfiS5_IjLj3EEiiiiiiiiiiiliiliiiiil,@function
_ZL15flash_attn_tileILi96ELi96ELi2ELi2ELb0EEvPKcS1_S1_S1_S1_PKiPfP15HIP_vector_typeIfLj2EEffffjfiS5_IjLj3EEiiiiiiiiiiiliiliiiiil: ; @_ZL15flash_attn_tileILi96ELi96ELi2ELi2ELb0EEvPKcS1_S1_S1_S1_PKiPfP15HIP_vector_typeIfLj2EEffffjfiS5_IjLj3EEiiiiiiiiiiiliiliiiiil
; %bb.0:
	s_clause 0x1
	s_load_b128 s[20:23], s[0:1], 0x5c
	s_load_b64 s[30:31], s[0:1], 0x80
	s_bfe_u32 s5, ttmp6, 0x40014
	s_lshr_b32 s4, ttmp7, 16
	s_add_co_i32 s5, s5, 1
	s_bfe_u32 s6, ttmp6, 0x40008
	s_mul_i32 s5, s4, s5
	s_getreg_b32 s24, hwreg(HW_REG_IB_STS2, 6, 4)
	s_add_co_i32 s6, s6, s5
	s_mov_b32 s37, 0
	s_mov_b64 s[34:35], 0
	s_wait_kmcnt 0x0
	s_lshr_b32 s2, s23, 31
	s_delay_alu instid0(SALU_CYCLE_1) | instskip(NEXT) | instid1(SALU_CYCLE_1)
	s_add_co_i32 s2, s23, s2
	s_ashr_i32 s2, s2, 1
	s_delay_alu instid0(SALU_CYCLE_1) | instskip(SKIP_1) | instid1(SALU_CYCLE_2)
	s_cvt_f32_u32 s3, s2
	s_sub_co_i32 s7, 0, s2
	v_rcp_iflag_f32_e32 v1, s3
	v_nop
	s_delay_alu instid0(TRANS32_DEP_1) | instskip(SKIP_1) | instid1(SALU_CYCLE_3)
	v_readfirstlane_b32 s3, v1
	s_mul_f32 s3, s3, 0x4f7ffffe
	s_cvt_u32_f32 s3, s3
	s_delay_alu instid0(SALU_CYCLE_3) | instskip(NEXT) | instid1(SALU_CYCLE_1)
	s_mul_i32 s7, s7, s3
	s_mul_hi_u32 s7, s3, s7
	s_delay_alu instid0(SALU_CYCLE_1) | instskip(SKIP_2) | instid1(SALU_CYCLE_1)
	s_add_co_i32 s3, s3, s7
	s_cmp_eq_u32 s24, 0
	s_cselect_b32 s4, s4, s6
	s_mul_hi_u32 s3, s4, s3
	s_delay_alu instid0(SALU_CYCLE_1) | instskip(SKIP_2) | instid1(SALU_CYCLE_1)
	s_mul_i32 s5, s3, s2
	s_add_co_i32 s6, s3, 1
	s_sub_co_i32 s5, s4, s5
	s_sub_co_i32 s7, s5, s2
	s_cmp_ge_u32 s5, s2
	s_cselect_b32 s3, s6, s3
	s_cselect_b32 s5, s7, s5
	s_add_co_i32 s6, s3, 1
	s_cmp_ge_u32 s5, s2
	s_cselect_b32 s28, s6, s3
	s_abs_i32 s2, s31
	s_abs_i32 s6, s23
	s_cvt_f32_u32 s3, s2
	s_sub_co_i32 s5, 0, s2
	s_lshl_b32 s25, s4, 1
	s_xor_b32 s4, s23, s31
	v_rcp_iflag_f32_e32 v1, s3
	s_ashr_i32 s26, s4, 31
	v_nop
	s_delay_alu instid0(TRANS32_DEP_1) | instskip(SKIP_1) | instid1(SALU_CYCLE_3)
	v_readfirstlane_b32 s3, v1
	s_mul_f32 s3, s3, 0x4f7ffffe
	s_cvt_u32_f32 s3, s3
	s_delay_alu instid0(SALU_CYCLE_3) | instskip(NEXT) | instid1(SALU_CYCLE_1)
	s_mul_i32 s5, s5, s3
	s_mul_hi_u32 s5, s3, s5
	s_delay_alu instid0(SALU_CYCLE_1) | instskip(NEXT) | instid1(SALU_CYCLE_1)
	s_add_co_i32 s3, s3, s5
	s_mul_hi_u32 s3, s6, s3
	s_delay_alu instid0(SALU_CYCLE_1) | instskip(NEXT) | instid1(SALU_CYCLE_1)
	s_mul_i32 s5, s3, s2
	s_sub_co_i32 s4, s6, s5
	s_add_co_i32 s5, s3, 1
	s_sub_co_i32 s6, s4, s2
	s_cmp_ge_u32 s4, s2
	s_cselect_b32 s3, s5, s3
	s_cselect_b32 s4, s6, s4
	s_add_co_i32 s5, s3, 1
	s_cmp_ge_u32 s4, s2
	s_cselect_b32 s2, s5, s3
	s_load_b512 s[4:19], s[0:1], 0x0
	s_xor_b32 s27, s2, s26
	s_load_b64 s[2:3], s[0:1], 0xb8
	s_sub_co_i32 s29, s27, s26
	s_delay_alu instid0(SALU_CYCLE_1) | instskip(NEXT) | instid1(SALU_CYCLE_1)
	s_abs_i32 s39, s29
	s_cvt_f32_u32 s26, s39
	s_delay_alu instid0(SALU_CYCLE_3) | instskip(SKIP_2) | instid1(TRANS32_DEP_1)
	v_rcp_iflag_f32_e32 v1, s26
	s_mul_i32 s26, s28, s23
	v_nop
	v_readfirstlane_b32 s36, v1
	s_wait_kmcnt 0x0
	s_cmp_eq_u64 s[10:11], 0
	s_cbranch_scc1 .LBB46_2
; %bb.1:
	s_abs_i32 s2, s2
	s_abs_i32 s33, s28
	s_cvt_f32_u32 s27, s2
	s_sub_co_i32 s31, 0, s2
	s_load_b64 s[34:35], s[0:1], 0xc8
	s_delay_alu instid0(SALU_CYCLE_1) | instskip(SKIP_1) | instid1(TRANS32_DEP_1)
	v_rcp_iflag_f32_e32 v1, s27
	v_nop
	v_readfirstlane_b32 s27, v1
	s_mul_f32 s27, s27, 0x4f7ffffe
	s_delay_alu instid0(SALU_CYCLE_3) | instskip(NEXT) | instid1(SALU_CYCLE_3)
	s_cvt_u32_f32 s27, s27
	s_mul_i32 s31, s31, s27
	s_delay_alu instid0(SALU_CYCLE_1) | instskip(NEXT) | instid1(SALU_CYCLE_1)
	s_mul_hi_u32 s31, s27, s31
	s_add_co_i32 s27, s27, s31
	s_ashr_i32 s31, s28, 31
	s_mul_hi_u32 s27, s33, s27
	s_delay_alu instid0(SALU_CYCLE_1) | instskip(NEXT) | instid1(SALU_CYCLE_1)
	s_mul_i32 s27, s27, s2
	s_sub_co_i32 s27, s33, s27
	s_delay_alu instid0(SALU_CYCLE_1) | instskip(SKIP_2) | instid1(SALU_CYCLE_1)
	s_sub_co_i32 s33, s27, s2
	s_cmp_ge_u32 s27, s2
	s_cselect_b32 s27, s33, s27
	s_sub_co_i32 s33, s27, s2
	s_cmp_ge_u32 s27, s2
	s_cselect_b32 s2, s33, s27
	s_delay_alu instid0(SALU_CYCLE_1) | instskip(NEXT) | instid1(SALU_CYCLE_1)
	s_xor_b32 s2, s2, s31
	s_sub_co_i32 s40, s2, s31
	s_delay_alu instid0(SALU_CYCLE_1) | instskip(SKIP_2) | instid1(SALU_CYCLE_1)
	s_ashr_i32 s41, s40, 31
	s_wait_kmcnt 0x0
	s_mul_u64 s[34:35], s[34:35], s[40:41]
	s_add_nc_u64 s[34:35], s[10:11], s[34:35]
.LBB46_2:
	s_bfe_u32 s2, ttmp6, 0x4000c
	v_and_b32_e32 v60, 0x3ff, v0
	s_add_co_i32 s2, s2, 1
	v_bfe_u32 v0, v0, 10, 10
	s_and_b32 s10, ttmp6, 15
	s_mul_i32 s2, ttmp9, s2
	s_sub_co_i32 s31, s25, s26
	s_add_co_i32 s10, s10, s2
	s_movk_i32 s11, 0xc0
	s_cmp_eq_u32 s24, 0
	v_cmp_gt_u32_e64 s2, 24, v60
	v_mad_u32_u24 v59, v0, s11, 0xe80
	v_lshlrev_b32_e32 v62, 3, v60
	v_dual_lshrrev_b32 v61, 1, v0 :: v_dual_bitop2_b32 v40, 1, v0 bitop3:0x40
	s_cselect_b32 s10, ttmp9, s10
	s_delay_alu instid0(SALU_CYCLE_1)
	s_lshl_b32 s33, s10, 1
	s_and_saveexec_b32 s11, s2
	s_cbranch_execz .LBB46_4
; %bb.3:
	v_add_nc_u32_e32 v1, s33, v61
	s_load_b96 s[40:42], s[0:1], 0x70
	v_dual_mov_b32 v41, 0 :: v_dual_lshlrev_b32 v6, 4, v60
	s_delay_alu instid0(VALU_DEP_2) | instskip(NEXT) | instid1(VALU_DEP_2)
	v_mul_hi_u32 v2, s20, v1
	v_dual_mov_b32 v3, v41 :: v_dual_mov_b32 v7, v41
	s_delay_alu instid0(VALU_DEP_2) | instskip(NEXT) | instid1(VALU_DEP_1)
	v_add_nc_u32_e32 v2, v1, v2
	v_lshrrev_b32_e32 v2, s21, v2
	s_wait_kmcnt 0x0
	s_ashr_i32 s27, s41, 31
	s_mov_b32 s26, s41
	s_mul_i32 s44, s31, s41
	s_lshr_b64 s[26:27], s[26:27], 2
	v_mul_lo_u32 v2, v2, s22
	v_mul_u64_e32 v[4:5], s[26:27], v[40:41]
	s_ashr_i32 s41, s40, 31
	s_ashr_i32 s45, s44, 31
	s_lshr_b64 s[26:27], s[40:41], 2
	s_delay_alu instid0(VALU_DEP_2) | instskip(NEXT) | instid1(VALU_DEP_1)
	v_sub_nc_u32_e32 v2, v1, v2
	v_mul_u64_e32 v[2:3], s[26:27], v[2:3]
	s_mul_i32 s26, s28, s42
	s_delay_alu instid0(SALU_CYCLE_1) | instskip(NEXT) | instid1(SALU_CYCLE_1)
	s_ashr_i32 s27, s26, 31
	s_add_nc_u64 s[4:5], s[4:5], s[26:27]
	s_delay_alu instid0(SALU_CYCLE_1)
	s_add_nc_u64 s[4:5], s[4:5], s[44:45]
	s_delay_alu instid0(VALU_DEP_3) | instid1(SALU_CYCLE_1)
	v_lshl_add_u64 v[4:5], v[4:5], 2, s[4:5]
	s_load_b32 s4, s[0:1], 0x40
	s_delay_alu instid0(VALU_DEP_1) | instskip(NEXT) | instid1(VALU_DEP_1)
	v_lshl_add_u64 v[2:3], v[2:3], 2, v[4:5]
	v_add_nc_u64_e32 v[2:3], v[2:3], v[6:7]
	global_load_b128 v[2:5], v[2:3], off
	s_wait_loadcnt 0x0
	s_wait_kmcnt 0x0
	v_fma_mixlo_f16 v1, s4, v2, 0
	v_mov_b32_e32 v2, v5
	s_delay_alu instid0(VALU_DEP_2) | instskip(NEXT) | instid1(VALU_DEP_2)
	v_and_b32_e32 v1, 0xffff, v1
	v_pk_mul_f32 v[2:3], s[4:5], v[2:3] op_sel_hi:[0,1]
	s_delay_alu instid0(VALU_DEP_1) | instskip(SKIP_1) | instid1(VALU_DEP_2)
	v_cvt_pk_f16_f32 v2, v2, v3
	v_fma_mixlo_f16 v3, s4, v4, 0
	v_and_b32_e32 v4, 0xffff0000, v2
	s_delay_alu instid0(VALU_DEP_2) | instskip(NEXT) | instid1(VALU_DEP_2)
	v_and_b32_e32 v3, 0xffff, v3
	v_dual_lshlrev_b32 v2, 16, v2 :: v_dual_bitop2_b32 v1, v4, v1 bitop3:0x54
	v_add_nc_u32_e32 v4, v59, v62
	s_delay_alu instid0(VALU_DEP_2) | instskip(NEXT) | instid1(VALU_DEP_3)
	v_or3_b32 v3, v2, v3, 0
	v_or3_b32 v2, 0, 0, v1
	ds_store_b64 v4, v[2:3]
.LBB46_4:
	s_or_b32 exec_lo, exec_lo, s11
	s_cmp_eq_u64 s[14:15], 0
	s_wait_dscnt 0x0
	s_barrier_signal -1
	s_barrier_wait -1
	s_cbranch_scc1 .LBB46_6
; %bb.5:
	s_load_b32 s4, s[0:1], 0xd0
	s_wait_kmcnt 0x0
	s_mul_i32 s4, s4, s28
	s_delay_alu instid0(SALU_CYCLE_1)
	s_add_co_i32 s4, s4, s10
	s_load_b32 s30, s[14:15], s4 offset:0x0 scale_offset
.LBB46_6:
	s_wait_xcnt 0x0
	s_bfe_u32 s4, ttmp6, 0x40010
	s_and_b32 s5, ttmp7, 0xffff
	s_add_co_i32 s4, s4, 1
	s_bfe_u32 s10, ttmp6, 0x40004
	s_mul_i32 s4, s5, s4
	v_mbcnt_lo_u32_b32 v41, -1, 0
	s_add_co_i32 s10, s10, s4
	s_cmp_eq_u32 s24, 0
	s_mov_b32 s4, 0
	s_cselect_b32 s38, s5, s10
	s_delay_alu instid0(SALU_CYCLE_1)
	s_lshl_b32 s10, s38, 5
	s_wait_kmcnt 0x0
	s_cmp_lt_i32 s10, s30
	s_cbranch_scc1 .LBB46_9
; %bb.7:
	v_mbcnt_lo_u32_b32 v1, -1, 0
	s_delay_alu instid0(VALU_DEP_1)
	v_dual_mov_b32 v63, 32 :: v_dual_bitop2_b32 v57, 16, v1 bitop3:0x14
	v_xor_b32_e32 v75, 8, v1
	v_xor_b32_e32 v76, 4, v1
	;; [unrolled: 1-line block ×4, first 2 shown]
	s_and_not1_b32 vcc_lo, exec_lo, s4
	s_cbranch_vccz .LBB46_10
; %bb.8:
	v_dual_mov_b32 v70, 0 :: v_dual_mov_b32 v79, 0
	v_dual_mov_b32 v58, 0xfeffffff :: v_dual_mov_b32 v73, 0
	s_branch .LBB46_22
.LBB46_9:
                                        ; implicit-def: $vgpr1
                                        ; implicit-def: $vgpr63
                                        ; implicit-def: $vgpr57
                                        ; implicit-def: $vgpr75
                                        ; implicit-def: $vgpr76
                                        ; implicit-def: $vgpr77
                                        ; implicit-def: $vgpr78
.LBB46_10:
	s_clause 0x1
	s_load_b64 s[4:5], s[0:1], 0x8c
	s_load_b128 s[24:27], s[0:1], 0x98
	v_dual_add_nc_u32 v1, s33, v61 :: v_dual_lshrrev_b32 v3, 1, v60
	s_mul_f32 s11, s36, 0x4f7ffffe
	s_sub_co_i32 s14, 0, s39
	s_abs_i32 s36, s31
	s_delay_alu instid0(VALU_DEP_1)
	v_mul_hi_u32 v2, s20, v1
	s_cvt_u32_f32 s11, s11
	v_lshrrev_b32_e32 v4, 2, v60
	s_mov_b32 s15, s37
	v_lshl_add_u32 v3, v0, 4, v3
	s_mul_i32 s14, s14, s11
	s_load_b64 s[40:41], s[0:1], 0xa8
	s_mul_hi_u32 s14, s11, s14
	s_ashr_i32 s42, s31, 31
	s_add_co_i32 s14, s11, s14
	s_ashr_i32 s43, s29, 31
	v_add_nc_u32_e32 v2, v1, v2
	v_lshl_add_u32 v6, v0, 3, v4
	s_mul_u64 s[14:15], s[36:37], s[14:15]
	s_wait_kmcnt 0x0
	s_ashr_i32 s14, s26, 2
	s_ashr_i32 s26, s4, 2
	v_dual_lshlrev_b32 v5, 2, v60 :: v_dual_lshrrev_b32 v7, s21, v2
	v_mul_lo_u32 v42, s26, v6
	s_mul_i32 s11, s15, s39
	v_lshrrev_b32_e32 v9, 3, v60
	s_sub_co_i32 s11, s36, s11
	v_mul_lo_u32 v7, v7, s22
	v_mul_lo_u32 v46, s26, v3
	s_ashr_i32 s3, s3, 1
	s_ashr_i32 s29, s28, 31
	s_xor_b32 s37, s42, s43
	s_add_co_i32 s4, s15, 1
	s_sub_co_i32 s36, s11, s39
	s_cmp_ge_u32 s11, s39
	v_cmp_gt_u32_e32 vcc_lo, 32, v3
	s_cselect_b32 s4, s4, s15
	v_dual_mov_b32 v45, 0 :: v_dual_bitop2_b32 v2, 12, v5 bitop3:0x40
	v_and_b32_e32 v4, 4, v5
	v_mul_u32_u24_e32 v10, 0x70, v3
	v_ashrrev_i32_e32 v43, 31, v42
	v_lshl_add_u32 v3, v0, 2, v9
	s_cselect_b32 s11, s36, s11
	s_add_co_i32 s15, s4, 1
	s_cmp_ge_u32 s11, s39
	v_lshlrev_b32_e32 v8, 2, v2
	s_cselect_b32 s4, s15, s4
	v_dual_lshlrev_b32 v11, 2, v4 :: v_dual_sub_nc_u32 v1, v1, v7
	v_mul_lo_u32 v48, s14, v3
	v_mul_lo_u32 v50, s14, v6
	v_lshl_add_u32 v67, v0, 6, 0x1180
	v_mul_u32_u24_e32 v7, 0xc0, v6
	v_dual_ashrrev_i32 v47, 31, v46 :: v_dual_bitop2_b32 v0, 28, v5 bitop3:0x40
	s_xor_b32 s4, s4, s37
	v_mad_u32 v68, v1, s3, v60
	s_sub_co_i32 s11, s4, s37
	s_mul_u64 s[24:25], s[24:25], s[28:29]
	s_mul_i32 s4, s11, s5
	v_dual_lshlrev_b32 v52, 2, v2 :: v_dual_bitop2_b32 v1, v7, v8 bitop3:0x54
	v_dual_lshlrev_b32 v5, 2, v0 :: v_dual_ashrrev_i32 v51, 31, v50
	s_add_nc_u64 s[6:7], s[6:7], s[24:25]
	s_ashr_i32 s5, s4, 31
	s_mul_u64 s[24:25], s[40:41], s[28:29]
	s_add_nc_u64 s[6:7], s[6:7], s[4:5]
	s_add_nc_u64 s[4:5], s[8:9], s[24:25]
	s_mul_i32 s8, s11, s27
	v_mad_u32_u24 v64, 0x70, v6, v8
	v_mul_u32_u24_e32 v65, 0x70, v60
	v_add3_u32 v66, v10, v11, 64
	v_lshl_add_u32 v69, v60, 1, v67
	v_cmp_gt_u32_e64 s3, 16, v6
	v_dual_mov_b32 v80, 0xfeffffff :: v_dual_ashrrev_i32 v49, 31, v48
	v_dual_mov_b32 v54, v52 :: v_dual_add_nc_u32 v71, 0x80, v1
	v_mad_u32_u24 v72, 0xc0, v3, v5
	v_dual_mov_b32 v55, v45 :: v_dual_mov_b32 v63, 32
	v_dual_mov_b32 v73, v45 :: v_dual_lshlrev_b32 v44, 2, v0
	v_dual_lshlrev_b32 v56, 2, v4 :: v_dual_mov_b32 v70, v45
	v_mov_b32_e32 v74, v45
	s_ashr_i32 s9, s8, 31
	s_ashr_i32 s27, s26, 31
	s_add_nc_u64 s[8:9], s[4:5], s[8:9]
	s_ashr_i32 s15, s14, 31
	s_add_nc_u64 s[20:21], s[0:1], 0xd0
.LBB46_11:                              ; =>This Inner Loop Header: Depth=1
	s_ashr_i32 s11, s10, 31
	s_delay_alu instid0(SALU_CYCLE_1) | instskip(NEXT) | instid1(SALU_CYCLE_1)
	s_mul_u64 s[4:5], s[10:11], s[26:27]
	s_lshl_b64 s[4:5], s[4:5], 2
	s_delay_alu instid0(SALU_CYCLE_1) | instskip(NEXT) | instid1(SALU_CYCLE_1)
	s_add_nc_u64 s[4:5], s[6:7], s[4:5]
	v_lshl_add_u64 v[0:1], v[46:47], 2, s[4:5]
	s_and_saveexec_b32 s24, vcc_lo
	s_cbranch_execz .LBB46_13
; %bb.12:                               ;   in Loop: Header=BB46_11 Depth=1
	v_mov_b32_e32 v57, v45
	s_delay_alu instid0(VALU_DEP_1)
	v_add_nc_u64_e32 v[2:3], v[0:1], v[56:57]
	global_load_b128 v[2:5], v[2:3], off offset:64
	s_wait_loadcnt 0x0
	ds_store_b128 v66, v[2:5]
.LBB46_13:                              ;   in Loop: Header=BB46_11 Depth=1
	s_or_b32 exec_lo, exec_lo, s24
	v_lshl_add_u64 v[2:3], v[42:43], 2, s[4:5]
	s_delay_alu instid0(VALU_DEP_1)
	v_add_nc_u64_e32 v[2:3], v[2:3], v[54:55]
	global_load_b128 v[4:7], v[2:3], off
	s_wait_loadcnt 0x0
	ds_store_b128 v64, v[4:7]
	s_wait_dscnt 0x0
	s_barrier_signal -1
	s_barrier_wait -1
	ds_load_b128 v[6:9], v65
	ds_load_b128 v[10:13], v59
	v_mov_b32_e32 v4, v45
	s_wait_dscnt 0x0
	;;#ASMSTART
	v_dot2_f32_f16 v4, v6, v10, v4
	;;#ASMEND
	;;#ASMSTART
	v_dot2_f32_f16 v4, v7, v11, v4
	;;#ASMEND
	;;#ASMSTART
	v_dot2_f32_f16 v4, v8, v12, v4
	;;#ASMEND
	;;#ASMSTART
	v_dot2_f32_f16 v4, v9, v13, v4
	;;#ASMEND
	ds_load_b128 v[6:9], v65 offset:16
	ds_load_b128 v[10:13], v59 offset:16
	s_wait_dscnt 0x0
	;;#ASMSTART
	v_dot2_f32_f16 v4, v6, v10, v4
	;;#ASMEND
	;;#ASMSTART
	v_dot2_f32_f16 v4, v7, v11, v4
	;;#ASMEND
	;;#ASMSTART
	v_dot2_f32_f16 v4, v8, v12, v4
	;;#ASMEND
	;;#ASMSTART
	v_dot2_f32_f16 v4, v9, v13, v4
	;;#ASMEND
	ds_load_b128 v[6:9], v65 offset:32
	ds_load_b128 v[10:13], v59 offset:32
	;; [unrolled: 15-line block ×5, first 2 shown]
	s_wait_dscnt 0x0
	;;#ASMSTART
	v_dot2_f32_f16 v4, v6, v10, v4
	;;#ASMEND
	;;#ASMSTART
	v_dot2_f32_f16 v4, v7, v11, v4
	;;#ASMEND
	;; [unrolled: 3-line block ×4, first 2 shown]
	s_barrier_signal -1
	s_barrier_wait -1
	s_and_saveexec_b32 s4, vcc_lo
	s_cbranch_execz .LBB46_15
; %bb.14:                               ;   in Loop: Header=BB46_11 Depth=1
	v_mov_b32_e32 v57, v45
	s_delay_alu instid0(VALU_DEP_1)
	v_add_nc_u64_e32 v[0:1], v[0:1], v[56:57]
	global_load_b128 v[6:9], v[0:1], off offset:160
	s_wait_loadcnt 0x0
	ds_store_b128 v66, v[6:9]
.LBB46_15:                              ;   in Loop: Header=BB46_11 Depth=1
	s_or_b32 exec_lo, exec_lo, s4
	global_load_b128 v[0:3], v[2:3], off offset:96
	v_dual_add_nc_u32 v5, s10, v68 :: v_dual_bitop2_b32 v57, 16, v41 bitop3:0x14
	v_xor_b32_e32 v78, 1, v41
	v_xor_b32_e32 v75, 8, v41
	;; [unrolled: 1-line block ×3, first 2 shown]
	s_delay_alu instid0(VALU_DEP_4)
	v_cmp_gt_i32_e64 s4, 32, v57
	s_wait_loadcnt 0x0
	ds_store_b128 v64, v[0:3]
	s_wait_dscnt 0x0
	s_barrier_signal -1
	s_barrier_wait -1
	ds_load_b128 v[0:3], v65
	ds_load_b128 v[6:9], v59 offset:96
	s_wait_dscnt 0x0
	;;#ASMSTART
	v_dot2_f32_f16 v4, v0, v6, v4
	;;#ASMEND
	;;#ASMSTART
	v_dot2_f32_f16 v4, v1, v7, v4
	;;#ASMEND
	;;#ASMSTART
	v_dot2_f32_f16 v4, v2, v8, v4
	;;#ASMEND
	;;#ASMSTART
	v_dot2_f32_f16 v4, v3, v9, v4
	;;#ASMEND
	ds_load_b128 v[0:3], v65 offset:16
	ds_load_b128 v[6:9], v59 offset:112
	s_wait_dscnt 0x0
	;;#ASMSTART
	v_dot2_f32_f16 v4, v0, v6, v4
	;;#ASMEND
	;;#ASMSTART
	v_dot2_f32_f16 v4, v1, v7, v4
	;;#ASMEND
	;;#ASMSTART
	v_dot2_f32_f16 v4, v2, v8, v4
	;;#ASMEND
	;;#ASMSTART
	v_dot2_f32_f16 v4, v3, v9, v4
	;;#ASMEND
	ds_load_b128 v[0:3], v65 offset:32
	;; [unrolled: 15-line block ×5, first 2 shown]
	ds_load_b128 v[6:9], v59 offset:176
	s_wait_dscnt 0x0
	;;#ASMSTART
	v_dot2_f32_f16 v4, v0, v6, v4
	;;#ASMEND
	;;#ASMSTART
	v_dot2_f32_f16 v4, v1, v7, v4
	;;#ASMEND
	;; [unrolled: 3-line block ×4, first 2 shown]
	global_load_u16 v0, v5, s[34:35] scale_offset
	v_dual_cndmask_b32 v2, v41, v57, s4 :: v_dual_max_num_f32 v1, v80, v80
	v_cmp_gt_i32_e64 s4, 32, v75
	s_wait_loadcnt 0x0
	s_barrier_signal -1
	s_delay_alu instid0(VALU_DEP_2) | instskip(SKIP_2) | instid1(VALU_DEP_1)
	v_lshlrev_b32_e32 v2, 2, v2
	s_barrier_wait -1
	v_cvt_f32_f16_e32 v0, v0
	v_add_f32_e32 v0, v4, v0
	s_delay_alu instid0(VALU_DEP_1) | instskip(NEXT) | instid1(VALU_DEP_1)
	v_add_f32_e32 v3, 0x40051340, v0
	v_max_num_f32_e32 v1, v1, v3
	v_cndmask_b32_e64 v3, v41, v75, s4
	v_cmp_gt_i32_e64 s4, 32, v76
	ds_bpermute_b32 v2, v2, v1
	s_wait_dscnt 0x0
	v_dual_max_num_f32 v2, v2, v2 :: v_dual_lshlrev_b32 v3, 2, v3
	s_delay_alu instid0(VALU_DEP_1) | instskip(SKIP_3) | instid1(VALU_DEP_1)
	v_max_num_f32_e32 v1, v1, v2
	ds_bpermute_b32 v2, v3, v1
	s_wait_dscnt 0x0
	v_dual_cndmask_b32 v3, v41, v76, s4 :: v_dual_max_num_f32 v2, v2, v2
	v_dual_lshlrev_b32 v3, 2, v3 :: v_dual_max_num_f32 v1, v1, v2
	ds_bpermute_b32 v2, v3, v1
	s_wait_dscnt 0x0
	v_dual_max_num_f32 v2, v2, v2 :: v_dual_bitop2_b32 v77, 2, v41 bitop3:0x14
	s_delay_alu instid0(VALU_DEP_1) | instskip(NEXT) | instid1(VALU_DEP_2)
	v_cmp_gt_i32_e64 s4, 32, v77
	v_max_num_f32_e32 v1, v1, v2
	s_delay_alu instid0(VALU_DEP_2) | instskip(SKIP_1) | instid1(VALU_DEP_2)
	v_cndmask_b32_e64 v3, v41, v77, s4
	v_cmp_gt_i32_e64 s4, 32, v78
	v_lshlrev_b32_e32 v3, 2, v3
	ds_bpermute_b32 v2, v3, v1
	v_cndmask_b32_e64 v3, v41, v78, s4
	s_wait_dscnt 0x0
	s_delay_alu instid0(VALU_DEP_1) | instskip(NEXT) | instid1(VALU_DEP_1)
	v_dual_max_num_f32 v2, v2, v2 :: v_dual_lshlrev_b32 v3, 2, v3
	v_max_num_f32_e32 v1, v1, v2
	ds_bpermute_b32 v2, v3, v1
	s_wait_dscnt 0x0
	v_max_num_f32_e32 v2, v2, v2
	s_delay_alu instid0(VALU_DEP_1) | instskip(NEXT) | instid1(VALU_DEP_1)
	v_max_num_f32_e32 v58, v1, v2
	v_sub_f32_e32 v0, v0, v58
	s_delay_alu instid0(VALU_DEP_1) | instskip(NEXT) | instid1(VALU_DEP_1)
	v_mul_f32_e32 v1, 0x3fb8aa3b, v0
	v_fma_f32 v2, 0x3fb8aa3b, v0, -v1
	v_rndne_f32_e32 v3, v1
	s_delay_alu instid0(VALU_DEP_1) | instskip(SKIP_1) | instid1(VALU_DEP_2)
	v_dual_sub_f32 v1, v1, v3 :: v_dual_fmac_f32 v2, 0x32a5705f, v0
	v_cmp_ngt_f32_e64 s4, 0xc2ce8ed0, v0
	v_add_f32_e32 v1, v1, v2
	v_cvt_i32_f32_e32 v2, v3
	s_delay_alu instid0(VALU_DEP_2) | instskip(SKIP_1) | instid1(TRANS32_DEP_1)
	v_exp_f32_e32 v1, v1
	v_nop
	v_ldexp_f32 v1, v1, v2
	s_delay_alu instid0(VALU_DEP_1) | instskip(SKIP_1) | instid1(VALU_DEP_1)
	v_cndmask_b32_e64 v1, 0, v1, s4
	v_cmp_nlt_f32_e64 s4, 0x42b17218, v0
	v_cndmask_b32_e64 v79, 0x7f800000, v1, s4
	s_mul_u64 s[4:5], s[10:11], s[14:15]
	s_delay_alu instid0(SALU_CYCLE_1) | instskip(NEXT) | instid1(VALU_DEP_1)
	s_lshl_b64 s[4:5], s[4:5], 2
	v_cvt_f16_f32_e32 v0, v79
	s_add_nc_u64 s[4:5], s[8:9], s[4:5]
	ds_store_b16 v69, v0
	s_wait_xcnt 0x0
	s_and_saveexec_b32 s11, s3
	s_cbranch_execz .LBB46_17
; %bb.16:                               ;   in Loop: Header=BB46_11 Depth=1
	v_lshl_add_u64 v[0:1], v[50:51], 2, s[4:5]
	v_mov_b32_e32 v53, v45
	s_delay_alu instid0(VALU_DEP_1)
	v_add_nc_u64_e32 v[0:1], v[0:1], v[52:53]
	global_load_b128 v[0:3], v[0:1], off offset:128
	s_wait_loadcnt 0x0
	ds_store_b128 v71, v[0:3]
.LBB46_17:                              ;   in Loop: Header=BB46_11 Depth=1
	s_or_b32 exec_lo, exec_lo, s11
	v_lshl_add_u64 v[0:1], v[48:49], 2, s[4:5]
	v_add_nc_u32_e32 v82, 0x400, v62
	v_add_nc_u32_e32 v81, 0x800, v62
	v_sub_f32_e32 v80, v80, v58
	s_or_b32 s24, s10, 16
	v_add_nc_u64_e32 v[0:1], v[0:1], v[44:45]
	s_ashr_i32 s25, s24, 31
	s_delay_alu instid0(SALU_CYCLE_1)
	s_mul_u64 s[24:25], s[24:25], s[14:15]
	v_cmp_ngt_f32_e64 s4, 0xc2ce8ed0, v80
	v_cmp_nlt_f32_e64 s5, 0x42b17218, v80
	s_lshl_b64 s[24:25], s[24:25], 2
	global_load_b128 v[0:3], v[0:1], off
	s_add_nc_u64 s[24:25], s[8:9], s[24:25]
	s_wait_loadcnt 0x0
	ds_store_b128 v72, v[0:3]
	s_wait_dscnt 0x0
	s_barrier_signal -1
	s_barrier_wait -1
	ds_load_2addr_b64 v[36:39], v62 offset1:24
	ds_load_b128 v[28:31], v67
	ds_load_b128 v[4:7], v67 offset:16
	ds_load_2addr_b64 v[32:35], v62 offset0:48 offset1:72
	ds_load_2addr_b64 v[24:27], v62 offset0:96 offset1:120
	;; [unrolled: 1-line block ×7, first 2 shown]
	s_wait_dscnt 0x0
	s_barrier_signal -1
	s_barrier_wait -1
	s_and_saveexec_b32 s11, s3
	s_cbranch_execz .LBB46_19
; %bb.18:                               ;   in Loop: Header=BB46_11 Depth=1
	v_lshl_add_u64 v[84:85], v[50:51], 2, s[24:25]
	v_mov_b32_e32 v53, v45
	s_delay_alu instid0(VALU_DEP_1)
	v_add_nc_u64_e32 v[84:85], v[84:85], v[52:53]
	global_load_b128 v[84:87], v[84:85], off offset:128
	s_wait_loadcnt 0x0
	ds_store_b128 v71, v[84:87]
.LBB46_19:                              ;   in Loop: Header=BB46_11 Depth=1
	s_or_b32 exec_lo, exec_lo, s11
	v_lshl_add_u64 v[84:85], v[48:49], 2, s[24:25]
	v_mul_f32_e32 v53, 0x3fb8aa3b, v80
	s_delay_alu instid0(VALU_DEP_2) | instskip(NEXT) | instid1(VALU_DEP_2)
	v_add_nc_u64_e32 v[84:85], v[84:85], v[44:45]
	v_fma_f32 v83, 0x3fb8aa3b, v80, -v53
	v_rndne_f32_e32 v88, v53
	s_delay_alu instid0(VALU_DEP_2) | instskip(SKIP_4) | instid1(VALU_DEP_3)
	v_fmac_f32_e32 v83, 0x32a5705f, v80
	global_load_b128 v[84:87], v[84:85], off
	v_sub_f32_e32 v53, v53, v88
	v_cvt_i32_f32_e32 v80, v88
	v_and_b32_e32 v88, 0xffff, v29
	v_dual_lshrrev_b32 v29, 16, v29 :: v_dual_add_f32 v53, v53, v83
	s_delay_alu instid0(VALU_DEP_1) | instskip(NEXT) | instid1(VALU_DEP_2)
	v_mul_u32_u24_e32 v29, 0x10001, v29
	v_exp_f32_e32 v53, v53
	v_nop
	s_delay_alu instid0(TRANS32_DEP_1) | instskip(SKIP_1) | instid1(VALU_DEP_2)
	v_ldexp_f32 v53, v53, v80
	v_and_b32_e32 v80, 0xffff, v28
	v_dual_lshrrev_b32 v28, 16, v28 :: v_dual_cndmask_b32 v53, 0, v53, s4
	s_delay_alu instid0(VALU_DEP_2) | instskip(NEXT) | instid1(VALU_DEP_2)
	v_mul_u32_u24_e32 v80, 0x10001, v80
	v_mul_u32_u24_e32 v28, 0x10001, v28
	s_delay_alu instid0(VALU_DEP_3) | instskip(NEXT) | instid1(VALU_DEP_3)
	v_cndmask_b32_e64 v53, 0x7f800000, v53, s5
	v_pk_mul_f16 v36, v36, v80
	v_pk_mul_f16 v37, v37, v80
	s_delay_alu instid0(VALU_DEP_3) | instskip(SKIP_1) | instid1(VALU_DEP_2)
	v_cvt_f16_f32_e32 v83, v53
	v_fmac_f32_e32 v79, v74, v53
	v_and_b32_e32 v83, 0xffff, v83
	s_delay_alu instid0(VALU_DEP_1) | instskip(NEXT) | instid1(VALU_DEP_1)
	v_mul_u32_u24_e32 v83, 0x10001, v83
	v_pk_fma_f16 v36, v73, v83, v36
	v_pk_fma_f16 v37, v70, v83, v37
	v_mul_u32_u24_e32 v73, 0x10001, v88
	s_delay_alu instid0(VALU_DEP_3) | instskip(NEXT) | instid1(VALU_DEP_3)
	v_pk_fma_f16 v36, v38, v28, v36
	v_pk_fma_f16 v28, v39, v28, v37
	v_and_b32_e32 v38, 0xffff, v30
	v_lshrrev_b32_e32 v30, 16, v30
	s_delay_alu instid0(VALU_DEP_4) | instskip(NEXT) | instid1(VALU_DEP_4)
	v_pk_fma_f16 v32, v32, v73, v36
	v_pk_fma_f16 v28, v33, v73, v28
	s_delay_alu instid0(VALU_DEP_4)
	v_mul_u32_u24_e32 v36, 0x10001, v38
	v_and_b32_e32 v33, 0xffff, v31
	v_mul_u32_u24_e32 v30, 0x10001, v30
	v_pk_fma_f16 v32, v34, v29, v32
	v_pk_fma_f16 v28, v35, v29, v28
	v_lshrrev_b32_e32 v29, 16, v31
	v_mul_u32_u24_e32 v31, 0x10001, v33
	s_delay_alu instid0(VALU_DEP_4) | instskip(NEXT) | instid1(VALU_DEP_4)
	v_pk_fma_f16 v24, v24, v36, v32
	v_pk_fma_f16 v25, v25, v36, v28
	s_delay_alu instid0(VALU_DEP_4) | instskip(NEXT) | instid1(VALU_DEP_3)
	v_mul_u32_u24_e32 v28, 0x10001, v29
	v_pk_fma_f16 v24, v26, v30, v24
	s_delay_alu instid0(VALU_DEP_3) | instskip(SKIP_2) | instid1(VALU_DEP_4)
	v_pk_fma_f16 v25, v27, v30, v25
	v_and_b32_e32 v26, 0xffff, v4
	v_lshrrev_b32_e32 v4, 16, v4
	v_pk_fma_f16 v20, v20, v31, v24
	s_delay_alu instid0(VALU_DEP_4) | instskip(NEXT) | instid1(VALU_DEP_4)
	v_pk_fma_f16 v21, v21, v31, v25
	v_mul_u32_u24_e32 v24, 0x10001, v26
	s_delay_alu instid0(VALU_DEP_3) | instskip(NEXT) | instid1(VALU_DEP_3)
	v_pk_fma_f16 v20, v22, v28, v20
	v_pk_fma_f16 v21, v23, v28, v21
	v_and_b32_e32 v22, 0xffff, v5
	v_lshrrev_b32_e32 v5, 16, v5
	v_mul_u32_u24_e32 v4, 0x10001, v4
	v_pk_fma_f16 v16, v16, v24, v20
	v_pk_fma_f16 v17, v17, v24, v21
	v_mul_u32_u24_e32 v22, 0x10001, v22
	v_and_b32_e32 v20, 0xffff, v6
	v_mul_u32_u24_e32 v5, 0x10001, v5
	v_pk_fma_f16 v16, v18, v4, v16
	v_pk_fma_f16 v4, v19, v4, v17
	v_lshrrev_b32_e32 v6, 16, v6
	v_mul_u32_u24_e32 v20, 0x10001, v20
	s_delay_alu instid0(VALU_DEP_4) | instskip(NEXT) | instid1(VALU_DEP_4)
	v_pk_fma_f16 v12, v12, v22, v16
	v_pk_fma_f16 v4, v13, v22, v4
	v_and_b32_e32 v13, 0xffff, v7
	s_delay_alu instid0(VALU_DEP_3) | instskip(NEXT) | instid1(VALU_DEP_3)
	v_pk_fma_f16 v12, v14, v5, v12
	v_pk_fma_f16 v15, v15, v5, v4
	v_mul_u32_u24_e32 v14, 0x10001, v6
	s_delay_alu instid0(VALU_DEP_4) | instskip(NEXT) | instid1(VALU_DEP_4)
	v_mul_u32_u24_e32 v21, 0x10001, v13
	v_pk_fma_f16 v8, v8, v20, v12
	s_delay_alu instid0(VALU_DEP_4) | instskip(NEXT) | instid1(VALU_DEP_2)
	v_pk_fma_f16 v9, v9, v20, v15
	v_pk_fma_f16 v8, v10, v14, v8
	s_delay_alu instid0(VALU_DEP_2) | instskip(NEXT) | instid1(VALU_DEP_2)
	v_pk_fma_f16 v22, v11, v14, v9
	v_pk_fma_f16 v0, v0, v21, v8
	s_delay_alu instid0(VALU_DEP_2)
	v_pk_fma_f16 v1, v1, v21, v22
	s_wait_loadcnt 0x0
	ds_store_b128 v72, v[84:87]
	s_wait_dscnt 0x0
	s_barrier_signal -1
	s_barrier_wait -1
	ds_load_b128 v[16:19], v67 offset:32
	v_lshrrev_b32_e32 v12, 16, v7
	ds_load_2addr_b64 v[4:7], v62 offset1:24
	s_wait_dscnt 0x1
	v_and_b32_e32 v23, 0xffff, v16
	v_lshrrev_b32_e32 v16, 16, v16
	v_mul_u32_u24_e32 v20, 0x10001, v12
	ds_load_b128 v[8:11], v67 offset:48
	ds_load_2addr_b64 v[12:15], v62 offset0:48 offset1:72
	v_and_b32_e32 v24, 0xffff, v18
	v_mul_u32_u24_e32 v22, 0x10001, v23
	v_and_b32_e32 v23, 0xffff, v17
	v_pk_fma_f16 v21, v2, v20, v0
	v_pk_fma_f16 v20, v3, v20, v1
	ds_load_2addr_b64 v[0:3], v62 offset0:96 offset1:120
	v_mul_u32_u24_e32 v16, 0x10001, v16
	v_lshrrev_b32_e32 v17, 16, v17
	s_wait_dscnt 0x3
	v_pk_fma_f16 v4, v4, v22, v21
	v_pk_fma_f16 v5, v5, v22, v20
	v_mul_u32_u24_e32 v20, 0x10001, v23
	v_and_b32_e32 v28, 0xffff, v19
	s_delay_alu instid0(VALU_DEP_4) | instskip(NEXT) | instid1(VALU_DEP_4)
	v_pk_fma_f16 v21, v6, v16, v4
	v_pk_fma_f16 v16, v7, v16, v5
	ds_load_2addr_b64 v[4:7], v62 offset0:144 offset1:168
	s_wait_dscnt 0x2
	v_pk_fma_f16 v12, v12, v20, v21
	v_pk_fma_f16 v13, v13, v20, v16
	v_lshrrev_b32_e32 v16, 16, v18
	v_mul_u32_u24_e32 v17, 0x10001, v17
	v_mul_u32_u24_e32 v18, 0x10001, v24
	ds_load_2addr_b64 v[20:23], v62 offset0:192 offset1:216
	v_mul_u32_u24_e32 v16, 0x10001, v16
	v_pk_fma_f16 v24, v14, v17, v12
	v_pk_fma_f16 v17, v15, v17, v13
	ds_load_2addr_b64 v[12:15], v82 offset0:112 offset1:136
	s_wait_dscnt 0x3
	v_pk_fma_f16 v0, v0, v18, v24
	v_pk_fma_f16 v1, v1, v18, v17
	v_lshrrev_b32_e32 v17, 16, v19
	v_mul_u32_u24_e32 v18, 0x10001, v28
	v_and_b32_e32 v28, 0xffff, v8
	v_pk_fma_f16 v19, v2, v16, v0
	v_pk_fma_f16 v16, v3, v16, v1
	v_lshrrev_b32_e32 v8, 16, v8
	v_mul_u32_u24_e32 v17, 0x10001, v17
	ds_load_2addr_b64 v[24:27], v81 offset0:32 offset1:56
	s_wait_dscnt 0x3
	v_pk_fma_f16 v4, v4, v18, v19
	v_pk_fma_f16 v5, v5, v18, v16
	v_mul_u32_u24_e32 v16, 0x10001, v28
	ds_load_2addr_b64 v[0:3], v81 offset0:80 offset1:104
	s_wait_dscnt 0x0
	v_pk_fma_f16 v4, v6, v17, v4
	v_pk_fma_f16 v5, v7, v17, v5
	v_and_b32_e32 v6, 0xffff, v9
	v_mul_u32_u24_e32 v7, 0x10001, v8
	v_lshrrev_b32_e32 v8, 16, v9
	v_pk_fma_f16 v4, v20, v16, v4
	v_pk_fma_f16 v5, v21, v16, v5
	v_mul_u32_u24_e32 v6, 0x10001, v6
	s_barrier_signal -1
	s_barrier_wait -1
	v_pk_fma_f16 v4, v22, v7, v4
	v_pk_fma_f16 v5, v23, v7, v5
	v_and_b32_e32 v7, 0xffff, v10
	s_load_b32 s4, s[20:21], 0x4
	s_delay_alu instid0(VALU_DEP_3) | instskip(NEXT) | instid1(VALU_DEP_3)
	v_pk_fma_f16 v4, v12, v6, v4
	v_pk_fma_f16 v5, v13, v6, v5
	v_lshrrev_b32_e32 v6, 16, v10
	v_mul_u32_u24_e32 v8, 0x10001, v8
	v_mul_u32_u24_e32 v7, 0x10001, v7
	s_delay_alu instid0(VALU_DEP_3) | instskip(NEXT) | instid1(VALU_DEP_3)
	v_mul_u32_u24_e32 v6, 0x10001, v6
	v_pk_fma_f16 v4, v14, v8, v4
	v_pk_fma_f16 v5, v15, v8, v5
	v_and_b32_e32 v8, 0xffff, v11
	s_delay_alu instid0(VALU_DEP_3) | instskip(NEXT) | instid1(VALU_DEP_3)
	v_pk_fma_f16 v4, v24, v7, v4
	v_pk_fma_f16 v5, v25, v7, v5
	v_lshrrev_b32_e32 v7, 16, v11
	s_delay_alu instid0(VALU_DEP_4) | instskip(NEXT) | instid1(VALU_DEP_4)
	v_mul_u32_u24_e32 v8, 0x10001, v8
	v_pk_fma_f16 v4, v26, v6, v4
	s_delay_alu instid0(VALU_DEP_4) | instskip(NEXT) | instid1(VALU_DEP_4)
	v_pk_fma_f16 v5, v27, v6, v5
	v_mul_u32_u24_e32 v6, 0x10001, v7
	s_wait_kmcnt 0x0
	s_lshl_b32 s4, s4, 5
	v_pk_fma_f16 v0, v0, v8, v4
	v_pk_fma_f16 v1, v1, v8, v5
	s_add_co_i32 s10, s4, s10
	s_delay_alu instid0(SALU_CYCLE_1) | instskip(NEXT) | instid1(VALU_DEP_2)
	s_cmp_ge_i32 s10, s30
	v_pk_fma_f16 v73, v2, v6, v0
	s_delay_alu instid0(VALU_DEP_2)
	v_pk_fma_f16 v70, v3, v6, v1
	s_cbranch_scc1 .LBB46_21
; %bb.20:                               ;   in Loop: Header=BB46_11 Depth=1
	v_dual_mov_b32 v80, v58 :: v_dual_mov_b32 v74, v79
	s_branch .LBB46_11
.LBB46_21:
	v_mov_b32_e32 v1, v41
.LBB46_22:
	v_cmp_lt_i32_e32 vcc_lo, v57, v63
	s_cmp_lg_u64 s[12:13], 0
	s_cselect_b32 s3, -1, 0
	s_cmp_eq_u32 s38, 0
	v_cndmask_b32_e32 v0, v1, v57, vcc_lo
	v_cmp_lt_i32_e32 vcc_lo, v75, v63
	s_cselect_b32 s4, -1, 0
	s_delay_alu instid0(SALU_CYCLE_1) | instskip(NEXT) | instid1(VALU_DEP_2)
	s_and_b32 s3, s4, s3
	v_dual_cndmask_b32 v2, v1, v75, vcc_lo :: v_dual_lshlrev_b32 v0, 2, v0
	v_cmp_lt_i32_e32 vcc_lo, v76, v63
	s_delay_alu instid0(VALU_DEP_2) | instskip(SKIP_4) | instid1(VALU_DEP_2)
	v_lshlrev_b32_e32 v2, 2, v2
	ds_bpermute_b32 v0, v0, v79
	v_cndmask_b32_e32 v3, v1, v76, vcc_lo
	v_cmp_lt_i32_e32 vcc_lo, v77, v63
	s_wait_dscnt 0x0
	v_dual_add_f32 v0, v79, v0 :: v_dual_lshlrev_b32 v3, 2, v3
	ds_bpermute_b32 v2, v2, v0
	s_wait_dscnt 0x0
	v_add_f32_e32 v0, v0, v2
	ds_bpermute_b32 v2, v3, v0
	v_cndmask_b32_e32 v3, v1, v77, vcc_lo
	v_cmp_lt_i32_e32 vcc_lo, v78, v63
	v_cndmask_b32_e32 v1, v1, v78, vcc_lo
	s_and_b32 vcc_lo, exec_lo, s3
	s_wait_dscnt 0x0
	v_dual_add_f32 v0, v0, v2 :: v_dual_lshlrev_b32 v3, 2, v3
	ds_bpermute_b32 v2, v3, v0
	s_wait_dscnt 0x0
	v_dual_add_f32 v0, v0, v2 :: v_dual_lshlrev_b32 v1, 2, v1
	ds_bpermute_b32 v1, v1, v0
	s_wait_dscnt 0x0
	v_add_f32_e32 v59, v0, v1
	s_cbranch_vccz .LBB46_25
; %bb.23:
	v_add_nc_u32_e32 v0, s31, v40
	global_load_b32 v1, v0, s[12:13] scale_offset
	s_wait_loadcnt 0x0
	v_dual_max_num_f32 v0, v58, v58 :: v_dual_max_num_f32 v2, v1, v1
	s_delay_alu instid0(VALU_DEP_1) | instskip(NEXT) | instid1(VALU_DEP_1)
	v_max_num_f32_e32 v0, v0, v2
	v_sub_f32_e32 v2, v58, v0
	s_delay_alu instid0(VALU_DEP_1) | instskip(SKIP_2) | instid1(VALU_DEP_3)
	v_mul_f32_e32 v3, 0x3fb8aa3b, v2
	v_sub_f32_e32 v1, v1, v0
	v_cmp_ngt_f32_e32 vcc_lo, 0xc2ce8ed0, v2
	v_fma_f32 v4, 0x3fb8aa3b, v2, -v3
	v_rndne_f32_e32 v5, v3
	s_delay_alu instid0(VALU_DEP_1) | instskip(SKIP_2) | instid1(VALU_DEP_3)
	v_dual_fmac_f32 v4, 0x32a5705f, v2 :: v_dual_sub_f32 v3, v3, v5
	v_mul_f32_e32 v6, 0x3fb8aa3b, v1
	v_cvt_i32_f32_e32 v5, v5
	v_add_f32_e32 v3, v3, v4
	s_delay_alu instid0(VALU_DEP_3) | instskip(SKIP_1) | instid1(VALU_DEP_3)
	v_fma_f32 v7, 0x3fb8aa3b, v1, -v6
	v_rndne_f32_e32 v8, v6
	v_exp_f32_e32 v3, v3
	s_delay_alu instid0(VALU_DEP_2) | instskip(NEXT) | instid1(TRANS32_DEP_1)
	v_fmac_f32_e32 v7, 0x32a5705f, v1
	v_ldexp_f32 v3, v3, v5
	s_delay_alu instid0(VALU_DEP_3) | instskip(SKIP_1) | instid1(VALU_DEP_3)
	v_sub_f32_e32 v4, v6, v8
	v_cvt_i32_f32_e32 v5, v8
	v_cndmask_b32_e32 v3, 0, v3, vcc_lo
	v_cmp_nlt_f32_e32 vcc_lo, 0x42b17218, v2
	s_delay_alu instid0(VALU_DEP_2) | instskip(SKIP_2) | instid1(VALU_DEP_2)
	v_cndmask_b32_e32 v2, 0x7f800000, v3, vcc_lo
	v_add_f32_e32 v4, v4, v7
	v_cmp_ngt_f32_e32 vcc_lo, 0xc2ce8ed0, v1
	v_exp_f32_e32 v4, v4
	v_nop
	s_delay_alu instid0(TRANS32_DEP_1) | instskip(SKIP_1) | instid1(VALU_DEP_2)
	v_ldexp_f32 v3, v4, v5
	v_cvt_f16_f32_e32 v4, v2
	v_cndmask_b32_e32 v3, 0, v3, vcc_lo
	v_cmp_nlt_f32_e32 vcc_lo, 0x42b17218, v1
	s_delay_alu instid0(VALU_DEP_3) | instskip(NEXT) | instid1(VALU_DEP_3)
	v_and_b32_e32 v4, 0xffff, v4
	v_cndmask_b32_e32 v1, 0x7f800000, v3, vcc_lo
	s_delay_alu instid0(VALU_DEP_2) | instskip(NEXT) | instid1(VALU_DEP_2)
	v_mul_u32_u24_e32 v3, 0x10001, v4
	v_fmac_f32_e32 v1, v59, v2
	s_delay_alu instid0(VALU_DEP_2) | instskip(SKIP_1) | instid1(VALU_DEP_3)
	v_pk_mul_f16 v73, v73, v3
	v_pk_mul_f16 v70, v70, v3
	v_mov_b64_e32 v[58:59], v[0:1]
	v_add_nc_u32_e32 v0, s33, v61
	s_mov_b32 s3, exec_lo
	s_delay_alu instid0(VALU_DEP_1)
	v_cmpx_gt_i32_e64 s22, v0
	s_cbranch_execnz .LBB46_26
.LBB46_24:
	s_sendmsg sendmsg(MSG_DEALLOC_VGPRS)
	s_endpgm
.LBB46_25:
	s_delay_alu instid0(VALU_DEP_1) | instskip(SKIP_1) | instid1(VALU_DEP_1)
	v_dual_mov_b32 v1, v59 :: v_dual_add_nc_u32 v0, s33, v61
	s_mov_b32 s3, exec_lo
	v_cmpx_gt_i32_e64 s22, v0
	s_cbranch_execz .LBB46_24
.LBB46_26:
	v_mad_u32 v0, s28, s22, v0
	s_load_b32 s0, s[0:1], 0xd4
	v_add_nc_u32_e32 v2, s31, v40
	s_delay_alu instid0(VALU_DEP_1) | instskip(SKIP_2) | instid1(VALU_DEP_1)
	v_mad_u32 v0, v0, s23, v2
	s_wait_kmcnt 0x0
	s_cmp_lg_u32 s0, 1
	v_mad_u32 v0, s0, v0, s38
	s_cselect_b32 s0, -1, 0
	s_and_saveexec_b32 s1, s2
	s_cbranch_execz .LBB46_28
; %bb.27:
	v_div_scale_f32 v2, null, v1, v1, 1.0
	v_div_scale_f32 v5, vcc_lo, 1.0, v1, 1.0
	v_lshrrev_b32_e32 v7, 16, v70
	s_delay_alu instid0(VALU_DEP_3) | instskip(NEXT) | instid1(VALU_DEP_1)
	v_rcp_f32_e32 v3, v2
	v_cvt_f32_f16_e32 v7, v7
	s_delay_alu instid0(TRANS32_DEP_1) | instskip(NEXT) | instid1(VALU_DEP_1)
	v_fma_f32 v4, -v2, v3, 1.0
	v_fmac_f32_e32 v3, v4, v3
	s_delay_alu instid0(VALU_DEP_1) | instskip(NEXT) | instid1(VALU_DEP_1)
	v_mul_f32_e32 v4, v5, v3
	v_fma_f32 v6, -v2, v4, v5
	s_delay_alu instid0(VALU_DEP_1) | instskip(SKIP_1) | instid1(VALU_DEP_2)
	v_fmac_f32_e32 v4, v6, v3
	v_cvt_f32_f16_e32 v6, v70
	v_fma_f32 v2, -v2, v4, v5
	v_lshlrev_b32_e32 v5, 2, v60
	s_delay_alu instid0(VALU_DEP_2) | instskip(NEXT) | instid1(VALU_DEP_2)
	v_div_fmas_f32 v4, v2, v3, v4
	v_mad_u32 v2, 0x60, v0, v5
	v_dual_lshrrev_b32 v5, 16, v73 :: v_dual_mov_b32 v3, 0
	s_delay_alu instid0(VALU_DEP_3) | instskip(SKIP_1) | instid1(VALU_DEP_3)
	v_div_fixup_f32 v1, v4, v1, 1.0
	v_cvt_f32_f16_e32 v4, v73
	v_cvt_f32_f16_e32 v5, v5
	s_delay_alu instid0(VALU_DEP_3) | instskip(SKIP_1) | instid1(VALU_DEP_2)
	v_cndmask_b32_e64 v8, v1, 1.0, s0
	v_lshl_add_u64 v[10:11], v[2:3], 2, s[16:17]
	v_pk_mul_f32 v[2:3], v[8:9], v[4:5] op_sel_hi:[0,1]
	v_pk_mul_f32 v[4:5], v[8:9], v[6:7] op_sel_hi:[0,1]
	global_store_b128 v[10:11], v[2:5], off
.LBB46_28:
	s_wait_xcnt 0x0
	s_or_b32 exec_lo, exec_lo, s1
	v_cmp_eq_u32_e32 vcc_lo, 0, v60
	s_and_b32 s0, vcc_lo, s0
	s_delay_alu instid0(SALU_CYCLE_1)
	s_and_b32 exec_lo, exec_lo, s0
	s_cbranch_execz .LBB46_24
; %bb.29:
	global_store_b64 v0, v[58:59], s[18:19] scale_offset
	s_sendmsg sendmsg(MSG_DEALLOC_VGPRS)
	s_endpgm
	.section	.rodata,"a",@progbits
	.p2align	6, 0x0
	.amdhsa_kernel _ZL15flash_attn_tileILi96ELi96ELi2ELi2ELb0EEvPKcS1_S1_S1_S1_PKiPfP15HIP_vector_typeIfLj2EEffffjfiS5_IjLj3EEiiiiiiiiiiiliiliiiiil
		.amdhsa_group_segment_fixed_size 4736
		.amdhsa_private_segment_fixed_size 0
		.amdhsa_kernarg_size 464
		.amdhsa_user_sgpr_count 2
		.amdhsa_user_sgpr_dispatch_ptr 0
		.amdhsa_user_sgpr_queue_ptr 0
		.amdhsa_user_sgpr_kernarg_segment_ptr 1
		.amdhsa_user_sgpr_dispatch_id 0
		.amdhsa_user_sgpr_kernarg_preload_length 0
		.amdhsa_user_sgpr_kernarg_preload_offset 0
		.amdhsa_user_sgpr_private_segment_size 0
		.amdhsa_wavefront_size32 1
		.amdhsa_uses_dynamic_stack 0
		.amdhsa_enable_private_segment 0
		.amdhsa_system_sgpr_workgroup_id_x 1
		.amdhsa_system_sgpr_workgroup_id_y 1
		.amdhsa_system_sgpr_workgroup_id_z 1
		.amdhsa_system_sgpr_workgroup_info 0
		.amdhsa_system_vgpr_workitem_id 1
		.amdhsa_next_free_vgpr 89
		.amdhsa_next_free_sgpr 46
		.amdhsa_named_barrier_count 0
		.amdhsa_reserve_vcc 1
		.amdhsa_float_round_mode_32 0
		.amdhsa_float_round_mode_16_64 0
		.amdhsa_float_denorm_mode_32 3
		.amdhsa_float_denorm_mode_16_64 3
		.amdhsa_fp16_overflow 0
		.amdhsa_memory_ordered 1
		.amdhsa_forward_progress 1
		.amdhsa_inst_pref_size 41
		.amdhsa_round_robin_scheduling 0
		.amdhsa_exception_fp_ieee_invalid_op 0
		.amdhsa_exception_fp_denorm_src 0
		.amdhsa_exception_fp_ieee_div_zero 0
		.amdhsa_exception_fp_ieee_overflow 0
		.amdhsa_exception_fp_ieee_underflow 0
		.amdhsa_exception_fp_ieee_inexact 0
		.amdhsa_exception_int_div_zero 0
	.end_amdhsa_kernel
	.section	.text._ZL15flash_attn_tileILi96ELi96ELi2ELi2ELb0EEvPKcS1_S1_S1_S1_PKiPfP15HIP_vector_typeIfLj2EEffffjfiS5_IjLj3EEiiiiiiiiiiiliiliiiiil,"axG",@progbits,_ZL15flash_attn_tileILi96ELi96ELi2ELi2ELb0EEvPKcS1_S1_S1_S1_PKiPfP15HIP_vector_typeIfLj2EEffffjfiS5_IjLj3EEiiiiiiiiiiiliiliiiiil,comdat
.Lfunc_end46:
	.size	_ZL15flash_attn_tileILi96ELi96ELi2ELi2ELb0EEvPKcS1_S1_S1_S1_PKiPfP15HIP_vector_typeIfLj2EEffffjfiS5_IjLj3EEiiiiiiiiiiiliiliiiiil, .Lfunc_end46-_ZL15flash_attn_tileILi96ELi96ELi2ELi2ELb0EEvPKcS1_S1_S1_S1_PKiPfP15HIP_vector_typeIfLj2EEffffjfiS5_IjLj3EEiiiiiiiiiiiliiliiiiil
                                        ; -- End function
	.set _ZL15flash_attn_tileILi96ELi96ELi2ELi2ELb0EEvPKcS1_S1_S1_S1_PKiPfP15HIP_vector_typeIfLj2EEffffjfiS5_IjLj3EEiiiiiiiiiiiliiliiiiil.num_vgpr, 89
	.set _ZL15flash_attn_tileILi96ELi96ELi2ELi2ELb0EEvPKcS1_S1_S1_S1_PKiPfP15HIP_vector_typeIfLj2EEffffjfiS5_IjLj3EEiiiiiiiiiiiliiliiiiil.num_agpr, 0
	.set _ZL15flash_attn_tileILi96ELi96ELi2ELi2ELb0EEvPKcS1_S1_S1_S1_PKiPfP15HIP_vector_typeIfLj2EEffffjfiS5_IjLj3EEiiiiiiiiiiiliiliiiiil.numbered_sgpr, 46
	.set _ZL15flash_attn_tileILi96ELi96ELi2ELi2ELb0EEvPKcS1_S1_S1_S1_PKiPfP15HIP_vector_typeIfLj2EEffffjfiS5_IjLj3EEiiiiiiiiiiiliiliiiiil.num_named_barrier, 0
	.set _ZL15flash_attn_tileILi96ELi96ELi2ELi2ELb0EEvPKcS1_S1_S1_S1_PKiPfP15HIP_vector_typeIfLj2EEffffjfiS5_IjLj3EEiiiiiiiiiiiliiliiiiil.private_seg_size, 0
	.set _ZL15flash_attn_tileILi96ELi96ELi2ELi2ELb0EEvPKcS1_S1_S1_S1_PKiPfP15HIP_vector_typeIfLj2EEffffjfiS5_IjLj3EEiiiiiiiiiiiliiliiiiil.uses_vcc, 1
	.set _ZL15flash_attn_tileILi96ELi96ELi2ELi2ELb0EEvPKcS1_S1_S1_S1_PKiPfP15HIP_vector_typeIfLj2EEffffjfiS5_IjLj3EEiiiiiiiiiiiliiliiiiil.uses_flat_scratch, 0
	.set _ZL15flash_attn_tileILi96ELi96ELi2ELi2ELb0EEvPKcS1_S1_S1_S1_PKiPfP15HIP_vector_typeIfLj2EEffffjfiS5_IjLj3EEiiiiiiiiiiiliiliiiiil.has_dyn_sized_stack, 0
	.set _ZL15flash_attn_tileILi96ELi96ELi2ELi2ELb0EEvPKcS1_S1_S1_S1_PKiPfP15HIP_vector_typeIfLj2EEffffjfiS5_IjLj3EEiiiiiiiiiiiliiliiiiil.has_recursion, 0
	.set _ZL15flash_attn_tileILi96ELi96ELi2ELi2ELb0EEvPKcS1_S1_S1_S1_PKiPfP15HIP_vector_typeIfLj2EEffffjfiS5_IjLj3EEiiiiiiiiiiiliiliiiiil.has_indirect_call, 0
	.section	.AMDGPU.csdata,"",@progbits
; Kernel info:
; codeLenInByte = 5228
; TotalNumSgprs: 48
; NumVgprs: 89
; ScratchSize: 0
; MemoryBound: 0
; FloatMode: 240
; IeeeMode: 1
; LDSByteSize: 4736 bytes/workgroup (compile time only)
; SGPRBlocks: 0
; VGPRBlocks: 5
; NumSGPRsForWavesPerEU: 48
; NumVGPRsForWavesPerEU: 89
; NamedBarCnt: 0
; Occupancy: 10
; WaveLimiterHint : 1
; COMPUTE_PGM_RSRC2:SCRATCH_EN: 0
; COMPUTE_PGM_RSRC2:USER_SGPR: 2
; COMPUTE_PGM_RSRC2:TRAP_HANDLER: 0
; COMPUTE_PGM_RSRC2:TGID_X_EN: 1
; COMPUTE_PGM_RSRC2:TGID_Y_EN: 1
; COMPUTE_PGM_RSRC2:TGID_Z_EN: 1
; COMPUTE_PGM_RSRC2:TIDIG_COMP_CNT: 1
	.section	.text._ZL33flash_attn_stream_k_fixup_uniformILi96ELi2ELi2EEvPfPK15HIP_vector_typeIfLj2EEiiiiiiS1_IjLj3EES5_S5_,"axG",@progbits,_ZL33flash_attn_stream_k_fixup_uniformILi96ELi2ELi2EEvPfPK15HIP_vector_typeIfLj2EEiiiiiiS1_IjLj3EES5_S5_,comdat
	.globl	_ZL33flash_attn_stream_k_fixup_uniformILi96ELi2ELi2EEvPfPK15HIP_vector_typeIfLj2EEiiiiiiS1_IjLj3EES5_S5_ ; -- Begin function _ZL33flash_attn_stream_k_fixup_uniformILi96ELi2ELi2EEvPfPK15HIP_vector_typeIfLj2EEiiiiiiS1_IjLj3EES5_S5_
	.p2align	8
	.type	_ZL33flash_attn_stream_k_fixup_uniformILi96ELi2ELi2EEvPfPK15HIP_vector_typeIfLj2EEiiiiiiS1_IjLj3EES5_S5_,@function
_ZL33flash_attn_stream_k_fixup_uniformILi96ELi2ELi2EEvPfPK15HIP_vector_typeIfLj2EEiiiiiiS1_IjLj3EES5_S5_: ; @_ZL33flash_attn_stream_k_fixup_uniformILi96ELi2ELi2EEvPfPK15HIP_vector_typeIfLj2EEiiiiiiS1_IjLj3EES5_S5_
; %bb.0:
	s_load_b256 s[4:11], s[0:1], 0x1c
	s_bfe_u32 s2, ttmp6, 0x40014
	s_lshr_b32 s3, ttmp7, 16
	s_add_co_i32 s2, s2, 1
	s_bfe_u32 s13, ttmp6, 0x40010
	s_mul_i32 s2, s3, s2
	s_bfe_u32 s12, ttmp6, 0x40008
	s_and_b32 s15, ttmp7, 0xffff
	s_add_co_i32 s13, s13, 1
	s_bfe_u32 s14, ttmp6, 0x4000c
	s_add_co_i32 s2, s12, s2
	s_mul_i32 s12, s15, s13
	s_bfe_u32 s13, ttmp6, 0x40004
	s_add_co_i32 s14, s14, 1
	s_add_co_i32 s13, s13, s12
	s_and_b32 s12, ttmp6, 15
	s_mul_i32 s14, ttmp9, s14
	s_getreg_b32 s20, hwreg(HW_REG_IB_STS2, 6, 4)
	s_add_co_i32 s12, s12, s14
	s_load_b128 s[16:19], s[0:1], 0x3c
	s_cmp_eq_u32 s20, 0
	s_cselect_b32 s14, ttmp9, s12
	s_cselect_b32 s12, s15, s13
	s_wait_kmcnt 0x0
	s_mul_hi_u32 s7, s7, s14
	s_cselect_b32 s13, s3, s2
	s_add_co_i32 s2, s14, s7
	s_delay_alu instid0(SALU_CYCLE_1) | instskip(NEXT) | instid1(SALU_CYCLE_1)
	s_lshr_b32 s7, s2, s8
	s_mul_i32 s2, s7, s9
	s_delay_alu instid0(SALU_CYCLE_1) | instskip(NEXT) | instid1(SALU_CYCLE_1)
	s_sub_co_i32 s8, s14, s2
	s_mul_hi_u32 s2, s8, s10
	s_delay_alu instid0(SALU_CYCLE_1) | instskip(SKIP_2) | instid1(SALU_CYCLE_1)
	s_add_co_i32 s9, s8, s2
	s_load_b64 s[2:3], s[0:1], 0x10
	s_lshr_b32 s15, s9, s11
	s_mul_i32 s9, s15, s16
	s_delay_alu instid0(SALU_CYCLE_1) | instskip(NEXT) | instid1(SALU_CYCLE_1)
	s_sub_co_i32 s8, s8, s9
	s_mul_hi_u32 s9, s8, s17
	s_delay_alu instid0(SALU_CYCLE_1) | instskip(NEXT) | instid1(SALU_CYCLE_1)
	s_add_co_i32 s9, s8, s9
	s_lshr_b32 s9, s9, s18
	s_delay_alu instid0(SALU_CYCLE_1) | instskip(SKIP_2) | instid1(SALU_CYCLE_1)
	s_mul_i32 s10, s9, s19
	s_lshl_b32 s17, s9, 1
	s_sub_co_i32 s16, s8, s10
	s_lshl_b32 s8, s16, 1
	s_delay_alu instid0(SALU_CYCLE_1) | instskip(SKIP_4) | instid1(SALU_CYCLE_1)
	s_add_co_i32 s8, s8, s12
	s_wait_kmcnt 0x0
	s_cmp_lt_i32 s8, s2
	s_cselect_b32 s8, -1, 0
	s_add_co_i32 s17, s17, s13
	s_cmp_lt_i32 s17, s5
	s_cselect_b32 s9, -1, 0
	s_delay_alu instid0(SALU_CYCLE_1) | instskip(NEXT) | instid1(SALU_CYCLE_1)
	s_and_b32 s8, s8, s9
	s_and_not1_b32 vcc_lo, exec_lo, s8
	s_cbranch_vccnz .LBB47_6
; %bb.1:
	s_load_b128 s[8:11], s[0:1], 0x0
	s_wait_xcnt 0x0
	s_mul_i32 s0, s7, s2
	s_mul_i32 s15, s15, s5
	s_add_co_i32 s0, s0, s12
	s_add_co_i32 s1, s17, s15
	s_mul_i32 s0, s0, s3
	s_mul_i32 s2, s3, s16
	s_add_co_i32 s0, s1, s0
	s_mulk_i32 s2, 0xc0
	s_mulk_i32 s0, 0x60
	s_mul_i32 s7, s6, s14
	v_add3_u32 v4, s0, s2, v0
	s_lshl_b32 s5, s12, 1
	s_add_co_i32 s15, s7, s6
	s_add_co_i32 s0, s5, s13
	s_lshl_b32 s1, s15, 2
	v_ashrrev_i32_e32 v5, 31, v4
	s_add_co_i32 s0, s0, s1
	s_add_co_i32 s2, s15, -2
	s_add_co_i32 s0, s0, -4
	s_wait_kmcnt 0x0
	global_load_b32 v3, v4, s[8:9] scale_offset
	s_ashr_i32 s1, s0, 31
	s_delay_alu instid0(SALU_CYCLE_1)
	s_lshl_b64 s[0:1], s[0:1], 3
	s_cmp_lt_i32 s2, s7
	s_add_nc_u64 s[0:1], s[10:11], s[0:1]
	s_load_b32 s16, s[0:1], 0x4
	s_cbranch_scc1 .LBB47_4
; %bb.2:
	s_wait_xcnt 0x0
	s_load_b32 s0, s[0:1], 0x0
	s_add_co_i32 s14, s14, 1
	s_mulk_i32 s12, 0xc0
	s_wait_xcnt 0x0
	s_mul_i32 s1, s6, s14
	s_lshl_b32 s2, s4, 4
	s_lshl_b32 s6, s1, 2
	s_mulk_i32 s1, 0x180
	s_add_co_i32 s6, s13, s6
	s_mulk_i32 s13, 0x60
	s_lshl_b32 s4, s4, 2
	s_add_co_i32 s12, s13, s12
	s_ashr_i32 s3, s2, 31
	s_add_co_i32 s12, s12, s1
	s_add_co_i32 s1, s6, s4
	v_add3_u32 v0, s12, v0, 0xfffffd00
	s_wait_kmcnt 0x0
	v_mov_b32_e32 v2, s16
	s_lshl_b64 s[2:3], s[2:3], 2
	s_add_co_i32 s4, s1, s5
	s_add_nc_u64 s[2:3], s[10:11], s[2:3]
	s_add_co_i32 s1, s15, -1
	s_add_co_i32 s4, s4, -8
.LBB47_3:                               ; =>This Inner Loop Header: Depth=1
	global_load_b32 v7, v0, s[2:3] scale_offset
	s_ashr_i32 s5, s4, 31
	v_max_num_f32_e64 v1, s0, s0
	s_lshl_b64 s[12:13], s[4:5], 3
	s_delay_alu instid0(SALU_CYCLE_1) | instskip(SKIP_1) | instid1(VALU_DEP_1)
	s_add_nc_u64 s[12:13], s[10:11], s[12:13]
	s_load_b64 s[12:13], s[12:13], 0x0
	v_readfirstlane_b32 s5, v1
	v_add_nc_u32_e32 v0, 0xfffffe80, v0
	s_wait_kmcnt 0x0
	v_max_num_f32_e64 v1, s12, s12
	s_delay_alu instid0(VALU_DEP_1) | instskip(SKIP_1) | instid1(SALU_CYCLE_3)
	v_readfirstlane_b32 s6, v1
	s_max_num_f32 s5, s5, s6
	s_sub_f32 s0, s0, s5
	s_sub_f32 s6, s12, s5
	s_delay_alu instid0(SALU_CYCLE_2) | instskip(NEXT) | instid1(SALU_CYCLE_2)
	s_mul_f32 s12, s0, 0x3fb8aa3b
	s_mul_f32 s14, s6, 0x3fb8aa3b
	s_delay_alu instid0(SALU_CYCLE_2)
	s_xor_b32 s15, s12, 0x80000000
	s_rndne_f32 s16, s12
	s_fmamk_f32 s15, s0, 0x3fb8aa3b, s15
	s_cmp_nlt_f32 s0, 0xc2ce8ed0
	s_rndne_f32 s17, s14
	s_sub_f32 s12, s12, s16
	s_fmamk_f32 s15, s0, 0x32a5705f, s15
	s_cselect_b32 vcc_lo, -1, 0
	s_cmp_ngt_f32 s0, 0x42b17218
	s_delay_alu instid0(SALU_CYCLE_1) | instskip(SKIP_2) | instid1(SALU_CYCLE_1)
	s_add_f32 s12, s12, s15
	s_cvt_i32_f32 s15, s16
	s_sub_f32 s16, s14, s17
	v_s_exp_f32 s12, s12
	v_nop
	s_delay_alu instid0(TRANS32_DEP_1) | instskip(SKIP_1) | instid1(VALU_DEP_1)
	v_ldexp_f32 v1, s12, s15
	s_cvt_i32_f32 s12, s17
	v_cndmask_b32_e32 v1, 0, v1, vcc_lo
	s_cselect_b32 vcc_lo, -1, 0
	s_cmp_ge_f32 s0, 0xc1a00000
	s_delay_alu instid0(VALU_DEP_1)
	v_cndmask_b32_e32 v1, 0x7f800000, v1, vcc_lo
	s_cselect_b32 vcc_lo, -1, 0
	s_xor_b32 s0, s14, 0x80000000
	s_cmp_nlt_f32 s6, 0xc2ce8ed0
	s_fmamk_f32 s0, s6, 0x3fb8aa3b, s0
	v_cndmask_b32_e32 v10, 0, v1, vcc_lo
	s_delay_alu instid0(SALU_CYCLE_2) | instskip(NEXT) | instid1(SALU_CYCLE_3)
	s_fmamk_f32 s0, s6, 0x32a5705f, s0
	s_add_f32 s0, s16, s0
	s_delay_alu instid0(SALU_CYCLE_3) | instskip(SKIP_1) | instid1(TRANS32_DEP_1)
	v_s_exp_f32 s0, s0
	v_nop
	v_ldexp_f32 v6, s0, s12
	s_cselect_b32 s0, -1, 0
	s_cmp_ngt_f32 s6, 0x42b17218
	s_delay_alu instid0(VALU_DEP_1) | instskip(SKIP_2) | instid1(VALU_DEP_1)
	v_cndmask_b32_e64 v6, 0, v6, s0
	s_cselect_b32 s0, -1, 0
	s_cmp_ge_f32 s6, 0xc1a00000
	v_cndmask_b32_e64 v8, 0x7f800000, v6, s0
	s_cselect_b32 s0, -1, 0
	v_mov_b32_e32 v6, s13
	s_add_co_i32 s1, s1, -1
	s_add_co_i32 s4, s4, -4
	v_cndmask_b32_e64 v8, 0, v8, s0
	s_cmp_le_i32 s1, s7
	s_mov_b32 s0, s5
	s_wait_loadcnt 0x0
	s_delay_alu instid0(VALU_DEP_1) | instskip(NEXT) | instid1(VALU_DEP_1)
	v_pk_mul_f32 v[6:7], v[6:7], v[8:9] op_sel_hi:[1,0]
	v_pk_fma_f32 v[2:3], v[2:3], v[10:11], v[6:7] op_sel_hi:[1,0,1]
	s_cbranch_scc0 .LBB47_3
	s_branch .LBB47_5
.LBB47_4:
	s_wait_kmcnt 0x0
	v_mov_b32_e32 v2, s16
.LBB47_5:
	v_lshl_add_u64 v[0:1], v[4:5], 2, s[8:9]
	s_wait_loadcnt 0x0
	s_delay_alu instid0(VALU_DEP_2) | instskip(NEXT) | instid1(VALU_DEP_1)
	v_div_scale_f32 v4, null, v2, v2, v3
	v_rcp_f32_e32 v5, v4
	v_nop
	s_delay_alu instid0(TRANS32_DEP_1) | instskip(NEXT) | instid1(VALU_DEP_1)
	v_fma_f32 v6, -v4, v5, 1.0
	v_fmac_f32_e32 v5, v6, v5
	v_div_scale_f32 v6, vcc_lo, v3, v2, v3
	s_delay_alu instid0(VALU_DEP_1) | instskip(NEXT) | instid1(VALU_DEP_1)
	v_mul_f32_e32 v7, v6, v5
	v_fma_f32 v8, -v4, v7, v6
	s_delay_alu instid0(VALU_DEP_1) | instskip(NEXT) | instid1(VALU_DEP_1)
	v_fmac_f32_e32 v7, v8, v5
	v_fma_f32 v4, -v4, v7, v6
	s_delay_alu instid0(VALU_DEP_1) | instskip(NEXT) | instid1(VALU_DEP_1)
	v_div_fmas_f32 v4, v4, v5, v7
	v_div_fixup_f32 v2, v4, v2, v3
	global_store_b32 v[0:1], v2, off
.LBB47_6:
	s_endpgm
	.section	.rodata,"a",@progbits
	.p2align	6, 0x0
	.amdhsa_kernel _ZL33flash_attn_stream_k_fixup_uniformILi96ELi2ELi2EEvPfPK15HIP_vector_typeIfLj2EEiiiiiiS1_IjLj3EES5_S5_
		.amdhsa_group_segment_fixed_size 0
		.amdhsa_private_segment_fixed_size 0
		.amdhsa_kernarg_size 76
		.amdhsa_user_sgpr_count 2
		.amdhsa_user_sgpr_dispatch_ptr 0
		.amdhsa_user_sgpr_queue_ptr 0
		.amdhsa_user_sgpr_kernarg_segment_ptr 1
		.amdhsa_user_sgpr_dispatch_id 0
		.amdhsa_user_sgpr_kernarg_preload_length 0
		.amdhsa_user_sgpr_kernarg_preload_offset 0
		.amdhsa_user_sgpr_private_segment_size 0
		.amdhsa_wavefront_size32 1
		.amdhsa_uses_dynamic_stack 0
		.amdhsa_enable_private_segment 0
		.amdhsa_system_sgpr_workgroup_id_x 1
		.amdhsa_system_sgpr_workgroup_id_y 1
		.amdhsa_system_sgpr_workgroup_id_z 1
		.amdhsa_system_sgpr_workgroup_info 0
		.amdhsa_system_vgpr_workitem_id 0
		.amdhsa_next_free_vgpr 12
		.amdhsa_next_free_sgpr 21
		.amdhsa_named_barrier_count 0
		.amdhsa_reserve_vcc 1
		.amdhsa_float_round_mode_32 0
		.amdhsa_float_round_mode_16_64 0
		.amdhsa_float_denorm_mode_32 3
		.amdhsa_float_denorm_mode_16_64 3
		.amdhsa_fp16_overflow 0
		.amdhsa_memory_ordered 1
		.amdhsa_forward_progress 1
		.amdhsa_inst_pref_size 9
		.amdhsa_round_robin_scheduling 0
		.amdhsa_exception_fp_ieee_invalid_op 0
		.amdhsa_exception_fp_denorm_src 0
		.amdhsa_exception_fp_ieee_div_zero 0
		.amdhsa_exception_fp_ieee_overflow 0
		.amdhsa_exception_fp_ieee_underflow 0
		.amdhsa_exception_fp_ieee_inexact 0
		.amdhsa_exception_int_div_zero 0
	.end_amdhsa_kernel
	.section	.text._ZL33flash_attn_stream_k_fixup_uniformILi96ELi2ELi2EEvPfPK15HIP_vector_typeIfLj2EEiiiiiiS1_IjLj3EES5_S5_,"axG",@progbits,_ZL33flash_attn_stream_k_fixup_uniformILi96ELi2ELi2EEvPfPK15HIP_vector_typeIfLj2EEiiiiiiS1_IjLj3EES5_S5_,comdat
.Lfunc_end47:
	.size	_ZL33flash_attn_stream_k_fixup_uniformILi96ELi2ELi2EEvPfPK15HIP_vector_typeIfLj2EEiiiiiiS1_IjLj3EES5_S5_, .Lfunc_end47-_ZL33flash_attn_stream_k_fixup_uniformILi96ELi2ELi2EEvPfPK15HIP_vector_typeIfLj2EEiiiiiiS1_IjLj3EES5_S5_
                                        ; -- End function
	.set _ZL33flash_attn_stream_k_fixup_uniformILi96ELi2ELi2EEvPfPK15HIP_vector_typeIfLj2EEiiiiiiS1_IjLj3EES5_S5_.num_vgpr, 12
	.set _ZL33flash_attn_stream_k_fixup_uniformILi96ELi2ELi2EEvPfPK15HIP_vector_typeIfLj2EEiiiiiiS1_IjLj3EES5_S5_.num_agpr, 0
	.set _ZL33flash_attn_stream_k_fixup_uniformILi96ELi2ELi2EEvPfPK15HIP_vector_typeIfLj2EEiiiiiiS1_IjLj3EES5_S5_.numbered_sgpr, 21
	.set _ZL33flash_attn_stream_k_fixup_uniformILi96ELi2ELi2EEvPfPK15HIP_vector_typeIfLj2EEiiiiiiS1_IjLj3EES5_S5_.num_named_barrier, 0
	.set _ZL33flash_attn_stream_k_fixup_uniformILi96ELi2ELi2EEvPfPK15HIP_vector_typeIfLj2EEiiiiiiS1_IjLj3EES5_S5_.private_seg_size, 0
	.set _ZL33flash_attn_stream_k_fixup_uniformILi96ELi2ELi2EEvPfPK15HIP_vector_typeIfLj2EEiiiiiiS1_IjLj3EES5_S5_.uses_vcc, 1
	.set _ZL33flash_attn_stream_k_fixup_uniformILi96ELi2ELi2EEvPfPK15HIP_vector_typeIfLj2EEiiiiiiS1_IjLj3EES5_S5_.uses_flat_scratch, 0
	.set _ZL33flash_attn_stream_k_fixup_uniformILi96ELi2ELi2EEvPfPK15HIP_vector_typeIfLj2EEiiiiiiS1_IjLj3EES5_S5_.has_dyn_sized_stack, 0
	.set _ZL33flash_attn_stream_k_fixup_uniformILi96ELi2ELi2EEvPfPK15HIP_vector_typeIfLj2EEiiiiiiS1_IjLj3EES5_S5_.has_recursion, 0
	.set _ZL33flash_attn_stream_k_fixup_uniformILi96ELi2ELi2EEvPfPK15HIP_vector_typeIfLj2EEiiiiiiS1_IjLj3EES5_S5_.has_indirect_call, 0
	.section	.AMDGPU.csdata,"",@progbits
; Kernel info:
; codeLenInByte = 1084
; TotalNumSgprs: 23
; NumVgprs: 12
; ScratchSize: 0
; MemoryBound: 0
; FloatMode: 240
; IeeeMode: 1
; LDSByteSize: 0 bytes/workgroup (compile time only)
; SGPRBlocks: 0
; VGPRBlocks: 0
; NumSGPRsForWavesPerEU: 23
; NumVGPRsForWavesPerEU: 12
; NamedBarCnt: 0
; Occupancy: 16
; WaveLimiterHint : 0
; COMPUTE_PGM_RSRC2:SCRATCH_EN: 0
; COMPUTE_PGM_RSRC2:USER_SGPR: 2
; COMPUTE_PGM_RSRC2:TRAP_HANDLER: 0
; COMPUTE_PGM_RSRC2:TGID_X_EN: 1
; COMPUTE_PGM_RSRC2:TGID_Y_EN: 1
; COMPUTE_PGM_RSRC2:TGID_Z_EN: 1
; COMPUTE_PGM_RSRC2:TIDIG_COMP_CNT: 0
	.section	.text._ZL33flash_attn_stream_k_fixup_generalILi96ELi2ELi2EEvPfPK15HIP_vector_typeIfLj2EEiiiiS1_IjLj3EES5_S5_S5_,"axG",@progbits,_ZL33flash_attn_stream_k_fixup_generalILi96ELi2ELi2EEvPfPK15HIP_vector_typeIfLj2EEiiiiS1_IjLj3EES5_S5_S5_,comdat
	.globl	_ZL33flash_attn_stream_k_fixup_generalILi96ELi2ELi2EEvPfPK15HIP_vector_typeIfLj2EEiiiiS1_IjLj3EES5_S5_S5_ ; -- Begin function _ZL33flash_attn_stream_k_fixup_generalILi96ELi2ELi2EEvPfPK15HIP_vector_typeIfLj2EEiiiiS1_IjLj3EES5_S5_S5_
	.p2align	8
	.type	_ZL33flash_attn_stream_k_fixup_generalILi96ELi2ELi2EEvPfPK15HIP_vector_typeIfLj2EEiiiiS1_IjLj3EES5_S5_S5_,@function
_ZL33flash_attn_stream_k_fixup_generalILi96ELi2ELi2EEvPfPK15HIP_vector_typeIfLj2EEiiiiS1_IjLj3EES5_S5_S5_: ; @_ZL33flash_attn_stream_k_fixup_generalILi96ELi2ELi2EEvPfPK15HIP_vector_typeIfLj2EEiiiiS1_IjLj3EES5_S5_S5_
; %bb.0:
	s_clause 0x1
	s_load_b128 s[4:7], s[0:1], 0x10
	s_load_b32 s16, s[0:1], 0x50
	s_bfe_u32 s2, ttmp6, 0x4000c
	s_and_b32 s3, ttmp6, 15
	s_add_co_i32 s2, s2, 1
	s_getreg_b32 s15, hwreg(HW_REG_IB_STS2, 6, 4)
	s_mul_i32 s2, ttmp9, s2
	s_mov_b32 s17, 0
	s_add_co_i32 s3, s3, s2
	s_cmp_eq_u32 s15, 0
	s_cselect_b32 s2, ttmp9, s3
	s_delay_alu instid0(SALU_CYCLE_1) | instskip(SKIP_3) | instid1(SALU_CYCLE_1)
	s_ashr_i32 s3, s2, 31
	s_wait_kmcnt 0x0
	s_ashr_i32 s19, s7, 31
	s_mov_b32 s18, s7
	s_mul_u64 s[8:9], s[18:19], s[2:3]
	s_delay_alu instid0(SALU_CYCLE_1) | instskip(NEXT) | instid1(SALU_CYCLE_1)
	s_and_b64 s[10:11], s[8:9], 0xffffffff00000000
	s_cmp_lg_u64 s[10:11], 0
	s_cbranch_scc0 .LBB48_21
; %bb.1:
	s_add_nc_u64 s[10:11], s[16:17], 0
	s_mov_b32 s23, s17
	s_xor_b64 s[10:11], s[10:11], 0
	s_mov_b32 s27, s17
	s_cvt_f32_u32 s3, s10
	s_cvt_f32_u32 s7, s11
	s_sub_nc_u64 s[20:21], 0, s[10:11]
	s_delay_alu instid0(SALU_CYCLE_2) | instskip(NEXT) | instid1(SALU_CYCLE_3)
	s_fmamk_f32 s3, s7, 0x4f800000, s3
	v_s_rcp_f32 s3, s3
	s_delay_alu instid0(TRANS32_DEP_1) | instskip(NEXT) | instid1(SALU_CYCLE_3)
	s_mul_f32 s3, s3, 0x5f7ffffc
	s_mul_f32 s7, s3, 0x2f800000
	s_delay_alu instid0(SALU_CYCLE_3) | instskip(NEXT) | instid1(SALU_CYCLE_3)
	s_trunc_f32 s7, s7
	s_fmamk_f32 s3, s7, 0xcf800000, s3
	s_cvt_u32_f32 s13, s7
	s_delay_alu instid0(SALU_CYCLE_2) | instskip(NEXT) | instid1(SALU_CYCLE_3)
	s_cvt_u32_f32 s12, s3
	s_mul_u64 s[24:25], s[20:21], s[12:13]
	s_delay_alu instid0(SALU_CYCLE_1)
	s_mul_hi_u32 s29, s12, s25
	s_mul_i32 s28, s12, s25
	s_mul_hi_u32 s22, s12, s24
	s_mul_i32 s7, s13, s24
	s_add_nc_u64 s[22:23], s[22:23], s[28:29]
	s_mul_hi_u32 s3, s13, s24
	s_mul_hi_u32 s14, s13, s25
	s_add_co_u32 s7, s22, s7
	s_add_co_ci_u32 s26, s23, s3
	s_mul_i32 s24, s13, s25
	s_add_co_ci_u32 s25, s14, 0
	s_delay_alu instid0(SALU_CYCLE_1) | instskip(SKIP_3) | instid1(SALU_CYCLE_1)
	s_add_nc_u64 s[22:23], s[26:27], s[24:25]
	s_mov_b32 s25, s17
	s_add_co_u32 s12, s12, s22
	s_cselect_b32 s3, -1, 0
	s_cmp_lg_u32 s3, 0
	s_add_co_ci_u32 s13, s13, s23
	s_mov_b32 s23, s17
	s_mul_u64 s[20:21], s[20:21], s[12:13]
	s_delay_alu instid0(SALU_CYCLE_1)
	s_mul_hi_u32 s27, s12, s21
	s_mul_i32 s26, s12, s21
	s_mul_hi_u32 s22, s12, s20
	s_mul_i32 s7, s13, s20
	s_add_nc_u64 s[22:23], s[22:23], s[26:27]
	s_mul_hi_u32 s3, s13, s20
	s_mul_hi_u32 s14, s13, s21
	s_add_co_u32 s7, s22, s7
	s_add_co_ci_u32 s24, s23, s3
	s_mul_i32 s20, s13, s21
	s_add_co_ci_u32 s21, s14, 0
	s_mov_b32 s23, s17
	s_add_nc_u64 s[20:21], s[24:25], s[20:21]
	s_delay_alu instid0(SALU_CYCLE_1) | instskip(SKIP_1) | instid1(SALU_CYCLE_1)
	s_add_co_u32 s3, s12, s20
	s_cselect_b32 s7, -1, 0
	s_cmp_lg_u32 s7, 0
	s_add_co_ci_u32 s7, s13, s21
	s_ashr_i32 s12, s9, 31
	s_delay_alu instid0(SALU_CYCLE_1) | instskip(NEXT) | instid1(SALU_CYCLE_1)
	s_mov_b32 s13, s12
	s_add_nc_u64 s[20:21], s[8:9], s[12:13]
	s_delay_alu instid0(SALU_CYCLE_1) | instskip(NEXT) | instid1(SALU_CYCLE_1)
	s_xor_b64 s[20:21], s[20:21], s[12:13]
	s_mul_hi_u32 s27, s20, s7
	s_mul_i32 s26, s20, s7
	s_mul_hi_u32 s22, s20, s3
	s_mul_hi_u32 s14, s21, s3
	s_mul_i32 s3, s21, s3
	s_add_nc_u64 s[22:23], s[22:23], s[26:27]
	s_mul_hi_u32 s9, s21, s7
	s_add_co_u32 s3, s22, s3
	s_add_co_ci_u32 s24, s23, s14
	s_mul_i32 s26, s21, s7
	s_add_co_ci_u32 s27, s9, 0
	s_delay_alu instid0(SALU_CYCLE_1) | instskip(NEXT) | instid1(SALU_CYCLE_1)
	s_add_nc_u64 s[22:23], s[24:25], s[26:27]
	s_and_b64 s[24:25], s[22:23], 0xffffffff00000000
	s_delay_alu instid0(SALU_CYCLE_1) | instskip(NEXT) | instid1(SALU_CYCLE_1)
	s_or_b32 s24, s24, s22
	s_mul_u64 s[22:23], s[10:11], s[24:25]
	s_add_nc_u64 s[26:27], s[24:25], 1
	s_sub_co_u32 s3, s20, s22
	s_cselect_b32 s7, -1, 0
	s_sub_co_i32 s9, s21, s23
	s_cmp_lg_u32 s7, 0
	s_add_nc_u64 s[28:29], s[24:25], 2
	s_sub_co_ci_u32 s9, s9, s11
	s_sub_co_u32 s14, s3, s10
	s_cselect_b32 s20, -1, 0
	s_delay_alu instid0(SALU_CYCLE_1) | instskip(SKIP_1) | instid1(SALU_CYCLE_1)
	s_cmp_lg_u32 s20, 0
	s_sub_co_ci_u32 s9, s9, 0
	s_cmp_ge_u32 s9, s11
	s_cselect_b32 s20, -1, 0
	s_cmp_ge_u32 s14, s10
	s_cselect_b32 s14, -1, 0
	s_cmp_eq_u32 s9, s11
	s_cselect_b32 s9, s14, s20
	s_delay_alu instid0(SALU_CYCLE_1) | instskip(SKIP_4) | instid1(SALU_CYCLE_1)
	s_cmp_lg_u32 s9, 0
	s_cselect_b32 s9, s28, s26
	s_cselect_b32 s14, s29, s27
	s_cmp_lg_u32 s7, 0
	s_sub_co_ci_u32 s7, s21, s23
	s_cmp_ge_u32 s7, s11
	s_cselect_b32 s20, -1, 0
	s_cmp_ge_u32 s3, s10
	s_cselect_b32 s3, -1, 0
	s_cmp_eq_u32 s7, s11
	s_cselect_b32 s3, s3, s20
	s_delay_alu instid0(SALU_CYCLE_1) | instskip(SKIP_4) | instid1(SALU_CYCLE_1)
	s_cmp_lg_u32 s3, 0
	s_mov_b32 s3, s17
	s_cselect_b32 s11, s14, s25
	s_cselect_b32 s10, s9, s24
	s_xor_b64 s[12:13], s[12:13], 0
	s_xor_b64 s[10:11], s[10:11], s[12:13]
	s_delay_alu instid0(SALU_CYCLE_1)
	s_sub_nc_u64 s[20:21], s[10:11], s[12:13]
	s_and_not1_b32 vcc_lo, exec_lo, s3
	s_cbranch_vccnz .LBB48_3
.LBB48_2:
	v_cvt_f32_u32_e32 v1, s16
	s_sub_co_i32 s7, 0, s16
	s_mov_b32 s21, 0
	s_delay_alu instid0(VALU_DEP_1) | instskip(SKIP_1) | instid1(TRANS32_DEP_1)
	v_rcp_iflag_f32_e32 v1, v1
	v_nop
	v_mul_f32_e32 v1, 0x4f7ffffe, v1
	s_delay_alu instid0(VALU_DEP_1) | instskip(NEXT) | instid1(VALU_DEP_1)
	v_cvt_u32_f32_e32 v1, v1
	v_readfirstlane_b32 s3, v1
	s_mul_i32 s7, s7, s3
	s_delay_alu instid0(SALU_CYCLE_1) | instskip(NEXT) | instid1(SALU_CYCLE_1)
	s_mul_hi_u32 s7, s3, s7
	s_add_co_i32 s3, s3, s7
	s_delay_alu instid0(SALU_CYCLE_1) | instskip(NEXT) | instid1(SALU_CYCLE_1)
	s_mul_hi_u32 s3, s8, s3
	s_mul_i32 s7, s3, s16
	s_delay_alu instid0(SALU_CYCLE_1)
	s_sub_co_i32 s7, s8, s7
	s_add_co_i32 s8, s3, 1
	s_sub_co_i32 s9, s7, s16
	s_cmp_ge_u32 s7, s16
	s_cselect_b32 s3, s8, s3
	s_cselect_b32 s7, s9, s7
	s_add_co_i32 s8, s3, 1
	s_cmp_ge_u32 s7, s16
	s_cselect_b32 s20, s8, s3
.LBB48_3:
	s_add_co_i32 s8, s2, 1
	s_delay_alu instid0(SALU_CYCLE_1) | instskip(NEXT) | instid1(SALU_CYCLE_1)
	s_ashr_i32 s9, s8, 31
	s_mul_u64 s[8:9], s[18:19], s[8:9]
	s_delay_alu instid0(SALU_CYCLE_1) | instskip(NEXT) | instid1(SALU_CYCLE_1)
	s_and_b64 s[10:11], s[8:9], 0xffffffff00000000
	s_cmp_lg_u64 s[10:11], 0
	s_cbranch_scc0 .LBB48_22
; %bb.4:
	s_add_nc_u64 s[10:11], s[16:17], 0
	s_delay_alu instid0(SALU_CYCLE_1) | instskip(SKIP_4) | instid1(SALU_CYCLE_2)
	s_xor_b64 s[12:13], s[10:11], 0
	s_mov_b32 s11, 0
	s_cvt_f32_u32 s3, s12
	s_cvt_f32_u32 s7, s13
	s_sub_nc_u64 s[24:25], 0, s[12:13]
	s_fmamk_f32 s3, s7, 0x4f800000, s3
	s_delay_alu instid0(SALU_CYCLE_3) | instskip(NEXT) | instid1(TRANS32_DEP_1)
	v_s_rcp_f32 s3, s3
	s_mul_f32 s3, s3, 0x5f7ffffc
	s_delay_alu instid0(SALU_CYCLE_3) | instskip(NEXT) | instid1(SALU_CYCLE_3)
	s_mul_f32 s7, s3, 0x2f800000
	s_trunc_f32 s7, s7
	s_delay_alu instid0(SALU_CYCLE_3) | instskip(SKIP_1) | instid1(SALU_CYCLE_2)
	s_fmamk_f32 s3, s7, 0xcf800000, s3
	s_cvt_u32_f32 s23, s7
	s_cvt_u32_f32 s22, s3
	s_delay_alu instid0(SALU_CYCLE_3) | instskip(NEXT) | instid1(SALU_CYCLE_1)
	s_mul_u64 s[26:27], s[24:25], s[22:23]
	s_mul_hi_u32 s29, s22, s27
	s_mul_i32 s28, s22, s27
	s_mul_hi_u32 s10, s22, s26
	s_mul_i32 s7, s23, s26
	s_add_nc_u64 s[28:29], s[10:11], s[28:29]
	s_mul_hi_u32 s3, s23, s26
	s_mul_hi_u32 s14, s23, s27
	s_add_co_u32 s7, s28, s7
	s_add_co_ci_u32 s10, s29, s3
	s_mul_i32 s26, s23, s27
	s_add_co_ci_u32 s27, s14, 0
	s_delay_alu instid0(SALU_CYCLE_1) | instskip(NEXT) | instid1(SALU_CYCLE_1)
	s_add_nc_u64 s[26:27], s[10:11], s[26:27]
	s_add_co_u32 s22, s22, s26
	s_cselect_b32 s3, -1, 0
	s_delay_alu instid0(SALU_CYCLE_1) | instskip(SKIP_1) | instid1(SALU_CYCLE_1)
	s_cmp_lg_u32 s3, 0
	s_add_co_ci_u32 s23, s23, s27
	s_mul_u64 s[24:25], s[24:25], s[22:23]
	s_delay_alu instid0(SALU_CYCLE_1)
	s_mul_hi_u32 s27, s22, s25
	s_mul_i32 s26, s22, s25
	s_mul_hi_u32 s10, s22, s24
	s_mul_i32 s7, s23, s24
	s_add_nc_u64 s[26:27], s[10:11], s[26:27]
	s_mul_hi_u32 s3, s23, s24
	s_mul_hi_u32 s14, s23, s25
	s_add_co_u32 s7, s26, s7
	s_add_co_ci_u32 s10, s27, s3
	s_mul_i32 s24, s23, s25
	s_add_co_ci_u32 s25, s14, 0
	s_delay_alu instid0(SALU_CYCLE_1) | instskip(NEXT) | instid1(SALU_CYCLE_1)
	s_add_nc_u64 s[24:25], s[10:11], s[24:25]
	s_add_co_u32 s3, s22, s24
	s_cselect_b32 s7, -1, 0
	s_delay_alu instid0(SALU_CYCLE_1) | instskip(SKIP_2) | instid1(SALU_CYCLE_1)
	s_cmp_lg_u32 s7, 0
	s_add_co_ci_u32 s7, s23, s25
	s_ashr_i32 s22, s9, 31
	s_mov_b32 s23, s22
	s_delay_alu instid0(SALU_CYCLE_1) | instskip(NEXT) | instid1(SALU_CYCLE_1)
	s_add_nc_u64 s[24:25], s[8:9], s[22:23]
	s_xor_b64 s[24:25], s[24:25], s[22:23]
	s_delay_alu instid0(SALU_CYCLE_1)
	s_mul_hi_u32 s27, s24, s7
	s_mul_i32 s26, s24, s7
	s_mul_hi_u32 s10, s24, s3
	s_mul_hi_u32 s14, s25, s3
	s_mul_i32 s3, s25, s3
	s_add_nc_u64 s[26:27], s[10:11], s[26:27]
	s_mul_hi_u32 s9, s25, s7
	s_add_co_u32 s3, s26, s3
	s_add_co_ci_u32 s10, s27, s14
	s_mul_i32 s28, s25, s7
	s_add_co_ci_u32 s29, s9, 0
	s_delay_alu instid0(SALU_CYCLE_1) | instskip(NEXT) | instid1(SALU_CYCLE_1)
	s_add_nc_u64 s[26:27], s[10:11], s[28:29]
	s_and_b64 s[28:29], s[26:27], 0xffffffff00000000
	s_delay_alu instid0(SALU_CYCLE_1) | instskip(NEXT) | instid1(SALU_CYCLE_1)
	s_or_b32 s28, s28, s26
	s_mul_u64 s[26:27], s[12:13], s[28:29]
	s_add_nc_u64 s[30:31], s[28:29], 1
	s_sub_co_u32 s3, s24, s26
	s_cselect_b32 s7, -1, 0
	s_sub_co_i32 s9, s25, s27
	s_cmp_lg_u32 s7, 0
	s_add_nc_u64 s[34:35], s[28:29], 2
	s_sub_co_ci_u32 s9, s9, s13
	s_sub_co_u32 s10, s3, s12
	s_cselect_b32 s14, -1, 0
	s_delay_alu instid0(SALU_CYCLE_1) | instskip(SKIP_1) | instid1(SALU_CYCLE_1)
	s_cmp_lg_u32 s14, 0
	s_sub_co_ci_u32 s9, s9, 0
	s_cmp_ge_u32 s9, s13
	s_cselect_b32 s14, -1, 0
	s_cmp_ge_u32 s10, s12
	s_cselect_b32 s10, -1, 0
	s_cmp_eq_u32 s9, s13
	s_cselect_b32 s9, s10, s14
	s_delay_alu instid0(SALU_CYCLE_1) | instskip(SKIP_4) | instid1(SALU_CYCLE_1)
	s_cmp_lg_u32 s9, 0
	s_cselect_b32 s9, s34, s30
	s_cselect_b32 s10, s35, s31
	s_cmp_lg_u32 s7, 0
	s_sub_co_ci_u32 s7, s25, s27
	s_cmp_ge_u32 s7, s13
	s_cselect_b32 s14, -1, 0
	s_cmp_ge_u32 s3, s12
	s_cselect_b32 s3, -1, 0
	s_cmp_eq_u32 s7, s13
	s_cselect_b32 s3, s3, s14
	s_delay_alu instid0(SALU_CYCLE_1) | instskip(SKIP_3) | instid1(SALU_CYCLE_1)
	s_cmp_lg_u32 s3, 0
	s_cselect_b32 s13, s10, s29
	s_cselect_b32 s12, s9, s28
	s_xor_b64 s[22:23], s[22:23], 0
	s_xor_b64 s[12:13], s[12:13], s[22:23]
	s_delay_alu instid0(SALU_CYCLE_1)
	s_sub_nc_u64 s[24:25], s[12:13], s[22:23]
	s_load_b96 s[12:14], s[0:1], 0x44
	s_cbranch_execnz .LBB48_6
.LBB48_5:
	v_cvt_f32_u32_e32 v1, s16
	s_sub_co_i32 s7, 0, s16
	s_delay_alu instid0(VALU_DEP_1) | instskip(SKIP_1) | instid1(TRANS32_DEP_1)
	v_rcp_iflag_f32_e32 v1, v1
	v_nop
	v_mul_f32_e32 v1, 0x4f7ffffe, v1
	s_delay_alu instid0(VALU_DEP_1) | instskip(NEXT) | instid1(VALU_DEP_1)
	v_cvt_u32_f32_e32 v1, v1
	v_readfirstlane_b32 s3, v1
	s_mul_i32 s7, s7, s3
	s_delay_alu instid0(SALU_CYCLE_1) | instskip(NEXT) | instid1(SALU_CYCLE_1)
	s_mul_hi_u32 s7, s3, s7
	s_add_co_i32 s3, s3, s7
	s_delay_alu instid0(SALU_CYCLE_1) | instskip(NEXT) | instid1(SALU_CYCLE_1)
	s_mul_hi_u32 s3, s8, s3
	s_mul_i32 s7, s3, s16
	s_delay_alu instid0(SALU_CYCLE_1)
	s_sub_co_i32 s7, s8, s7
	s_add_co_i32 s8, s3, 1
	s_sub_co_i32 s9, s7, s16
	s_cmp_ge_u32 s7, s16
	s_cselect_b32 s3, s8, s3
	s_cselect_b32 s7, s9, s7
	s_add_co_i32 s8, s3, 1
	s_cmp_ge_u32 s7, s16
	s_cselect_b32 s24, s8, s3
.LBB48_6:
	s_delay_alu instid0(SALU_CYCLE_1)
	s_cmp_eq_u32 s20, s24
	s_mov_b64 s[8:9], 0xffffffff
	s_cselect_b32 s3, -1, 0
	s_and_b64 s[8:9], s[20:21], s[8:9]
	s_mov_b32 s23, 0
	s_wait_kmcnt 0x0
	s_mov_b32 s22, s12
	s_mov_b32 s25, s23
	s_mul_u64 s[10:11], s[8:9], s[22:23]
	s_delay_alu instid0(SALU_CYCLE_1) | instskip(SKIP_2) | instid1(SALU_CYCLE_1)
	s_add_co_i32 s7, s11, s20
	s_mul_u64 s[10:11], s[24:25], s[22:23]
	s_lshr_b32 s12, s7, s13
	s_mul_i32 s7, s12, s14
	s_delay_alu instid0(SALU_CYCLE_1) | instskip(SKIP_2) | instid1(SALU_CYCLE_1)
	s_cmp_eq_u32 s7, s20
	s_cselect_b32 s7, -1, 0
	s_add_co_i32 s10, s11, s24
	s_lshr_b32 s10, s10, s13
	s_delay_alu instid0(SALU_CYCLE_1)
	s_cmp_eq_u32 s12, s10
	s_mul_i32 s10, s10, s14
	s_cselect_b32 s11, -1, 0
	s_cmp_lg_u32 s10, s24
	s_cselect_b32 s10, -1, 0
	s_or_b32 s3, s3, s7
	s_and_b32 s10, s11, s10
	s_delay_alu instid0(SALU_CYCLE_1) | instskip(NEXT) | instid1(SALU_CYCLE_1)
	s_or_b32 s3, s3, s10
	s_and_b32 vcc_lo, exec_lo, s3
	s_cbranch_vccnz .LBB48_24
; %bb.7:
	s_load_b256 s[24:31], s[0:1], 0x20
	s_bfe_u32 s7, ttmp6, 0x40014
	s_bfe_u32 s33, ttmp6, 0x40010
	s_lshr_b32 s3, ttmp7, 16
	s_add_co_i32 s7, s7, 1
	s_and_b32 s21, ttmp7, 0xffff
	s_add_co_i32 s33, s33, 1
	s_bfe_u32 s10, ttmp6, 0x40008
	s_mul_i32 s7, s3, s7
	s_bfe_u32 s34, ttmp6, 0x40004
	s_mul_i32 s33, s21, s33
	s_mov_b32 s11, s23
	s_add_co_i32 s35, s10, s7
	s_add_co_i32 s34, s34, s33
	s_cmp_eq_u32 s15, 0
	s_cselect_b32 s7, s21, s34
	s_cselect_b32 s3, s3, s35
	s_wait_kmcnt 0x0
	s_mov_b32 s10, s24
	s_delay_alu instid0(SALU_CYCLE_1) | instskip(NEXT) | instid1(SALU_CYCLE_1)
	s_mul_u64 s[8:9], s[8:9], s[10:11]
	s_add_co_i32 s8, s9, s20
	s_delay_alu instid0(SALU_CYCLE_1) | instskip(SKIP_2) | instid1(SALU_CYCLE_1)
	s_lshr_b32 s15, s8, s25
	s_load_b32 s8, s[0:1], 0x40
	s_mul_i32 s9, s15, s26
	s_sub_co_i32 s9, s20, s9
	s_delay_alu instid0(SALU_CYCLE_1) | instskip(NEXT) | instid1(SALU_CYCLE_1)
	s_mul_hi_u32 s10, s9, s27
	s_add_co_i32 s10, s9, s10
	s_delay_alu instid0(SALU_CYCLE_1) | instskip(NEXT) | instid1(SALU_CYCLE_1)
	s_lshr_b32 s21, s10, s28
	s_mul_i32 s10, s21, s29
	s_delay_alu instid0(SALU_CYCLE_1) | instskip(NEXT) | instid1(SALU_CYCLE_1)
	s_sub_co_i32 s10, s9, s10
	s_mul_hi_u32 s9, s10, s30
	s_delay_alu instid0(SALU_CYCLE_1) | instskip(NEXT) | instid1(SALU_CYCLE_1)
	s_add_co_i32 s9, s10, s9
	s_lshr_b32 s25, s9, s31
	s_mov_b32 s9, s23
	s_wait_kmcnt 0x0
	s_mul_i32 s8, s25, s8
	s_lshl_b32 s25, s25, 1
	s_sub_co_i32 s8, s10, s8
	s_delay_alu instid0(SALU_CYCLE_1) | instskip(NEXT) | instid1(SALU_CYCLE_1)
	s_mul_u64 s[10:11], s[8:9], s[22:23]
	s_add_co_i32 s8, s8, s11
	s_delay_alu instid0(SALU_CYCLE_1) | instskip(NEXT) | instid1(SALU_CYCLE_1)
	s_lshr_b32 s24, s8, s13
	s_lshl_b32 s8, s24, 1
	s_delay_alu instid0(SALU_CYCLE_1) | instskip(NEXT) | instid1(SALU_CYCLE_1)
	s_add_co_i32 s8, s8, s7
	s_cmp_lt_i32 s8, s4
	s_cselect_b32 s8, -1, 0
	s_add_co_i32 s25, s25, s3
	s_delay_alu instid0(SALU_CYCLE_1) | instskip(SKIP_1) | instid1(SALU_CYCLE_1)
	s_cmp_lt_i32 s25, s6
	s_cselect_b32 s9, -1, 0
	s_and_b32 s8, s8, s9
	s_delay_alu instid0(SALU_CYCLE_1)
	s_and_not1_b32 vcc_lo, exec_lo, s8
	s_cbranch_vccnz .LBB48_24
; %bb.8:
	s_load_b128 s[8:11], s[0:1], 0x0
	s_wait_xcnt 0x0
	s_mul_i32 s0, s15, s4
	s_mul_i32 s21, s21, s6
	s_add_co_i32 s0, s0, s7
	s_add_co_i32 s1, s25, s21
	s_mul_i32 s0, s0, s5
	s_mul_i32 s4, s5, s24
	s_add_co_i32 s0, s1, s0
	s_mulk_i32 s4, 0xc0
	s_mulk_i32 s0, 0x60
	s_lshl_b32 s15, s7, 1
	v_add3_u32 v2, s4, s0, v0
	s_add_nc_u64 s[0:1], s[16:17], 0
	s_add_co_i32 s15, s15, s3
	s_xor_b64 s[6:7], s[0:1], 0
	s_lshl_b32 s0, s2, 2
	s_cvt_f32_u32 s3, s6
	s_cvt_f32_u32 s4, s7
	s_add_co_i32 s0, s15, s0
	v_cvt_f32_u32_e32 v4, s16
	s_wait_kmcnt 0x0
	global_load_b32 v1, v2, s[8:9] scale_offset
	s_fmamk_f32 s3, s4, 0x4f800000, s3
	s_ashr_i32 s1, s0, 31
	s_lshl_b32 s24, s16, 4
	s_lshl_b64 s[0:1], s[0:1], 3
	v_s_rcp_f32 s3, s3
	s_add_nc_u64 s[0:1], s[10:11], s[0:1]
	v_rcp_iflag_f32_e32 v4, v4
	s_load_b64 s[28:29], s[0:1], 0x0
	s_mov_b32 s25, 0
	v_mad_u32 v6, 0x60, s15, v0
	v_ashrrev_i32_e32 v3, 31, v2
	s_wait_xcnt 0x0
	s_lshl_b64 s[0:1], s[24:25], 2
	s_mul_f32 s3, s3, 0x5f7ffffc
	v_mul_f32_e32 v4, 0x4f7ffffe, v4
	s_add_nc_u64 s[26:27], s[10:11], s[0:1]
	v_lshl_add_u64 v[2:3], v[2:3], 2, s[8:9]
	s_mul_f32 s4, s3, 0x2f800000
	s_mov_b64 s[8:9], 0xffffffff
	v_cvt_u32_f32_e32 v7, v4
	s_add_co_i32 s36, s2, -1
	s_trunc_f32 s4, s4
	s_sub_nc_u64 s[34:35], 0, s[6:7]
	s_delay_alu instid0(SALU_CYCLE_2)
	s_fmamk_f32 s0, s4, 0xcf800000, s3
	s_cvt_u32_f32 s31, s4
	s_wait_kmcnt 0x0
	v_mov_b32_e32 v0, s29
	s_cvt_u32_f32 s30, s0
.LBB48_9:                               ; =>This Inner Loop Header: Depth=1
	s_ashr_i32 s37, s36, 31
                                        ; implicit-def: $sgpr40_sgpr41
	s_delay_alu instid0(SALU_CYCLE_1) | instskip(NEXT) | instid1(SALU_CYCLE_1)
	s_mul_u64 s[0:1], s[36:37], s[18:19]
	s_and_b64 s[2:3], s[0:1], 0xffffffff00000000
	s_delay_alu instid0(SALU_CYCLE_1)
	s_cmp_lg_u64 s[2:3], 0
	s_mov_b32 s2, -1
	s_cbranch_scc0 .LBB48_11
; %bb.10:                               ;   in Loop: Header=BB48_9 Depth=1
	s_mul_u64 s[2:3], s[34:35], s[30:31]
	s_delay_alu instid0(SALU_CYCLE_1)
	s_mul_hi_u32 s5, s30, s3
	s_mul_i32 s4, s30, s3
	s_mul_hi_u32 s24, s30, s2
	s_mul_hi_u32 s17, s31, s2
	s_add_nc_u64 s[4:5], s[24:25], s[4:5]
	s_mul_i32 s2, s31, s2
	s_mul_hi_u32 s21, s31, s3
	s_add_co_u32 s2, s4, s2
	s_add_co_ci_u32 s24, s5, s17
	s_add_co_ci_u32 s5, s21, 0
	s_mul_i32 s4, s31, s3
	s_delay_alu instid0(SALU_CYCLE_1) | instskip(NEXT) | instid1(SALU_CYCLE_1)
	s_add_nc_u64 s[2:3], s[24:25], s[4:5]
	s_add_co_u32 s2, s30, s2
	s_cselect_b32 s4, -1, 0
	s_delay_alu instid0(SALU_CYCLE_1) | instskip(SKIP_1) | instid1(SALU_CYCLE_1)
	s_cmp_lg_u32 s4, 0
	s_add_co_ci_u32 s3, s31, s3
	s_mul_u64 s[4:5], s[34:35], s[2:3]
	s_delay_alu instid0(SALU_CYCLE_1)
	s_mul_hi_u32 s39, s2, s5
	s_mul_i32 s38, s2, s5
	s_mul_hi_u32 s24, s2, s4
	s_mul_hi_u32 s17, s3, s4
	s_mul_i32 s4, s3, s4
	s_add_nc_u64 s[38:39], s[24:25], s[38:39]
	s_mul_hi_u32 s21, s3, s5
	s_add_co_u32 s4, s38, s4
	s_add_co_ci_u32 s24, s39, s17
	s_mul_i32 s4, s3, s5
	s_add_co_ci_u32 s5, s21, 0
	s_delay_alu instid0(SALU_CYCLE_1) | instskip(NEXT) | instid1(SALU_CYCLE_1)
	s_add_nc_u64 s[4:5], s[24:25], s[4:5]
	s_add_co_u32 s17, s2, s4
	s_cselect_b32 s2, -1, 0
	s_delay_alu instid0(SALU_CYCLE_1) | instskip(SKIP_2) | instid1(SALU_CYCLE_1)
	s_cmp_lg_u32 s2, 0
	s_add_co_ci_u32 s21, s3, s5
	s_ashr_i32 s2, s1, 31
	s_mov_b32 s3, s2
	s_delay_alu instid0(SALU_CYCLE_1) | instskip(NEXT) | instid1(SALU_CYCLE_1)
	s_add_nc_u64 s[4:5], s[0:1], s[2:3]
	s_xor_b64 s[4:5], s[4:5], s[2:3]
	s_delay_alu instid0(SALU_CYCLE_1)
	s_mul_hi_u32 s39, s4, s21
	s_mul_i32 s38, s4, s21
	s_mul_hi_u32 s24, s4, s17
	s_mul_hi_u32 s29, s5, s17
	s_mul_i32 s17, s5, s17
	s_add_nc_u64 s[38:39], s[24:25], s[38:39]
	s_mul_hi_u32 s1, s5, s21
	s_add_co_u32 s17, s38, s17
	s_add_co_ci_u32 s24, s39, s29
	s_mul_i32 s40, s5, s21
	s_add_co_ci_u32 s41, s1, 0
	s_delay_alu instid0(SALU_CYCLE_1) | instskip(NEXT) | instid1(SALU_CYCLE_1)
	s_add_nc_u64 s[38:39], s[24:25], s[40:41]
	s_and_b64 s[40:41], s[38:39], 0xffffffff00000000
	s_delay_alu instid0(SALU_CYCLE_1) | instskip(NEXT) | instid1(SALU_CYCLE_1)
	s_or_b32 s40, s40, s38
	s_mul_u64 s[38:39], s[6:7], s[40:41]
	s_add_nc_u64 s[42:43], s[40:41], 1
	s_sub_co_u32 s1, s4, s38
	s_cselect_b32 s4, -1, 0
	s_sub_co_i32 s17, s5, s39
	s_cmp_lg_u32 s4, 0
	s_add_nc_u64 s[44:45], s[40:41], 2
	s_sub_co_ci_u32 s17, s17, s7
	s_sub_co_u32 s21, s1, s6
	s_cselect_b32 s24, -1, 0
	s_delay_alu instid0(SALU_CYCLE_1) | instskip(SKIP_1) | instid1(SALU_CYCLE_1)
	s_cmp_lg_u32 s24, 0
	s_sub_co_ci_u32 s17, s17, 0
	s_cmp_ge_u32 s17, s7
	s_cselect_b32 s24, -1, 0
	s_cmp_ge_u32 s21, s6
	s_cselect_b32 s21, -1, 0
	s_cmp_eq_u32 s17, s7
	s_cselect_b32 s17, s21, s24
	s_delay_alu instid0(SALU_CYCLE_1) | instskip(SKIP_4) | instid1(SALU_CYCLE_1)
	s_cmp_lg_u32 s17, 0
	s_cselect_b32 s17, s44, s42
	s_cselect_b32 s21, s45, s43
	s_cmp_lg_u32 s4, 0
	s_sub_co_ci_u32 s4, s5, s39
	s_cmp_ge_u32 s4, s7
	s_cselect_b32 s5, -1, 0
	s_cmp_ge_u32 s1, s6
	s_cselect_b32 s1, -1, 0
	s_cmp_eq_u32 s4, s7
	s_cselect_b32 s1, s1, s5
	s_delay_alu instid0(SALU_CYCLE_1) | instskip(SKIP_3) | instid1(SALU_CYCLE_1)
	s_cmp_lg_u32 s1, 0
	s_cselect_b32 s5, s21, s41
	s_cselect_b32 s4, s17, s40
	s_xor_b64 s[2:3], s[2:3], 0
	s_xor_b64 s[4:5], s[4:5], s[2:3]
	s_delay_alu instid0(SALU_CYCLE_1)
	s_sub_nc_u64 s[40:41], s[4:5], s[2:3]
	s_mov_b32 s2, 0
.LBB48_11:                              ;   in Loop: Header=BB48_9 Depth=1
	s_delay_alu instid0(SALU_CYCLE_1)
	s_and_not1_b32 vcc_lo, exec_lo, s2
	s_cbranch_vccnz .LBB48_13
; %bb.12:                               ;   in Loop: Header=BB48_9 Depth=1
	v_readfirstlane_b32 s1, v7
	s_sub_co_i32 s2, 0, s16
	s_delay_alu instid0(SALU_CYCLE_1) | instskip(NEXT) | instid1(SALU_CYCLE_1)
	s_mul_i32 s2, s2, s1
	s_mul_hi_u32 s2, s1, s2
	s_delay_alu instid0(SALU_CYCLE_1) | instskip(NEXT) | instid1(SALU_CYCLE_1)
	s_add_co_i32 s1, s1, s2
	s_mul_hi_u32 s1, s0, s1
	s_delay_alu instid0(SALU_CYCLE_1) | instskip(NEXT) | instid1(SALU_CYCLE_1)
	s_mul_i32 s2, s1, s16
	s_sub_co_i32 s0, s0, s2
	s_add_co_i32 s2, s1, 1
	s_sub_co_i32 s3, s0, s16
	s_cmp_ge_u32 s0, s16
	s_cselect_b32 s1, s2, s1
	s_cselect_b32 s0, s3, s0
	s_add_co_i32 s2, s1, 1
	s_cmp_ge_u32 s0, s16
	s_cselect_b32 s24, s2, s1
	s_delay_alu instid0(SALU_CYCLE_1)
	s_mov_b64 s[40:41], s[24:25]
.LBB48_13:                              ;   in Loop: Header=BB48_9 Depth=1
	s_delay_alu instid0(SALU_CYCLE_1)
	s_cmp_lg_u32 s20, s40
	s_mov_b32 s0, -1
                                        ; implicit-def: $vgpr4_vgpr5
                                        ; implicit-def: $sgpr24
                                        ; implicit-def: $sgpr17
                                        ; implicit-def: $sgpr21
                                        ; implicit-def: $sgpr29
	s_cbranch_scc0 .LBB48_18
; %bb.14:                               ;   in Loop: Header=BB48_9 Depth=1
	s_add_co_i32 s0, s36, s16
	v_max_num_f32_e64 v4, s28, s28
	s_lshl_b32 s0, s0, 2
	s_mov_b32 s29, s20
	s_add_co_i32 s0, s0, s15
	s_load_b64 s[38:39], s[10:11], s0 offset:0x0 scale_offset
	s_wait_xcnt 0x0
	v_readfirstlane_b32 s0, v4
	s_wait_kmcnt 0x0
	v_max_num_f32_e64 v5, s38, s38
	s_delay_alu instid0(VALU_DEP_1) | instskip(SKIP_1) | instid1(SALU_CYCLE_3)
	v_readfirstlane_b32 s1, v5
	s_max_num_f32 s17, s0, s1
	s_sub_f32 s33, s28, s17
	s_sub_f32 s37, s38, s17
	s_delay_alu instid0(SALU_CYCLE_2)
	s_cmp_nlt_f32 s33, 0xc2ce8ed0
	s_cselect_b32 s1, -1, 0
	s_cmp_ngt_f32 s33, 0x42b17218
	s_cselect_b32 s2, -1, 0
	s_cmp_ge_f32 s33, 0xc1a00000
	s_cselect_b32 s0, -1, 0
	s_cmp_nlt_f32 s37, 0xc2ce8ed0
	s_cselect_b32 s3, -1, 0
	s_cmp_ngt_f32 s37, 0x42b17218
	s_cselect_b32 s4, -1, 0
	s_cmp_ge_f32 s37, 0xc1a00000
	s_cselect_b32 s5, -1, 0
	s_and_b64 s[42:43], s[40:41], s[8:9]
	s_delay_alu instid0(SALU_CYCLE_1) | instskip(NEXT) | instid1(SALU_CYCLE_1)
	s_mul_u64 s[42:43], s[42:43], s[22:23]
	s_add_co_i32 s21, s43, s40
	s_delay_alu instid0(SALU_CYCLE_1) | instskip(NEXT) | instid1(SALU_CYCLE_1)
	s_lshr_b32 s21, s21, s13
	s_mul_i32 s24, s21, s14
	s_delay_alu instid0(SALU_CYCLE_1) | instskip(SKIP_3) | instid1(SALU_CYCLE_1)
	s_cmp_eq_u32 s24, s40
	s_cselect_b32 s24, -1, 0
	s_cmp_lt_u32 s21, s12
	s_cselect_b32 s21, -1, 0
	s_or_b32 s21, s21, s24
	s_mov_b32 s24, -1
	s_and_b32 vcc_lo, exec_lo, s21
	s_mov_b32 s21, s36
	s_cbranch_vccnz .LBB48_16
; %bb.15:                               ;   in Loop: Header=BB48_9 Depth=1
	s_add_co_i32 s21, s36, -1
	s_mov_b32 s24, 0
	s_mov_b32 s29, s40
.LBB48_16:                              ;   in Loop: Header=BB48_9 Depth=1
	v_mad_u32 v4, 0x180, s36, v6
	s_mul_f32 s40, s33, 0x3fb8aa3b
	s_mul_f32 s38, s37, 0x3fb8aa3b
	s_delay_alu instid0(SALU_CYCLE_2)
	s_xor_b32 s42, s40, 0x80000000
	s_rndne_f32 s44, s40
	s_fmamk_f32 s42, s33, 0x3fb8aa3b, s42
	s_xor_b32 s41, s38, 0x80000000
	s_rndne_f32 s43, s38
	s_sub_f32 s40, s40, s44
	global_load_b32 v5, v4, s[26:27] scale_offset
	s_fmamk_f32 s33, s33, 0x32a5705f, s42
	s_fmamk_f32 s41, s37, 0x3fb8aa3b, s41
	s_sub_f32 s38, s38, s43
	s_delay_alu instid0(SALU_CYCLE_1) | instskip(NEXT) | instid1(SALU_CYCLE_1)
	s_add_f32 s33, s40, s33
	s_fmamk_f32 s37, s37, 0x32a5705f, s41
	s_cvt_i32_f32 s40, s44
	s_delay_alu instid0(SALU_CYCLE_1) | instskip(NEXT) | instid1(SALU_CYCLE_1)
	v_s_exp_f32 s33, s33
	s_add_f32 s37, s38, s37
	s_cvt_i32_f32 s38, s43
	s_delay_alu instid0(SALU_CYCLE_2) | instskip(NEXT) | instid1(TRANS32_DEP_2)
	v_s_exp_f32 s37, s37
	v_ldexp_f32 v8, s33, s40
	s_wait_xcnt 0x0
	s_delay_alu instid0(TRANS32_DEP_1) | instskip(NEXT) | instid1(VALU_DEP_2)
	v_ldexp_f32 v4, s37, s38
	v_cndmask_b32_e64 v8, 0, v8, s1
	s_delay_alu instid0(VALU_DEP_1) | instskip(NEXT) | instid1(VALU_DEP_1)
	v_cndmask_b32_e64 v9, 0x7f800000, v8, s2
	v_dual_cndmask_b32 v4, 0, v4, s3 :: v_dual_cndmask_b32 v10, 0, v9, s0
	s_delay_alu instid0(VALU_DEP_1) | instskip(NEXT) | instid1(VALU_DEP_1)
	v_cndmask_b32_e64 v4, 0x7f800000, v4, s4
	v_dual_cndmask_b32 v8, 0, v4, s5 :: v_dual_mov_b32 v4, s39
	s_wait_loadcnt 0x0
	s_delay_alu instid0(VALU_DEP_1) | instskip(NEXT) | instid1(VALU_DEP_1)
	v_pk_mul_f32 v[4:5], v[4:5], v[8:9] op_sel_hi:[1,0]
	v_pk_fma_f32 v[4:5], v[0:1], v[10:11], v[4:5] op_sel_hi:[1,0,1]
	s_cbranch_execz .LBB48_19
.LBB48_17:                              ;   in Loop: Header=BB48_9 Depth=1
	s_and_not1_b32 vcc_lo, exec_lo, s24
	s_cbranch_vccnz .LBB48_20
	s_branch .LBB48_23
.LBB48_18:                              ;   in Loop: Header=BB48_9 Depth=1
	s_and_not1_b32 vcc_lo, exec_lo, s0
	s_cbranch_vccnz .LBB48_17
.LBB48_19:                              ;   in Loop: Header=BB48_9 Depth=1
	s_wait_loadcnt 0x0
	v_mov_b64_e32 v[4:5], v[0:1]
	s_add_co_i32 s21, s36, -1
	s_mov_b32 s29, s20
	s_mov_b32 s17, s28
	s_cbranch_execz .LBB48_23
.LBB48_20:                              ;   in Loop: Header=BB48_9 Depth=1
	s_wait_loadcnt 0x0
	s_delay_alu instid0(VALU_DEP_1)
	v_mov_b64_e32 v[0:1], v[4:5]
	s_mov_b32 s20, s29
	s_mov_b32 s36, s21
	;; [unrolled: 1-line block ×3, first 2 shown]
	s_branch .LBB48_9
.LBB48_21:
                                        ; implicit-def: $sgpr20_sgpr21
	s_branch .LBB48_2
.LBB48_22:
                                        ; implicit-def: $sgpr24_sgpr25
	s_load_b96 s[12:14], s[0:1], 0x44
	s_branch .LBB48_5
.LBB48_23:
	s_delay_alu instid0(VALU_DEP_1) | instskip(SKIP_1) | instid1(VALU_DEP_1)
	v_div_scale_f32 v0, null, v4, v4, v5
	s_wait_loadcnt 0x0
	v_rcp_f32_e32 v1, v0
	v_nop
	s_delay_alu instid0(TRANS32_DEP_1) | instskip(NEXT) | instid1(VALU_DEP_1)
	v_fma_f32 v6, -v0, v1, 1.0
	v_fmac_f32_e32 v1, v6, v1
	v_div_scale_f32 v6, vcc_lo, v5, v4, v5
	s_delay_alu instid0(VALU_DEP_1) | instskip(NEXT) | instid1(VALU_DEP_1)
	v_mul_f32_e32 v7, v6, v1
	v_fma_f32 v8, -v0, v7, v6
	s_delay_alu instid0(VALU_DEP_1) | instskip(NEXT) | instid1(VALU_DEP_1)
	v_fmac_f32_e32 v7, v8, v1
	v_fma_f32 v0, -v0, v7, v6
	s_delay_alu instid0(VALU_DEP_1) | instskip(NEXT) | instid1(VALU_DEP_1)
	v_div_fmas_f32 v0, v0, v1, v7
	v_div_fixup_f32 v0, v0, v4, v5
	global_store_b32 v[2:3], v0, off
.LBB48_24:
	s_endpgm
	.section	.rodata,"a",@progbits
	.p2align	6, 0x0
	.amdhsa_kernel _ZL33flash_attn_stream_k_fixup_generalILi96ELi2ELi2EEvPfPK15HIP_vector_typeIfLj2EEiiiiS1_IjLj3EES5_S5_S5_
		.amdhsa_group_segment_fixed_size 0
		.amdhsa_private_segment_fixed_size 0
		.amdhsa_kernarg_size 336
		.amdhsa_user_sgpr_count 2
		.amdhsa_user_sgpr_dispatch_ptr 0
		.amdhsa_user_sgpr_queue_ptr 0
		.amdhsa_user_sgpr_kernarg_segment_ptr 1
		.amdhsa_user_sgpr_dispatch_id 0
		.amdhsa_user_sgpr_kernarg_preload_length 0
		.amdhsa_user_sgpr_kernarg_preload_offset 0
		.amdhsa_user_sgpr_private_segment_size 0
		.amdhsa_wavefront_size32 1
		.amdhsa_uses_dynamic_stack 0
		.amdhsa_enable_private_segment 0
		.amdhsa_system_sgpr_workgroup_id_x 1
		.amdhsa_system_sgpr_workgroup_id_y 1
		.amdhsa_system_sgpr_workgroup_id_z 1
		.amdhsa_system_sgpr_workgroup_info 0
		.amdhsa_system_vgpr_workitem_id 0
		.amdhsa_next_free_vgpr 12
		.amdhsa_next_free_sgpr 46
		.amdhsa_named_barrier_count 0
		.amdhsa_reserve_vcc 1
		.amdhsa_float_round_mode_32 0
		.amdhsa_float_round_mode_16_64 0
		.amdhsa_float_denorm_mode_32 3
		.amdhsa_float_denorm_mode_16_64 3
		.amdhsa_fp16_overflow 0
		.amdhsa_memory_ordered 1
		.amdhsa_forward_progress 1
		.amdhsa_inst_pref_size 27
		.amdhsa_round_robin_scheduling 0
		.amdhsa_exception_fp_ieee_invalid_op 0
		.amdhsa_exception_fp_denorm_src 0
		.amdhsa_exception_fp_ieee_div_zero 0
		.amdhsa_exception_fp_ieee_overflow 0
		.amdhsa_exception_fp_ieee_underflow 0
		.amdhsa_exception_fp_ieee_inexact 0
		.amdhsa_exception_int_div_zero 0
	.end_amdhsa_kernel
	.section	.text._ZL33flash_attn_stream_k_fixup_generalILi96ELi2ELi2EEvPfPK15HIP_vector_typeIfLj2EEiiiiS1_IjLj3EES5_S5_S5_,"axG",@progbits,_ZL33flash_attn_stream_k_fixup_generalILi96ELi2ELi2EEvPfPK15HIP_vector_typeIfLj2EEiiiiS1_IjLj3EES5_S5_S5_,comdat
.Lfunc_end48:
	.size	_ZL33flash_attn_stream_k_fixup_generalILi96ELi2ELi2EEvPfPK15HIP_vector_typeIfLj2EEiiiiS1_IjLj3EES5_S5_S5_, .Lfunc_end48-_ZL33flash_attn_stream_k_fixup_generalILi96ELi2ELi2EEvPfPK15HIP_vector_typeIfLj2EEiiiiS1_IjLj3EES5_S5_S5_
                                        ; -- End function
	.set _ZL33flash_attn_stream_k_fixup_generalILi96ELi2ELi2EEvPfPK15HIP_vector_typeIfLj2EEiiiiS1_IjLj3EES5_S5_S5_.num_vgpr, 12
	.set _ZL33flash_attn_stream_k_fixup_generalILi96ELi2ELi2EEvPfPK15HIP_vector_typeIfLj2EEiiiiS1_IjLj3EES5_S5_S5_.num_agpr, 0
	.set _ZL33flash_attn_stream_k_fixup_generalILi96ELi2ELi2EEvPfPK15HIP_vector_typeIfLj2EEiiiiS1_IjLj3EES5_S5_S5_.numbered_sgpr, 46
	.set _ZL33flash_attn_stream_k_fixup_generalILi96ELi2ELi2EEvPfPK15HIP_vector_typeIfLj2EEiiiiS1_IjLj3EES5_S5_S5_.num_named_barrier, 0
	.set _ZL33flash_attn_stream_k_fixup_generalILi96ELi2ELi2EEvPfPK15HIP_vector_typeIfLj2EEiiiiS1_IjLj3EES5_S5_S5_.private_seg_size, 0
	.set _ZL33flash_attn_stream_k_fixup_generalILi96ELi2ELi2EEvPfPK15HIP_vector_typeIfLj2EEiiiiS1_IjLj3EES5_S5_S5_.uses_vcc, 1
	.set _ZL33flash_attn_stream_k_fixup_generalILi96ELi2ELi2EEvPfPK15HIP_vector_typeIfLj2EEiiiiS1_IjLj3EES5_S5_S5_.uses_flat_scratch, 0
	.set _ZL33flash_attn_stream_k_fixup_generalILi96ELi2ELi2EEvPfPK15HIP_vector_typeIfLj2EEiiiiS1_IjLj3EES5_S5_S5_.has_dyn_sized_stack, 0
	.set _ZL33flash_attn_stream_k_fixup_generalILi96ELi2ELi2EEvPfPK15HIP_vector_typeIfLj2EEiiiiS1_IjLj3EES5_S5_S5_.has_recursion, 0
	.set _ZL33flash_attn_stream_k_fixup_generalILi96ELi2ELi2EEvPfPK15HIP_vector_typeIfLj2EEiiiiS1_IjLj3EES5_S5_S5_.has_indirect_call, 0
	.section	.AMDGPU.csdata,"",@progbits
; Kernel info:
; codeLenInByte = 3352
; TotalNumSgprs: 48
; NumVgprs: 12
; ScratchSize: 0
; MemoryBound: 0
; FloatMode: 240
; IeeeMode: 1
; LDSByteSize: 0 bytes/workgroup (compile time only)
; SGPRBlocks: 0
; VGPRBlocks: 0
; NumSGPRsForWavesPerEU: 48
; NumVGPRsForWavesPerEU: 12
; NamedBarCnt: 0
; Occupancy: 16
; WaveLimiterHint : 0
; COMPUTE_PGM_RSRC2:SCRATCH_EN: 0
; COMPUTE_PGM_RSRC2:USER_SGPR: 2
; COMPUTE_PGM_RSRC2:TRAP_HANDLER: 0
; COMPUTE_PGM_RSRC2:TGID_X_EN: 1
; COMPUTE_PGM_RSRC2:TGID_Y_EN: 1
; COMPUTE_PGM_RSRC2:TGID_Z_EN: 1
; COMPUTE_PGM_RSRC2:TIDIG_COMP_CNT: 0
	.section	.text._ZL15flash_attn_tileILi96ELi96ELi1ELi2ELb0EEvPKcS1_S1_S1_S1_PKiPfP15HIP_vector_typeIfLj2EEffffjfiS5_IjLj3EEiiiiiiiiiiiliiliiiiil,"axG",@progbits,_ZL15flash_attn_tileILi96ELi96ELi1ELi2ELb0EEvPKcS1_S1_S1_S1_PKiPfP15HIP_vector_typeIfLj2EEffffjfiS5_IjLj3EEiiiiiiiiiiiliiliiiiil,comdat
	.globl	_ZL15flash_attn_tileILi96ELi96ELi1ELi2ELb0EEvPKcS1_S1_S1_S1_PKiPfP15HIP_vector_typeIfLj2EEffffjfiS5_IjLj3EEiiiiiiiiiiiliiliiiiil ; -- Begin function _ZL15flash_attn_tileILi96ELi96ELi1ELi2ELb0EEvPKcS1_S1_S1_S1_PKiPfP15HIP_vector_typeIfLj2EEffffjfiS5_IjLj3EEiiiiiiiiiiiliiliiiiil
	.p2align	8
	.type	_ZL15flash_attn_tileILi96ELi96ELi1ELi2ELb0EEvPKcS1_S1_S1_S1_PKiPfP15HIP_vector_typeIfLj2EEffffjfiS5_IjLj3EEiiiiiiiiiiiliiliiiiil,@function
_ZL15flash_attn_tileILi96ELi96ELi1ELi2ELb0EEvPKcS1_S1_S1_S1_PKiPfP15HIP_vector_typeIfLj2EEffffjfiS5_IjLj3EEiiiiiiiiiiiliiliiiiil: ; @_ZL15flash_attn_tileILi96ELi96ELi1ELi2ELb0EEvPKcS1_S1_S1_S1_PKiPfP15HIP_vector_typeIfLj2EEffffjfiS5_IjLj3EEiiiiiiiiiiiliiliiiiil
; %bb.0:
	s_clause 0x1
	s_load_b128 s[20:23], s[0:1], 0x5c
	s_load_b64 s[30:31], s[0:1], 0x80
	s_bfe_u32 s5, ttmp6, 0x40014
	s_lshr_b32 s4, ttmp7, 16
	s_add_co_i32 s5, s5, 1
	s_bfe_u32 s6, ttmp6, 0x40008
	s_mul_i32 s5, s4, s5
	s_getreg_b32 s24, hwreg(HW_REG_IB_STS2, 6, 4)
	s_add_co_i32 s6, s6, s5
	s_mov_b32 s37, 0
	s_mov_b64 s[34:35], 0
	s_wait_kmcnt 0x0
	s_lshr_b32 s2, s23, 31
	s_delay_alu instid0(SALU_CYCLE_1) | instskip(NEXT) | instid1(SALU_CYCLE_1)
	s_add_co_i32 s2, s23, s2
	s_ashr_i32 s2, s2, 1
	s_delay_alu instid0(SALU_CYCLE_1) | instskip(SKIP_1) | instid1(SALU_CYCLE_2)
	s_cvt_f32_u32 s3, s2
	s_sub_co_i32 s7, 0, s2
	v_rcp_iflag_f32_e32 v1, s3
	v_nop
	s_delay_alu instid0(TRANS32_DEP_1) | instskip(SKIP_1) | instid1(SALU_CYCLE_3)
	v_readfirstlane_b32 s3, v1
	s_mul_f32 s3, s3, 0x4f7ffffe
	s_cvt_u32_f32 s3, s3
	s_delay_alu instid0(SALU_CYCLE_3) | instskip(NEXT) | instid1(SALU_CYCLE_1)
	s_mul_i32 s7, s7, s3
	s_mul_hi_u32 s7, s3, s7
	s_delay_alu instid0(SALU_CYCLE_1) | instskip(SKIP_2) | instid1(SALU_CYCLE_1)
	s_add_co_i32 s3, s3, s7
	s_cmp_eq_u32 s24, 0
	s_cselect_b32 s4, s4, s6
	s_mul_hi_u32 s3, s4, s3
	s_delay_alu instid0(SALU_CYCLE_1) | instskip(SKIP_2) | instid1(SALU_CYCLE_1)
	s_mul_i32 s5, s3, s2
	s_add_co_i32 s6, s3, 1
	s_sub_co_i32 s5, s4, s5
	s_sub_co_i32 s7, s5, s2
	s_cmp_ge_u32 s5, s2
	s_cselect_b32 s3, s6, s3
	s_cselect_b32 s5, s7, s5
	s_add_co_i32 s6, s3, 1
	s_cmp_ge_u32 s5, s2
	s_cselect_b32 s28, s6, s3
	s_abs_i32 s2, s31
	s_abs_i32 s6, s23
	s_cvt_f32_u32 s3, s2
	s_sub_co_i32 s5, 0, s2
	s_lshl_b32 s25, s4, 1
	s_xor_b32 s4, s23, s31
	v_rcp_iflag_f32_e32 v1, s3
	s_ashr_i32 s26, s4, 31
	v_nop
	s_delay_alu instid0(TRANS32_DEP_1) | instskip(SKIP_1) | instid1(SALU_CYCLE_3)
	v_readfirstlane_b32 s3, v1
	s_mul_f32 s3, s3, 0x4f7ffffe
	s_cvt_u32_f32 s3, s3
	s_delay_alu instid0(SALU_CYCLE_3) | instskip(NEXT) | instid1(SALU_CYCLE_1)
	s_mul_i32 s5, s5, s3
	s_mul_hi_u32 s5, s3, s5
	s_delay_alu instid0(SALU_CYCLE_1) | instskip(NEXT) | instid1(SALU_CYCLE_1)
	s_add_co_i32 s3, s3, s5
	s_mul_hi_u32 s3, s6, s3
	s_delay_alu instid0(SALU_CYCLE_1) | instskip(NEXT) | instid1(SALU_CYCLE_1)
	s_mul_i32 s5, s3, s2
	s_sub_co_i32 s4, s6, s5
	s_add_co_i32 s5, s3, 1
	s_sub_co_i32 s6, s4, s2
	s_cmp_ge_u32 s4, s2
	s_cselect_b32 s3, s5, s3
	s_cselect_b32 s4, s6, s4
	s_add_co_i32 s5, s3, 1
	s_cmp_ge_u32 s4, s2
	s_cselect_b32 s2, s5, s3
	s_load_b512 s[4:19], s[0:1], 0x0
	s_xor_b32 s27, s2, s26
	s_load_b64 s[2:3], s[0:1], 0xb8
	s_sub_co_i32 s29, s27, s26
	s_delay_alu instid0(SALU_CYCLE_1) | instskip(NEXT) | instid1(SALU_CYCLE_1)
	s_abs_i32 s39, s29
	s_cvt_f32_u32 s26, s39
	s_delay_alu instid0(SALU_CYCLE_3) | instskip(SKIP_2) | instid1(TRANS32_DEP_1)
	v_rcp_iflag_f32_e32 v1, s26
	s_mul_i32 s26, s28, s23
	v_nop
	v_readfirstlane_b32 s36, v1
	s_wait_kmcnt 0x0
	s_cmp_eq_u64 s[10:11], 0
	s_cbranch_scc1 .LBB49_2
; %bb.1:
	s_abs_i32 s2, s2
	s_abs_i32 s33, s28
	s_cvt_f32_u32 s27, s2
	s_sub_co_i32 s31, 0, s2
	s_load_b64 s[34:35], s[0:1], 0xc8
	s_delay_alu instid0(SALU_CYCLE_1) | instskip(SKIP_1) | instid1(TRANS32_DEP_1)
	v_rcp_iflag_f32_e32 v1, s27
	v_nop
	v_readfirstlane_b32 s27, v1
	s_mul_f32 s27, s27, 0x4f7ffffe
	s_delay_alu instid0(SALU_CYCLE_3) | instskip(NEXT) | instid1(SALU_CYCLE_3)
	s_cvt_u32_f32 s27, s27
	s_mul_i32 s31, s31, s27
	s_delay_alu instid0(SALU_CYCLE_1) | instskip(NEXT) | instid1(SALU_CYCLE_1)
	s_mul_hi_u32 s31, s27, s31
	s_add_co_i32 s27, s27, s31
	s_ashr_i32 s31, s28, 31
	s_mul_hi_u32 s27, s33, s27
	s_delay_alu instid0(SALU_CYCLE_1) | instskip(NEXT) | instid1(SALU_CYCLE_1)
	s_mul_i32 s27, s27, s2
	s_sub_co_i32 s27, s33, s27
	s_delay_alu instid0(SALU_CYCLE_1) | instskip(SKIP_2) | instid1(SALU_CYCLE_1)
	s_sub_co_i32 s33, s27, s2
	s_cmp_ge_u32 s27, s2
	s_cselect_b32 s27, s33, s27
	s_sub_co_i32 s33, s27, s2
	s_cmp_ge_u32 s27, s2
	s_cselect_b32 s2, s33, s27
	s_delay_alu instid0(SALU_CYCLE_1) | instskip(NEXT) | instid1(SALU_CYCLE_1)
	s_xor_b32 s2, s2, s31
	s_sub_co_i32 s40, s2, s31
	s_delay_alu instid0(SALU_CYCLE_1) | instskip(SKIP_2) | instid1(SALU_CYCLE_1)
	s_ashr_i32 s41, s40, 31
	s_wait_kmcnt 0x0
	s_mul_u64 s[34:35], s[34:35], s[40:41]
	s_add_nc_u64 s[34:35], s[10:11], s[34:35]
.LBB49_2:
	s_bfe_u32 s2, ttmp6, 0x4000c
	v_and_b32_e32 v22, 0x3ff, v0
	v_bfe_u32 v8, v0, 10, 10
	s_add_co_i32 s2, s2, 1
	s_and_b32 s10, ttmp6, 15
	s_mul_i32 s2, ttmp9, s2
	s_movk_i32 s11, 0xc0
	s_sub_co_i32 s33, s25, s26
	s_add_co_i32 s10, s10, s2
	v_cmp_gt_u32_e64 s2, 24, v22
	v_mad_u32_u24 v21, v8, s11, 0xe80
	v_dual_lshlrev_b32 v25, 3, v22 :: v_dual_bitop2_b32 v0, 1, v8 bitop3:0x40
	v_lshrrev_b32_e32 v23, 1, v8
	s_cmp_eq_u32 s24, 0
	s_cselect_b32 s31, ttmp9, s10
	s_and_saveexec_b32 s10, s2
	s_cbranch_execz .LBB49_4
; %bb.3:
	v_add_nc_u32_e32 v2, s31, v23
	s_load_b96 s[40:42], s[0:1], 0x70
	s_delay_alu instid0(VALU_DEP_1) | instskip(NEXT) | instid1(VALU_DEP_1)
	v_mul_hi_u32 v1, s20, v2
	v_add_nc_u32_e32 v1, v2, v1
	s_wait_kmcnt 0x0
	s_ashr_i32 s27, s41, 31
	s_delay_alu instid0(VALU_DEP_1)
	v_lshrrev_b32_e32 v1, s21, v1
	s_mov_b32 s26, s41
	s_mul_i32 s44, s33, s41
	s_lshr_b64 s[26:27], s[26:27], 2
	s_ashr_i32 s41, s40, 31
	v_mul_lo_u32 v6, v1, s22
	v_mov_b32_e32 v1, 0
	s_ashr_i32 s45, s44, 31
	s_delay_alu instid0(VALU_DEP_2) | instskip(NEXT) | instid1(VALU_DEP_2)
	v_sub_nc_u32_e32 v2, v2, v6
	v_dual_mov_b32 v3, v1 :: v_dual_lshlrev_b32 v6, 4, v22
	v_mov_b32_e32 v7, v1
	v_mul_u64_e32 v[4:5], s[26:27], v[0:1]
	s_lshr_b64 s[26:27], s[40:41], 2
	s_delay_alu instid0(VALU_DEP_3) | instid1(SALU_CYCLE_1)
	v_mul_u64_e32 v[2:3], s[26:27], v[2:3]
	s_mul_i32 s26, s28, s42
	s_delay_alu instid0(SALU_CYCLE_1) | instskip(NEXT) | instid1(SALU_CYCLE_1)
	s_ashr_i32 s27, s26, 31
	s_add_nc_u64 s[4:5], s[4:5], s[26:27]
	s_delay_alu instid0(SALU_CYCLE_1)
	s_add_nc_u64 s[4:5], s[4:5], s[44:45]
	s_delay_alu instid0(VALU_DEP_2) | instid1(SALU_CYCLE_1)
	v_lshl_add_u64 v[4:5], v[4:5], 2, s[4:5]
	s_load_b32 s4, s[0:1], 0x40
	s_delay_alu instid0(VALU_DEP_1) | instskip(NEXT) | instid1(VALU_DEP_1)
	v_lshl_add_u64 v[2:3], v[2:3], 2, v[4:5]
	v_add_nc_u64_e32 v[2:3], v[2:3], v[6:7]
	global_load_b128 v[2:5], v[2:3], off
	s_wait_loadcnt 0x0
	s_wait_kmcnt 0x0
	v_fma_mixlo_f16 v1, s4, v2, 0
	s_delay_alu instid0(VALU_DEP_1) | instskip(SKIP_1) | instid1(VALU_DEP_1)
	v_and_b32_e32 v1, 0xffff, v1
	v_mov_b32_e32 v2, v5
	v_pk_mul_f32 v[2:3], s[4:5], v[2:3] op_sel_hi:[0,1]
	s_delay_alu instid0(VALU_DEP_1) | instskip(SKIP_1) | instid1(VALU_DEP_2)
	v_cvt_pk_f16_f32 v2, v2, v3
	v_fma_mixlo_f16 v3, s4, v4, 0
	v_and_b32_e32 v4, 0xffff0000, v2
	s_delay_alu instid0(VALU_DEP_2) | instskip(NEXT) | instid1(VALU_DEP_2)
	v_and_b32_e32 v3, 0xffff, v3
	v_dual_lshlrev_b32 v2, 16, v2 :: v_dual_bitop2_b32 v1, v4, v1 bitop3:0x54
	v_add_nc_u32_e32 v4, v21, v25
	s_delay_alu instid0(VALU_DEP_2) | instskip(NEXT) | instid1(VALU_DEP_3)
	v_or3_b32 v3, v2, v3, 0
	v_or3_b32 v2, 0, 0, v1
	ds_store_b64 v4, v[2:3]
.LBB49_4:
	s_or_b32 exec_lo, exec_lo, s10
	s_cmp_eq_u64 s[14:15], 0
	s_wait_dscnt 0x0
	s_barrier_signal -1
	s_barrier_wait -1
	s_cbranch_scc1 .LBB49_6
; %bb.5:
	s_load_b32 s4, s[0:1], 0xd0
	s_wait_kmcnt 0x0
	s_mul_i32 s4, s4, s28
	s_delay_alu instid0(SALU_CYCLE_1)
	s_add_co_i32 s4, s4, s31
	s_load_b32 s30, s[14:15], s4 offset:0x0 scale_offset
.LBB49_6:
	s_wait_xcnt 0x0
	s_bfe_u32 s4, ttmp6, 0x40010
	s_and_b32 s5, ttmp7, 0xffff
	s_add_co_i32 s4, s4, 1
	s_bfe_u32 s10, ttmp6, 0x40004
	s_mul_i32 s4, s5, s4
	v_mbcnt_lo_u32_b32 v1, -1, 0
	s_add_co_i32 s10, s10, s4
	s_cmp_eq_u32 s24, 0
	s_cselect_b32 s38, s5, s10
	s_mov_b32 s5, 0
	s_lshl_b32 s4, s38, 5
	s_wait_kmcnt 0x0
	s_cmp_lt_i32 s4, s30
	s_cbranch_scc1 .LBB49_9
; %bb.7:
	v_mbcnt_lo_u32_b32 v2, -1, 0
	s_delay_alu instid0(VALU_DEP_1)
	v_dual_mov_b32 v26, 32 :: v_dual_bitop2_b32 v31, 16, v2 bitop3:0x14
	v_xor_b32_e32 v30, 8, v2
	v_xor_b32_e32 v29, 4, v2
	v_xor_b32_e32 v28, 2, v2
	v_xor_b32_e32 v27, 1, v2
	v_lshlrev_b32_e32 v24, 2, v22
	s_and_not1_b32 vcc_lo, exec_lo, s5
	s_cbranch_vccz .LBB49_10
; %bb.8:
	v_dual_mov_b32 v45, 0 :: v_dual_mov_b32 v44, 0
	v_mov_b32_e32 v20, 0xfeffffff
	v_mov_b32_e32 v46, 0
	s_branch .LBB49_13
.LBB49_9:
                                        ; implicit-def: $vgpr2
                                        ; implicit-def: $vgpr26
                                        ; implicit-def: $vgpr31
                                        ; implicit-def: $vgpr30
                                        ; implicit-def: $vgpr29
                                        ; implicit-def: $vgpr28
                                        ; implicit-def: $vgpr27
	v_lshlrev_b32_e32 v24, 2, v22
.LBB49_10:
	s_clause 0x1
	s_load_b64 s[14:15], s[0:1], 0x8c
	s_load_b128 s[24:27], s[0:1], 0x98
	v_dual_lshrrev_b32 v2, 1, v22 :: v_dual_add_nc_u32 v11, s31, v23
	s_mul_f32 s5, s36, 0x4f7ffffe
	s_sub_co_i32 s10, 0, s39
	v_dual_lshrrev_b32 v3, 2, v22 :: v_dual_bitop2_b32 v10, 4, v24 bitop3:0x40
	s_delay_alu instid0(VALU_DEP_2) | instskip(SKIP_4) | instid1(SALU_CYCLE_1)
	v_mul_hi_u32 v5, s20, v11
	v_lshl_add_u32 v4, v8, 4, v2
	s_cvt_u32_f32 s5, s5
	v_dual_lshrrev_b32 v7, 3, v22 :: v_dual_bitop2_b32 v12, 12, v24 bitop3:0x40
	v_mov_b32_e32 v9, 0
	s_mul_i32 s10, s10, s5
	s_abs_i32 s36, s33
	s_mul_hi_u32 s10, s5, s10
	s_mov_b32 s11, s37
	s_add_co_i32 s10, s5, s10
	s_delay_alu instid0(VALU_DEP_4)
	v_add_nc_u32_e32 v5, v11, v5
	s_wait_kmcnt 0x0
	s_ashr_i32 s14, s14, 2
	v_lshl_add_u32 v13, v8, 3, v3
	v_mul_lo_u32 v2, s14, v4
	v_mul_u32_u24_e32 v3, 0x70, v4
	v_dual_lshlrev_b32 v6, 2, v10 :: v_dual_lshlrev_b32 v15, 2, v12
	v_lshrrev_b32_e32 v5, s21, v5
	v_lshl_add_u32 v19, v8, 2, v7
	s_mul_u64 s[10:11], s[36:37], s[10:11]
	s_ashr_i32 s10, s26, 2
	v_add3_u32 v32, v3, v6, 64
	s_load_b64 s[40:41], s[0:1], 0xa8
	v_mul_lo_u32 v14, s10, v19
	v_ashrrev_i32_e32 v3, 31, v2
	v_mul_lo_u32 v17, v5, s22
	s_mul_i32 s5, s11, s39
	v_mul_lo_u32 v18, s10, v13
	s_ashr_i32 s42, s33, 31
	s_ashr_i32 s43, s29, 31
	s_sub_co_i32 s5, s36, s5
	v_and_b32_e32 v16, 28, v24
	v_mul_lo_u32 v4, s14, v13
	s_ashr_i32 s3, s3, 1
	s_ashr_i32 s29, s28, 31
	s_xor_b32 s37, s42, s43
	s_add_co_i32 s26, s11, 1
	s_sub_co_i32 s36, s5, s39
	s_cmp_ge_u32 s5, s39
	v_mul_u32_u24_e32 v20, 0xc0, v13
	s_cselect_b32 s11, s26, s11
	v_sub_nc_u32_e32 v11, v11, v17
	v_lshl_add_u32 v35, v8, 6, 0x1000
	v_lshlrev_b32_e32 v8, 2, v16
	v_lshl_add_u32 v42, s10, 3, v14
	s_cselect_b32 s5, s36, s5
	s_add_co_i32 s26, s11, 1
	s_cmp_ge_u32 s5, s39
	v_mad_u32_u24 v33, 0x70, v13, v15
	s_cselect_b32 s5, s26, s11
	v_or_b32_e32 v13, v20, v15
	v_mad_u32_u24 v39, 0xc0, v19, v8
	v_dual_mov_b32 v20, 0xfeffffff :: v_dual_ashrrev_i32 v19, 31, v18
	v_ashrrev_i32_e32 v15, 31, v14
	v_dual_ashrrev_i32 v43, 31, v42 :: v_dual_bitop2_b32 v31, 16, v1 bitop3:0x14
	v_mad_u32 v37, v11, s3, v22
	s_xor_b32 s5, s5, s37
	v_lshl_add_u32 v6, s14, 4, v4
	s_sub_co_i32 s5, s5, s37
	s_mul_u64 s[24:25], s[24:25], s[28:29]
	v_dual_mov_b32 v17, v9 :: v_dual_add_nc_u32 v40, 0x80, v13
	v_dual_lshlrev_b32 v8, 2, v10 :: v_dual_bitop2_b32 v30, 8, v1 bitop3:0x14
	v_lshlrev_b32_e32 v10, 2, v12
	v_lshlrev_b64_e32 v[12:13], 2, v[18:19]
	v_lshlrev_b64_e32 v[14:15], 2, v[14:15]
	;; [unrolled: 1-line block ×3, first 2 shown]
	s_mul_i32 s36, s5, s15
	s_add_nc_u64 s[6:7], s[6:7], s[24:25]
	s_wait_kmcnt 0x0
	s_mul_u64 s[24:25], s[40:41], s[28:29]
	s_mul_i32 s26, s5, s27
	v_dual_ashrrev_i32 v5, 31, v4 :: v_dual_ashrrev_i32 v7, 31, v6
	v_dual_mov_b32 v11, v9 :: v_dual_add_nc_u32 v34, 0x700, v33
	v_mul_u32_u24_e32 v36, 0x70, v22
	v_lshl_add_u32 v38, v22, 1, v35
	v_dual_mov_b32 v26, 32 :: v_dual_add_nc_u32 v41, 0x600, v39
	v_dual_lshlrev_b32 v16, 2, v16 :: v_dual_bitop2_b32 v29, 4, v1 bitop3:0x14
	v_dual_mov_b32 v46, v9 :: v_dual_bitop2_b32 v28, 2, v1 bitop3:0x14
	v_dual_mov_b32 v45, v9 :: v_dual_bitop2_b32 v27, 1, v1 bitop3:0x14
	v_add_nc_u32_e32 v42, 0x400, v25
	v_dual_mov_b32 v44, v9 :: v_dual_add_nc_u32 v43, 0x800, v25
	s_ashr_i32 s37, s36, 31
	s_add_nc_u64 s[8:9], s[8:9], s[24:25]
	s_ashr_i32 s27, s26, 31
	s_add_nc_u64 s[6:7], s[6:7], s[36:37]
	s_add_nc_u64 s[8:9], s[8:9], s[26:27]
	s_ashr_i32 s15, s14, 31
	s_ashr_i32 s11, s10, 31
	s_add_nc_u64 s[20:21], s[0:1], 0xd0
.LBB49_11:                              ; =>This Inner Loop Header: Depth=1
	s_ashr_i32 s5, s4, 31
	v_dual_mov_b32 v68, 0 :: v_dual_mov_b32 v47, v20
	s_mul_u64 s[24:25], s[4:5], s[14:15]
	v_cmp_gt_i32_e64 s3, 32, v31
	s_lshl_b64 s[24:25], s[24:25], 2
	v_add_nc_u32_e32 v20, s4, v37
	s_add_nc_u64 s[24:25], s[6:7], s[24:25]
	v_cmp_gt_i32_e32 vcc_lo, 32, v29
	v_lshl_add_u64 v[48:49], v[2:3], 2, s[24:25]
	v_lshl_add_u64 v[50:51], v[4:5], 2, s[24:25]
	;; [unrolled: 1-line block ×3, first 2 shown]
	v_cndmask_b32_e64 v62, v1, v31, s3
	v_cmp_gt_i32_e64 s3, 32, v30
	v_add_nc_u64_e32 v[56:57], v[48:49], v[8:9]
	v_add_nc_u64_e32 v[58:59], v[50:51], v[10:11]
	;; [unrolled: 1-line block ×3, first 2 shown]
	s_mul_u64 s[24:25], s[4:5], s[10:11]
	v_cndmask_b32_e64 v63, v1, v30, s3
	s_lshl_b64 s[24:25], s[24:25], 2
	s_clause 0x1
	global_load_b128 v[48:51], v[56:57], off offset:64
	global_load_b128 v[52:55], v[58:59], off
	s_add_nc_u64 s[24:25], s[8:9], s[24:25]
	v_dual_max_num_f32 v64, v47, v47 :: v_dual_lshlrev_b32 v62, 2, v62
	s_wait_loadcnt 0x1
	ds_store_b128 v32, v[48:51]
	global_load_b128 v[48:51], v[60:61], off
	s_wait_loadcnt 0x1
	ds_store_b128 v33, v[52:55]
	s_wait_loadcnt 0x0
	ds_store_b128 v34, v[48:51]
	s_wait_dscnt 0x0
	s_barrier_signal -1
	s_barrier_wait -1
	ds_load_b128 v[48:51], v36
	ds_load_b128 v[52:55], v21
	s_wait_dscnt 0x0
	;;#ASMSTART
	v_dot2_f32_f16 v68, v48, v52, v68
	;;#ASMEND
	;;#ASMSTART
	v_dot2_f32_f16 v68, v49, v53, v68
	;;#ASMEND
	;;#ASMSTART
	v_dot2_f32_f16 v68, v50, v54, v68
	;;#ASMEND
	;;#ASMSTART
	v_dot2_f32_f16 v68, v51, v55, v68
	;;#ASMEND
	ds_load_b128 v[48:51], v36 offset:16
	ds_load_b128 v[52:55], v21 offset:16
	s_wait_dscnt 0x0
	;;#ASMSTART
	v_dot2_f32_f16 v68, v48, v52, v68
	;;#ASMEND
	;;#ASMSTART
	v_dot2_f32_f16 v68, v49, v53, v68
	;;#ASMEND
	;;#ASMSTART
	v_dot2_f32_f16 v68, v50, v54, v68
	;;#ASMEND
	;;#ASMSTART
	v_dot2_f32_f16 v68, v51, v55, v68
	;;#ASMEND
	ds_load_b128 v[48:51], v36 offset:32
	ds_load_b128 v[52:55], v21 offset:32
	;; [unrolled: 15-line block ×5, first 2 shown]
	s_wait_dscnt 0x0
	;;#ASMSTART
	v_dot2_f32_f16 v68, v48, v52, v68
	;;#ASMEND
	v_cndmask_b32_e32 v48, v1, v29, vcc_lo
	v_cmp_gt_i32_e32 vcc_lo, 32, v28
	;;#ASMSTART
	v_dot2_f32_f16 v68, v49, v53, v68
	;;#ASMEND
	;;#ASMSTART
	v_dot2_f32_f16 v68, v50, v54, v68
	;;#ASMEND
	;; [unrolled: 3-line block ×3, first 2 shown]
	v_dual_lshlrev_b32 v63, 2, v63 :: v_dual_lshlrev_b32 v65, 2, v48
	v_cndmask_b32_e32 v49, v1, v28, vcc_lo
	v_cmp_gt_i32_e32 vcc_lo, 32, v27
	s_barrier_signal -1
	s_barrier_wait -1
	s_delay_alu instid0(VALU_DEP_2) | instskip(NEXT) | instid1(VALU_DEP_1)
	v_dual_cndmask_b32 v50, v1, v27, vcc_lo :: v_dual_lshlrev_b32 v66, 2, v49
	v_lshlrev_b32_e32 v67, 2, v50
	s_clause 0x1
	global_load_b128 v[48:51], v[56:57], off offset:160
	global_load_b128 v[52:55], v[58:59], off offset:96
	s_wait_xcnt 0x1
	v_add_nc_u64_e32 v[56:57], s[24:25], v[12:13]
	s_delay_alu instid0(VALU_DEP_1)
	v_add_nc_u64_e32 v[56:57], v[56:57], v[10:11]
	s_wait_loadcnt 0x1
	ds_store_b128 v32, v[48:51]
	global_load_b128 v[48:51], v[60:61], off offset:96
	s_wait_loadcnt 0x1
	ds_store_b128 v33, v[52:55]
	s_wait_loadcnt 0x0
	ds_store_b128 v34, v[48:51]
	s_wait_dscnt 0x0
	s_barrier_signal -1
	s_barrier_wait -1
	ds_load_b128 v[48:51], v36
	ds_load_b128 v[52:55], v21 offset:96
	s_wait_dscnt 0x0
	;;#ASMSTART
	v_dot2_f32_f16 v68, v48, v52, v68
	;;#ASMEND
	;;#ASMSTART
	v_dot2_f32_f16 v68, v49, v53, v68
	;;#ASMEND
	;;#ASMSTART
	v_dot2_f32_f16 v68, v50, v54, v68
	;;#ASMEND
	;;#ASMSTART
	v_dot2_f32_f16 v68, v51, v55, v68
	;;#ASMEND
	ds_load_b128 v[48:51], v36 offset:16
	ds_load_b128 v[52:55], v21 offset:112
	s_wait_dscnt 0x0
	;;#ASMSTART
	v_dot2_f32_f16 v68, v48, v52, v68
	;;#ASMEND
	;;#ASMSTART
	v_dot2_f32_f16 v68, v49, v53, v68
	;;#ASMEND
	;;#ASMSTART
	v_dot2_f32_f16 v68, v50, v54, v68
	;;#ASMEND
	;;#ASMSTART
	v_dot2_f32_f16 v68, v51, v55, v68
	;;#ASMEND
	ds_load_b128 v[48:51], v36 offset:32
	;; [unrolled: 15-line block ×5, first 2 shown]
	ds_load_b128 v[52:55], v21 offset:176
	s_wait_dscnt 0x0
	;;#ASMSTART
	v_dot2_f32_f16 v68, v48, v52, v68
	;;#ASMEND
	;;#ASMSTART
	v_dot2_f32_f16 v68, v49, v53, v68
	;;#ASMEND
	;; [unrolled: 3-line block ×4, first 2 shown]
	global_load_u16 v20, v20, s[34:35] scale_offset
	v_add_nc_u64_e32 v[48:49], s[24:25], v[14:15]
	v_add_nc_u64_e32 v[50:51], s[24:25], v[18:19]
	s_wait_loadcnt 0x0
	s_barrier_signal -1
	s_barrier_wait -1
	s_or_b32 s24, s4, 16
	s_delay_alu instid0(VALU_DEP_2) | instskip(NEXT) | instid1(VALU_DEP_2)
	v_add_nc_u64_e32 v[58:59], v[48:49], v[16:17]
	v_add_nc_u64_e32 v[60:61], v[50:51], v[16:17]
	s_clause 0x1
	global_load_b128 v[48:51], v[56:57], off offset:128
	global_load_b128 v[52:55], v[58:59], off
	s_ashr_i32 s25, s24, 31
	s_delay_alu instid0(SALU_CYCLE_1) | instskip(NEXT) | instid1(SALU_CYCLE_1)
	s_mul_u64 s[24:25], s[24:25], s[10:11]
	s_lshl_b64 s[24:25], s[24:25], 2
	s_delay_alu instid0(SALU_CYCLE_1) | instskip(SKIP_3) | instid1(VALU_DEP_1)
	s_add_nc_u64 s[24:25], s[8:9], s[24:25]
	s_wait_xcnt 0x2
	v_cvt_f32_f16_e32 v20, v20
	s_wait_xcnt 0x1
	v_add_f32_e32 v56, v68, v20
	s_delay_alu instid0(VALU_DEP_1) | instskip(NEXT) | instid1(VALU_DEP_1)
	v_add_f32_e32 v20, 0x40051340, v56
	v_max_num_f32_e32 v20, v64, v20
	ds_bpermute_b32 v57, v62, v20
	s_wait_dscnt 0x0
	v_max_num_f32_e32 v57, v57, v57
	s_delay_alu instid0(VALU_DEP_1) | instskip(SKIP_3) | instid1(VALU_DEP_1)
	v_max_num_f32_e32 v20, v20, v57
	ds_bpermute_b32 v57, v63, v20
	s_wait_dscnt 0x0
	v_max_num_f32_e32 v57, v57, v57
	v_max_num_f32_e32 v20, v20, v57
	ds_bpermute_b32 v57, v65, v20
	s_wait_dscnt 0x0
	v_max_num_f32_e32 v57, v57, v57
	s_delay_alu instid0(VALU_DEP_1) | instskip(SKIP_3) | instid1(VALU_DEP_1)
	v_max_num_f32_e32 v20, v20, v57
	ds_bpermute_b32 v57, v66, v20
	s_wait_dscnt 0x0
	v_max_num_f32_e32 v57, v57, v57
	v_max_num_f32_e32 v20, v20, v57
	ds_bpermute_b32 v57, v67, v20
	s_wait_dscnt 0x0
	v_max_num_f32_e32 v57, v57, v57
	s_delay_alu instid0(VALU_DEP_1) | instskip(NEXT) | instid1(VALU_DEP_1)
	v_max_num_f32_e32 v20, v20, v57
	v_sub_f32_e32 v47, v47, v20
	s_delay_alu instid0(VALU_DEP_1) | instskip(NEXT) | instid1(VALU_DEP_1)
	v_mul_f32_e32 v57, 0x3fb8aa3b, v47
	v_rndne_f32_e32 v64, v57
	v_fma_f32 v63, 0x3fb8aa3b, v47, -v57
	s_delay_alu instid0(VALU_DEP_2) | instskip(SKIP_1) | instid1(VALU_DEP_1)
	v_sub_f32_e32 v57, v57, v64
	v_sub_f32_e32 v62, v56, v20
	v_mul_f32_e32 v56, 0x3fb8aa3b, v62
	s_delay_alu instid0(VALU_DEP_4) | instskip(SKIP_2) | instid1(VALU_DEP_3)
	v_fmac_f32_e32 v63, 0x32a5705f, v47
	v_cmp_ngt_f32_e32 vcc_lo, 0xc2ce8ed0, v47
	s_wait_xcnt 0x0
	v_fma_f32 v58, 0x3fb8aa3b, v62, -v56
	v_rndne_f32_e32 v59, v56
	v_add_f32_e32 v63, v57, v63
	s_delay_alu instid0(VALU_DEP_2) | instskip(NEXT) | instid1(VALU_DEP_4)
	v_sub_f32_e32 v56, v56, v59
	v_fmac_f32_e32 v58, 0x32a5705f, v62
	v_cmp_ngt_f32_e64 s3, 0xc2ce8ed0, v62
	s_delay_alu instid0(VALU_DEP_2) | instskip(SKIP_1) | instid1(VALU_DEP_2)
	v_add_f32_e32 v56, v56, v58
	v_cvt_i32_f32_e32 v58, v59
	v_exp_f32_e32 v56, v56
	v_nop
	s_delay_alu instid0(TRANS32_DEP_1)
	v_ldexp_f32 v65, v56, v58
	global_load_b128 v[56:59], v[60:61], off
	s_wait_xcnt 0x0
	v_exp_f32_e32 v61, v63
	v_cvt_i32_f32_e32 v60, v64
	s_delay_alu instid0(TRANS32_DEP_1) | instid1(VALU_DEP_1)
	v_ldexp_f32 v60, v61, v60
	v_cndmask_b32_e64 v61, 0, v65, s3
	v_cmp_nlt_f32_e64 s3, 0x42b17218, v62
	s_delay_alu instid0(VALU_DEP_3) | instskip(SKIP_1) | instid1(VALU_DEP_3)
	v_cndmask_b32_e32 v60, 0, v60, vcc_lo
	v_cmp_nlt_f32_e32 vcc_lo, 0x42b17218, v47
	v_cndmask_b32_e64 v61, 0x7f800000, v61, s3
	s_delay_alu instid0(VALU_DEP_1)
	v_cvt_f16_f32_e32 v47, v61
	ds_store_b16 v38, v47
	s_wait_loadcnt 0x2
	ds_store_b128 v40, v[48:51]
	s_wait_loadcnt 0x1
	ds_store_b128 v39, v[52:55]
	;; [unrolled: 2-line block ×3, first 2 shown]
	s_wait_dscnt 0x0
	s_barrier_signal -1
	s_barrier_wait -1
	ds_load_b128 v[48:51], v35
	ds_load_b128 v[52:55], v35 offset:16
	s_wait_dscnt 0x1
	v_lshrrev_b32_e32 v58, 16, v49
	v_dual_cndmask_b32 v60, 0x7f800000, v60 :: v_dual_lshrrev_b32 v59, 16, v50
	v_and_b32_e32 v47, 0xffff, v48
	v_dual_lshrrev_b32 v56, 16, v48 :: v_dual_lshrrev_b32 v62, 16, v51
	s_delay_alu instid0(VALU_DEP_3)
	v_cvt_f16_f32_e32 v48, v60
	v_and_b32_e32 v57, 0xffff, v49
	v_and_b32_e32 v63, 0xffff, v50
	;; [unrolled: 1-line block ×3, first 2 shown]
	v_mul_u32_u24_e32 v47, 0x10001, v47
	v_and_b32_e32 v48, 0xffff, v48
	s_delay_alu instid0(VALU_DEP_1) | instskip(SKIP_4) | instid1(VALU_DEP_2)
	v_mul_u32_u24_e32 v65, 0x10001, v48
	ds_load_2addr_b64 v[48:51], v25 offset1:24
	s_wait_dscnt 0x0
	v_pk_mul_f16 v48, v48, v47
	v_pk_mul_f16 v47, v49, v47
	v_pk_fma_f16 v46, v46, v65, v48
	s_delay_alu instid0(VALU_DEP_2) | instskip(SKIP_1) | instid1(VALU_DEP_1)
	v_pk_fma_f16 v45, v45, v65, v47
	v_mul_u32_u24_e32 v47, 0x10001, v56
	v_pk_fma_f16 v50, v50, v47, v46
	s_delay_alu instid0(VALU_DEP_3) | instskip(SKIP_4) | instid1(VALU_DEP_2)
	v_pk_fma_f16 v45, v51, v47, v45
	ds_load_2addr_b64 v[46:49], v25 offset0:48 offset1:72
	v_mul_u32_u24_e32 v51, 0x10001, v57
	v_mul_u32_u24_e32 v57, 0x10001, v63
	s_wait_dscnt 0x0
	v_pk_fma_f16 v46, v46, v51, v50
	v_pk_fma_f16 v45, v47, v51, v45
	v_mul_u32_u24_e32 v47, 0x10001, v58
	v_add_nc_u64_e32 v[50:51], s[24:25], v[12:13]
	s_delay_alu instid0(VALU_DEP_2) | instskip(NEXT) | instid1(VALU_DEP_4)
	v_pk_fma_f16 v56, v48, v47, v46
	v_pk_fma_f16 v45, v49, v47, v45
	ds_load_2addr_b64 v[46:49], v25 offset0:96 offset1:120
	v_add_nc_u64_e32 v[50:51], v[50:51], v[10:11]
	s_wait_dscnt 0x0
	v_pk_fma_f16 v46, v46, v57, v56
	v_pk_fma_f16 v45, v47, v57, v45
	v_mul_u32_u24_e32 v47, 0x10001, v59
	v_mul_u32_u24_e32 v59, 0x10001, v64
	v_add_nc_u64_e32 v[56:57], s[24:25], v[14:15]
	v_mov_b32_e32 v64, v44
	s_delay_alu instid0(VALU_DEP_4)
	v_pk_fma_f16 v58, v48, v47, v46
	v_pk_fma_f16 v45, v49, v47, v45
	ds_load_2addr_b64 v[46:49], v25 offset0:144 offset1:168
	v_add_nc_u64_e32 v[56:57], v[56:57], v[16:17]
	s_wait_dscnt 0x0
	v_pk_fma_f16 v63, v46, v59, v58
	v_pk_fma_f16 v45, v47, v59, v45
	v_add_nc_u64_e32 v[46:47], s[24:25], v[18:19]
	s_delay_alu instid0(VALU_DEP_1) | instskip(SKIP_1) | instid1(VALU_DEP_1)
	v_add_nc_u64_e32 v[58:59], v[46:47], v[16:17]
	v_mul_u32_u24_e32 v46, 0x10001, v62
	v_pk_fma_f16 v62, v48, v46, v63
	v_pk_fma_f16 v45, v49, v46, v45
	ds_load_2addr_b64 v[46:49], v25 offset0:192 offset1:216
	v_and_b32_e32 v63, 0xffff, v52
	s_delay_alu instid0(VALU_DEP_1) | instskip(SKIP_1) | instid1(VALU_DEP_1)
	v_mul_u32_u24_e32 v63, 0x10001, v63
	s_wait_dscnt 0x0
	v_pk_fma_f16 v45, v47, v63, v45
	v_lshrrev_b32_e32 v47, 16, v52
	v_pk_fma_f16 v46, v46, v63, v62
	v_lshrrev_b32_e32 v63, 16, v55
	v_and_b32_e32 v62, 0xffff, v53
	s_delay_alu instid0(VALU_DEP_4) | instskip(NEXT) | instid1(VALU_DEP_2)
	v_mul_u32_u24_e32 v47, 0x10001, v47
	v_mul_u32_u24_e32 v62, 0x10001, v62
	s_delay_alu instid0(VALU_DEP_2)
	v_pk_fma_f16 v52, v48, v47, v46
	v_pk_fma_f16 v45, v49, v47, v45
	ds_load_2addr_b64 v[46:49], v42 offset0:112 offset1:136
	s_wait_dscnt 0x0
	v_pk_fma_f16 v45, v47, v62, v45
	v_lshrrev_b32_e32 v47, 16, v53
	v_pk_fma_f16 v46, v46, v62, v52
	v_and_b32_e32 v53, 0xffff, v54
	v_and_b32_e32 v62, 0xffff, v55
	s_delay_alu instid0(VALU_DEP_4) | instskip(NEXT) | instid1(VALU_DEP_3)
	v_mul_u32_u24_e32 v47, 0x10001, v47
	v_mul_u32_u24_e32 v53, 0x10001, v53
	s_delay_alu instid0(VALU_DEP_3) | instskip(NEXT) | instid1(VALU_DEP_3)
	v_mul_u32_u24_e32 v55, 0x10001, v62
	v_pk_fma_f16 v52, v48, v47, v46
	v_pk_fma_f16 v45, v49, v47, v45
	ds_load_2addr_b64 v[46:49], v43 offset0:32 offset1:56
	s_wait_dscnt 0x0
	v_pk_fma_f16 v45, v47, v53, v45
	v_lshrrev_b32_e32 v47, 16, v54
	v_pk_fma_f16 v46, v46, v53, v52
	s_delay_alu instid0(VALU_DEP_2) | instskip(NEXT) | instid1(VALU_DEP_1)
	v_mul_u32_u24_e32 v47, 0x10001, v47
	v_pk_fma_f16 v54, v48, v47, v46
	v_pk_fma_f16 v45, v49, v47, v45
	ds_load_2addr_b64 v[46:49], v43 offset0:80 offset1:104
	s_wait_dscnt 0x0
	s_barrier_signal -1
	s_barrier_wait -1
	global_load_b128 v[50:53], v[50:51], off offset:128
	v_pk_fma_f16 v46, v46, v55, v54
	v_pk_fma_f16 v45, v47, v55, v45
	v_mul_u32_u24_e32 v47, 0x10001, v63
	global_load_b128 v[54:57], v[56:57], off
	v_pk_fma_f16 v62, v48, v47, v46
	v_pk_fma_f16 v63, v49, v47, v45
	global_load_b128 v[46:49], v[58:59], off
	s_wait_loadcnt 0x2
	ds_store_b128 v40, v[50:53]
	s_wait_loadcnt 0x1
	ds_store_b128 v39, v[54:57]
	;; [unrolled: 2-line block ×3, first 2 shown]
	s_wait_dscnt 0x0
	s_barrier_signal -1
	s_barrier_wait -1
	ds_load_b128 v[44:47], v35 offset:32
	ds_load_2addr_b64 v[48:51], v25 offset1:24
	ds_load_b128 v[52:55], v35 offset:48
	s_wait_dscnt 0x2
	v_and_b32_e32 v56, 0xffff, v44
	v_lshrrev_b32_e32 v44, 16, v44
	v_and_b32_e32 v57, 0xffff, v45
	v_dual_lshrrev_b32 v45, 16, v45 :: v_dual_lshrrev_b32 v58, 16, v47
	s_delay_alu instid0(VALU_DEP_4) | instskip(NEXT) | instid1(VALU_DEP_4)
	v_mul_u32_u24_e32 v56, 0x10001, v56
	v_mul_u32_u24_e32 v44, 0x10001, v44
	s_delay_alu instid0(VALU_DEP_4)
	v_mul_u32_u24_e32 v57, 0x10001, v57
	v_and_b32_e32 v59, 0xffff, v47
	v_mul_u32_u24_e32 v58, 0x10001, v58
	s_wait_dscnt 0x1
	v_pk_fma_f16 v48, v48, v56, v62
	v_pk_fma_f16 v49, v49, v56, v63
	v_mul_u32_u24_e32 v59, 0x10001, v59
	s_delay_alu instid0(VALU_DEP_3) | instskip(NEXT) | instid1(VALU_DEP_3)
	v_pk_fma_f16 v56, v50, v44, v48
	v_pk_fma_f16 v44, v51, v44, v49
	ds_load_2addr_b64 v[48:51], v25 offset0:48 offset1:72
	s_wait_dscnt 0x0
	v_pk_fma_f16 v48, v48, v57, v56
	v_pk_fma_f16 v44, v49, v57, v44
	v_lshrrev_b32_e32 v57, 16, v46
	v_mul_u32_u24_e32 v45, 0x10001, v45
	s_delay_alu instid0(VALU_DEP_1) | instskip(NEXT) | instid1(VALU_DEP_4)
	v_pk_fma_f16 v56, v50, v45, v48
	v_pk_fma_f16 v44, v51, v45, v44
	ds_load_2addr_b64 v[48:51], v25 offset0:96 offset1:120
	v_and_b32_e32 v45, 0xffff, v46
	s_delay_alu instid0(VALU_DEP_1) | instskip(SKIP_1) | instid1(VALU_DEP_1)
	v_mul_u32_u24_e32 v45, 0x10001, v45
	s_wait_dscnt 0x0
	v_pk_fma_f16 v48, v48, v45, v56
	v_pk_fma_f16 v49, v49, v45, v44
	ds_load_2addr_b64 v[44:47], v25 offset0:144 offset1:168
	v_mul_u32_u24_e32 v56, 0x10001, v57
	s_delay_alu instid0(VALU_DEP_1)
	v_pk_fma_f16 v57, v50, v56, v48
	v_pk_fma_f16 v56, v51, v56, v49
	ds_load_2addr_b64 v[48:51], v25 offset0:192 offset1:216
	s_wait_dscnt 0x1
	v_pk_fma_f16 v44, v44, v59, v57
	v_pk_fma_f16 v45, v45, v59, v56
	s_delay_alu instid0(VALU_DEP_2) | instskip(NEXT) | instid1(VALU_DEP_2)
	v_pk_fma_f16 v56, v46, v58, v44
	v_pk_fma_f16 v57, v47, v58, v45
	ds_load_2addr_b64 v[44:47], v42 offset0:112 offset1:136
	v_and_b32_e32 v58, 0xffff, v52
	v_lshrrev_b32_e32 v52, 16, v52
	s_delay_alu instid0(VALU_DEP_2) | instskip(NEXT) | instid1(VALU_DEP_2)
	v_mul_u32_u24_e32 v58, 0x10001, v58
	v_mul_u32_u24_e32 v52, 0x10001, v52
	s_wait_dscnt 0x1
	s_delay_alu instid0(VALU_DEP_2) | instskip(SKIP_3) | instid1(VALU_DEP_4)
	v_pk_fma_f16 v48, v48, v58, v56
	v_pk_fma_f16 v49, v49, v58, v57
	v_and_b32_e32 v57, 0xffff, v53
	v_lshrrev_b32_e32 v53, 16, v53
	v_pk_fma_f16 v56, v50, v52, v48
	s_delay_alu instid0(VALU_DEP_4) | instskip(SKIP_4) | instid1(VALU_DEP_2)
	v_pk_fma_f16 v52, v51, v52, v49
	ds_load_2addr_b64 v[48:51], v43 offset0:32 offset1:56
	v_mul_u32_u24_e32 v57, 0x10001, v57
	v_mul_u32_u24_e32 v53, 0x10001, v53
	s_wait_dscnt 0x1
	v_pk_fma_f16 v44, v44, v57, v56
	v_pk_fma_f16 v45, v45, v57, v52
	ds_load_2addr_b64 v[56:59], v43 offset0:80 offset1:104
	s_wait_dscnt 0x0
	s_barrier_signal -1
	v_pk_fma_f16 v44, v46, v53, v44
	v_and_b32_e32 v46, 0xffff, v54
	s_barrier_wait -1
	s_load_b32 s3, s[20:21], 0x4
	v_pk_fma_f16 v45, v47, v53, v45
	v_lshrrev_b32_e32 v47, 16, v54
	v_mul_u32_u24_e32 v46, 0x10001, v46
	v_and_b32_e32 v53, 0xffff, v55
	v_lshrrev_b32_e32 v52, 16, v55
	s_delay_alu instid0(VALU_DEP_4) | instskip(NEXT) | instid1(VALU_DEP_4)
	v_mul_u32_u24_e32 v47, 0x10001, v47
	v_pk_fma_f16 v44, v48, v46, v44
	v_pk_fma_f16 v45, v49, v46, v45
	v_mul_u32_u24_e32 v53, 0x10001, v53
	s_delay_alu instid0(VALU_DEP_3) | instskip(NEXT) | instid1(VALU_DEP_3)
	v_pk_fma_f16 v46, v50, v47, v44
	v_pk_fma_f16 v45, v51, v47, v45
	v_mov_b32_e32 v44, v61
	v_mul_u32_u24_e32 v47, 0x10001, v52
	s_delay_alu instid0(VALU_DEP_4) | instskip(NEXT) | instid1(VALU_DEP_4)
	v_pk_fma_f16 v46, v56, v53, v46
	v_pk_fma_f16 v45, v57, v53, v45
	s_wait_kmcnt 0x0
	s_lshl_b32 s3, s3, 5
	v_fmac_f32_e32 v44, v64, v60
	s_add_co_i32 s4, s3, s4
	v_pk_fma_f16 v46, v58, v47, v46
	v_pk_fma_f16 v45, v59, v47, v45
	s_cmp_ge_i32 s4, s30
	s_cbranch_scc0 .LBB49_11
; %bb.12:
	v_mov_b32_e32 v2, v1
.LBB49_13:
	v_cmp_lt_i32_e32 vcc_lo, v31, v26
	s_cmp_lg_u64 s[12:13], 0
	s_cselect_b32 s3, -1, 0
	s_cmp_eq_u32 s38, 0
	v_cndmask_b32_e32 v1, v2, v31, vcc_lo
	v_cmp_lt_i32_e32 vcc_lo, v30, v26
	s_cselect_b32 s4, -1, 0
	s_delay_alu instid0(SALU_CYCLE_1) | instskip(NEXT) | instid1(VALU_DEP_2)
	s_and_b32 s3, s4, s3
	v_dual_cndmask_b32 v3, v2, v30, vcc_lo :: v_dual_lshlrev_b32 v1, 2, v1
	v_cmp_lt_i32_e32 vcc_lo, v29, v26
	s_delay_alu instid0(VALU_DEP_2) | instskip(SKIP_4) | instid1(VALU_DEP_2)
	v_lshlrev_b32_e32 v3, 2, v3
	ds_bpermute_b32 v1, v1, v44
	v_cndmask_b32_e32 v4, v2, v29, vcc_lo
	v_cmp_lt_i32_e32 vcc_lo, v28, v26
	s_wait_dscnt 0x0
	v_dual_add_f32 v1, v44, v1 :: v_dual_lshlrev_b32 v4, 2, v4
	ds_bpermute_b32 v3, v3, v1
	s_wait_dscnt 0x0
	v_add_f32_e32 v1, v1, v3
	ds_bpermute_b32 v3, v4, v1
	v_cndmask_b32_e32 v4, v2, v28, vcc_lo
	v_cmp_lt_i32_e32 vcc_lo, v27, v26
	v_cndmask_b32_e32 v2, v2, v27, vcc_lo
	s_and_b32 vcc_lo, exec_lo, s3
	s_wait_dscnt 0x0
	v_dual_add_f32 v1, v1, v3 :: v_dual_lshlrev_b32 v4, 2, v4
	ds_bpermute_b32 v3, v4, v1
	s_wait_dscnt 0x0
	v_dual_add_f32 v1, v1, v3 :: v_dual_lshlrev_b32 v2, 2, v2
	ds_bpermute_b32 v3, v2, v1
	s_wait_dscnt 0x0
	v_dual_add_f32 v21, v1, v3 :: v_dual_add_nc_u32 v2, s33, v0
	s_cbranch_vccz .LBB49_15
; %bb.14:
	global_load_b32 v1, v2, s[12:13] scale_offset
	s_wait_loadcnt 0x0
	v_dual_max_num_f32 v0, v20, v20 :: v_dual_max_num_f32 v3, v1, v1
	s_delay_alu instid0(VALU_DEP_1) | instskip(NEXT) | instid1(VALU_DEP_1)
	v_max_num_f32_e32 v0, v0, v3
	v_sub_f32_e32 v1, v1, v0
	s_delay_alu instid0(VALU_DEP_1) | instskip(NEXT) | instid1(VALU_DEP_1)
	v_mul_f32_e32 v7, 0x3fb8aa3b, v1
	v_fma_f32 v8, 0x3fb8aa3b, v1, -v7
	v_sub_f32_e32 v3, v20, v0
	v_rndne_f32_e32 v9, v7
	s_delay_alu instid0(VALU_DEP_3) | instskip(NEXT) | instid1(VALU_DEP_3)
	v_fmac_f32_e32 v8, 0x32a5705f, v1
	v_mul_f32_e32 v4, 0x3fb8aa3b, v3
	v_cmp_ngt_f32_e32 vcc_lo, 0xc2ce8ed0, v3
	s_delay_alu instid0(VALU_DEP_2) | instskip(SKIP_1) | instid1(VALU_DEP_1)
	v_fma_f32 v5, 0x3fb8aa3b, v3, -v4
	v_rndne_f32_e32 v6, v4
	v_dual_fmac_f32 v5, 0x32a5705f, v3 :: v_dual_sub_f32 v4, v4, v6
	v_cvt_i32_f32_e32 v6, v6
	s_delay_alu instid0(VALU_DEP_2) | instskip(SKIP_1) | instid1(VALU_DEP_1)
	v_add_f32_e32 v4, v4, v5
	v_sub_f32_e32 v5, v7, v9
	v_add_f32_e32 v5, v5, v8
	s_delay_alu instid0(VALU_DEP_3) | instskip(NEXT) | instid1(VALU_DEP_1)
	v_exp_f32_e32 v4, v4
	v_exp_f32_e32 v5, v5
	s_delay_alu instid0(TRANS32_DEP_2) | instskip(SKIP_1) | instid1(VALU_DEP_2)
	v_ldexp_f32 v4, v4, v6
	v_cvt_i32_f32_e32 v6, v9
	v_cndmask_b32_e32 v4, 0, v4, vcc_lo
	v_cmp_nlt_f32_e32 vcc_lo, 0x42b17218, v3
	s_delay_alu instid0(VALU_DEP_2)
	v_cndmask_b32_e32 v3, 0x7f800000, v4, vcc_lo
	s_delay_alu instid0(TRANS32_DEP_1) | instid1(VALU_DEP_4)
	v_ldexp_f32 v4, v5, v6
	v_cmp_ngt_f32_e32 vcc_lo, 0xc2ce8ed0, v1
	s_delay_alu instid0(VALU_DEP_3) | instskip(NEXT) | instid1(VALU_DEP_3)
	v_cvt_f16_f32_e32 v5, v3
	v_cndmask_b32_e32 v4, 0, v4, vcc_lo
	v_cmp_nlt_f32_e32 vcc_lo, 0x42b17218, v1
	s_delay_alu instid0(VALU_DEP_3) | instskip(NEXT) | instid1(VALU_DEP_3)
	v_and_b32_e32 v5, 0xffff, v5
	v_cndmask_b32_e32 v1, 0x7f800000, v4, vcc_lo
	s_delay_alu instid0(VALU_DEP_2) | instskip(NEXT) | instid1(VALU_DEP_2)
	v_mul_u32_u24_e32 v4, 0x10001, v5
	v_fmac_f32_e32 v1, v21, v3
	s_delay_alu instid0(VALU_DEP_2) | instskip(SKIP_1) | instid1(VALU_DEP_3)
	v_pk_mul_f16 v46, v46, v4
	v_pk_mul_f16 v45, v45, v4
	v_mov_b64_e32 v[20:21], v[0:1]
	s_branch .LBB49_16
.LBB49_15:
	s_delay_alu instid0(VALU_DEP_1)
	v_mov_b32_e32 v1, v21
.LBB49_16:
	s_load_b32 s0, s[0:1], 0xd4
	s_wait_xcnt 0x0
	s_mul_i32 s1, s28, s22
	s_delay_alu instid0(SALU_CYCLE_1) | instskip(NEXT) | instid1(VALU_DEP_1)
	v_add3_u32 v0, s1, s31, v23
	v_mad_u32 v0, v0, s23, v2
	s_wait_kmcnt 0x0
	s_delay_alu instid0(VALU_DEP_1)
	v_mad_u32 v0, s0, v0, s38
	s_cmp_lg_u32 s0, 1
	s_cselect_b32 s0, -1, 0
	s_and_saveexec_b32 s1, s2
	s_cbranch_execz .LBB49_18
; %bb.17:
	v_div_scale_f32 v2, null, v1, v1, 1.0
	v_div_scale_f32 v5, vcc_lo, 1.0, v1, 1.0
	v_lshrrev_b32_e32 v7, 16, v45
	s_delay_alu instid0(VALU_DEP_3) | instskip(NEXT) | instid1(VALU_DEP_1)
	v_rcp_f32_e32 v3, v2
	v_cvt_f32_f16_e32 v7, v7
	s_delay_alu instid0(TRANS32_DEP_1) | instskip(NEXT) | instid1(VALU_DEP_1)
	v_fma_f32 v4, -v2, v3, 1.0
	v_fmac_f32_e32 v3, v4, v3
	s_delay_alu instid0(VALU_DEP_1) | instskip(NEXT) | instid1(VALU_DEP_1)
	v_mul_f32_e32 v4, v5, v3
	v_fma_f32 v6, -v2, v4, v5
	s_delay_alu instid0(VALU_DEP_1) | instskip(SKIP_1) | instid1(VALU_DEP_2)
	v_fmac_f32_e32 v4, v6, v3
	v_cvt_f32_f16_e32 v6, v45
	v_dual_fma_f32 v2, -v2, v4, v5 :: v_dual_lshrrev_b32 v5, 16, v46
	s_delay_alu instid0(VALU_DEP_1) | instskip(SKIP_2) | instid1(VALU_DEP_4)
	v_div_fmas_f32 v4, v2, v3, v4
	v_mad_u32 v2, 0x60, v0, v24
	v_mov_b32_e32 v3, 0
	v_cvt_f32_f16_e32 v5, v5
	s_delay_alu instid0(VALU_DEP_4) | instskip(SKIP_1) | instid1(VALU_DEP_2)
	v_div_fixup_f32 v1, v4, v1, 1.0
	v_cvt_f32_f16_e32 v4, v46
	v_cndmask_b32_e64 v8, v1, 1.0, s0
	v_lshl_add_u64 v[10:11], v[2:3], 2, s[16:17]
	s_delay_alu instid0(VALU_DEP_2)
	v_pk_mul_f32 v[2:3], v[8:9], v[4:5] op_sel_hi:[0,1]
	v_pk_mul_f32 v[4:5], v[8:9], v[6:7] op_sel_hi:[0,1]
	global_store_b128 v[10:11], v[2:5], off
.LBB49_18:
	s_wait_xcnt 0x0
	s_or_b32 exec_lo, exec_lo, s1
	v_cmp_eq_u32_e32 vcc_lo, 0, v22
	s_and_b32 s0, vcc_lo, s0
	s_delay_alu instid0(SALU_CYCLE_1)
	s_and_saveexec_b32 s1, s0
	s_cbranch_execz .LBB49_20
; %bb.19:
	global_store_b64 v0, v[20:21], s[18:19] scale_offset
.LBB49_20:
	s_sendmsg sendmsg(MSG_DEALLOC_VGPRS)
	s_endpgm
	.section	.rodata,"a",@progbits
	.p2align	6, 0x0
	.amdhsa_kernel _ZL15flash_attn_tileILi96ELi96ELi1ELi2ELb0EEvPKcS1_S1_S1_S1_PKiPfP15HIP_vector_typeIfLj2EEffffjfiS5_IjLj3EEiiiiiiiiiiiliiliiiiil
		.amdhsa_group_segment_fixed_size 4224
		.amdhsa_private_segment_fixed_size 0
		.amdhsa_kernarg_size 464
		.amdhsa_user_sgpr_count 2
		.amdhsa_user_sgpr_dispatch_ptr 0
		.amdhsa_user_sgpr_queue_ptr 0
		.amdhsa_user_sgpr_kernarg_segment_ptr 1
		.amdhsa_user_sgpr_dispatch_id 0
		.amdhsa_user_sgpr_kernarg_preload_length 0
		.amdhsa_user_sgpr_kernarg_preload_offset 0
		.amdhsa_user_sgpr_private_segment_size 0
		.amdhsa_wavefront_size32 1
		.amdhsa_uses_dynamic_stack 0
		.amdhsa_enable_private_segment 0
		.amdhsa_system_sgpr_workgroup_id_x 1
		.amdhsa_system_sgpr_workgroup_id_y 1
		.amdhsa_system_sgpr_workgroup_id_z 1
		.amdhsa_system_sgpr_workgroup_info 0
		.amdhsa_system_vgpr_workitem_id 1
		.amdhsa_next_free_vgpr 69
		.amdhsa_next_free_sgpr 46
		.amdhsa_named_barrier_count 0
		.amdhsa_reserve_vcc 1
		.amdhsa_float_round_mode_32 0
		.amdhsa_float_round_mode_16_64 0
		.amdhsa_float_denorm_mode_32 3
		.amdhsa_float_denorm_mode_16_64 3
		.amdhsa_fp16_overflow 0
		.amdhsa_memory_ordered 1
		.amdhsa_forward_progress 1
		.amdhsa_inst_pref_size 42
		.amdhsa_round_robin_scheduling 0
		.amdhsa_exception_fp_ieee_invalid_op 0
		.amdhsa_exception_fp_denorm_src 0
		.amdhsa_exception_fp_ieee_div_zero 0
		.amdhsa_exception_fp_ieee_overflow 0
		.amdhsa_exception_fp_ieee_underflow 0
		.amdhsa_exception_fp_ieee_inexact 0
		.amdhsa_exception_int_div_zero 0
	.end_amdhsa_kernel
	.section	.text._ZL15flash_attn_tileILi96ELi96ELi1ELi2ELb0EEvPKcS1_S1_S1_S1_PKiPfP15HIP_vector_typeIfLj2EEffffjfiS5_IjLj3EEiiiiiiiiiiiliiliiiiil,"axG",@progbits,_ZL15flash_attn_tileILi96ELi96ELi1ELi2ELb0EEvPKcS1_S1_S1_S1_PKiPfP15HIP_vector_typeIfLj2EEffffjfiS5_IjLj3EEiiiiiiiiiiiliiliiiiil,comdat
.Lfunc_end49:
	.size	_ZL15flash_attn_tileILi96ELi96ELi1ELi2ELb0EEvPKcS1_S1_S1_S1_PKiPfP15HIP_vector_typeIfLj2EEffffjfiS5_IjLj3EEiiiiiiiiiiiliiliiiiil, .Lfunc_end49-_ZL15flash_attn_tileILi96ELi96ELi1ELi2ELb0EEvPKcS1_S1_S1_S1_PKiPfP15HIP_vector_typeIfLj2EEffffjfiS5_IjLj3EEiiiiiiiiiiiliiliiiiil
                                        ; -- End function
	.set _ZL15flash_attn_tileILi96ELi96ELi1ELi2ELb0EEvPKcS1_S1_S1_S1_PKiPfP15HIP_vector_typeIfLj2EEffffjfiS5_IjLj3EEiiiiiiiiiiiliiliiiiil.num_vgpr, 69
	.set _ZL15flash_attn_tileILi96ELi96ELi1ELi2ELb0EEvPKcS1_S1_S1_S1_PKiPfP15HIP_vector_typeIfLj2EEffffjfiS5_IjLj3EEiiiiiiiiiiiliiliiiiil.num_agpr, 0
	.set _ZL15flash_attn_tileILi96ELi96ELi1ELi2ELb0EEvPKcS1_S1_S1_S1_PKiPfP15HIP_vector_typeIfLj2EEffffjfiS5_IjLj3EEiiiiiiiiiiiliiliiiiil.numbered_sgpr, 46
	.set _ZL15flash_attn_tileILi96ELi96ELi1ELi2ELb0EEvPKcS1_S1_S1_S1_PKiPfP15HIP_vector_typeIfLj2EEffffjfiS5_IjLj3EEiiiiiiiiiiiliiliiiiil.num_named_barrier, 0
	.set _ZL15flash_attn_tileILi96ELi96ELi1ELi2ELb0EEvPKcS1_S1_S1_S1_PKiPfP15HIP_vector_typeIfLj2EEffffjfiS5_IjLj3EEiiiiiiiiiiiliiliiiiil.private_seg_size, 0
	.set _ZL15flash_attn_tileILi96ELi96ELi1ELi2ELb0EEvPKcS1_S1_S1_S1_PKiPfP15HIP_vector_typeIfLj2EEffffjfiS5_IjLj3EEiiiiiiiiiiiliiliiiiil.uses_vcc, 1
	.set _ZL15flash_attn_tileILi96ELi96ELi1ELi2ELb0EEvPKcS1_S1_S1_S1_PKiPfP15HIP_vector_typeIfLj2EEffffjfiS5_IjLj3EEiiiiiiiiiiiliiliiiiil.uses_flat_scratch, 0
	.set _ZL15flash_attn_tileILi96ELi96ELi1ELi2ELb0EEvPKcS1_S1_S1_S1_PKiPfP15HIP_vector_typeIfLj2EEffffjfiS5_IjLj3EEiiiiiiiiiiiliiliiiiil.has_dyn_sized_stack, 0
	.set _ZL15flash_attn_tileILi96ELi96ELi1ELi2ELb0EEvPKcS1_S1_S1_S1_PKiPfP15HIP_vector_typeIfLj2EEffffjfiS5_IjLj3EEiiiiiiiiiiiliiliiiiil.has_recursion, 0
	.set _ZL15flash_attn_tileILi96ELi96ELi1ELi2ELb0EEvPKcS1_S1_S1_S1_PKiPfP15HIP_vector_typeIfLj2EEffffjfiS5_IjLj3EEiiiiiiiiiiiliiliiiiil.has_indirect_call, 0
	.section	.AMDGPU.csdata,"",@progbits
; Kernel info:
; codeLenInByte = 5260
; TotalNumSgprs: 48
; NumVgprs: 69
; ScratchSize: 0
; MemoryBound: 0
; FloatMode: 240
; IeeeMode: 1
; LDSByteSize: 4224 bytes/workgroup (compile time only)
; SGPRBlocks: 0
; VGPRBlocks: 4
; NumSGPRsForWavesPerEU: 48
; NumVGPRsForWavesPerEU: 69
; NamedBarCnt: 0
; Occupancy: 12
; WaveLimiterHint : 1
; COMPUTE_PGM_RSRC2:SCRATCH_EN: 0
; COMPUTE_PGM_RSRC2:USER_SGPR: 2
; COMPUTE_PGM_RSRC2:TRAP_HANDLER: 0
; COMPUTE_PGM_RSRC2:TGID_X_EN: 1
; COMPUTE_PGM_RSRC2:TGID_Y_EN: 1
; COMPUTE_PGM_RSRC2:TGID_Z_EN: 1
; COMPUTE_PGM_RSRC2:TIDIG_COMP_CNT: 1
	.section	.text._ZL33flash_attn_stream_k_fixup_uniformILi96ELi1ELi2EEvPfPK15HIP_vector_typeIfLj2EEiiiiiiS1_IjLj3EES5_S5_,"axG",@progbits,_ZL33flash_attn_stream_k_fixup_uniformILi96ELi1ELi2EEvPfPK15HIP_vector_typeIfLj2EEiiiiiiS1_IjLj3EES5_S5_,comdat
	.globl	_ZL33flash_attn_stream_k_fixup_uniformILi96ELi1ELi2EEvPfPK15HIP_vector_typeIfLj2EEiiiiiiS1_IjLj3EES5_S5_ ; -- Begin function _ZL33flash_attn_stream_k_fixup_uniformILi96ELi1ELi2EEvPfPK15HIP_vector_typeIfLj2EEiiiiiiS1_IjLj3EES5_S5_
	.p2align	8
	.type	_ZL33flash_attn_stream_k_fixup_uniformILi96ELi1ELi2EEvPfPK15HIP_vector_typeIfLj2EEiiiiiiS1_IjLj3EES5_S5_,@function
_ZL33flash_attn_stream_k_fixup_uniformILi96ELi1ELi2EEvPfPK15HIP_vector_typeIfLj2EEiiiiiiS1_IjLj3EES5_S5_: ; @_ZL33flash_attn_stream_k_fixup_uniformILi96ELi1ELi2EEvPfPK15HIP_vector_typeIfLj2EEiiiiiiS1_IjLj3EES5_S5_
; %bb.0:
	s_load_b256 s[4:11], s[0:1], 0x1c
	s_bfe_u32 s2, ttmp6, 0x40014
	s_lshr_b32 s3, ttmp7, 16
	s_add_co_i32 s2, s2, 1
	s_bfe_u32 s13, ttmp6, 0x40010
	s_mul_i32 s2, s3, s2
	s_bfe_u32 s12, ttmp6, 0x40008
	s_and_b32 s15, ttmp7, 0xffff
	s_add_co_i32 s13, s13, 1
	s_bfe_u32 s14, ttmp6, 0x4000c
	s_add_co_i32 s12, s12, s2
	s_mul_i32 s2, s15, s13
	s_bfe_u32 s13, ttmp6, 0x40004
	s_add_co_i32 s14, s14, 1
	s_add_co_i32 s13, s13, s2
	s_and_b32 s2, ttmp6, 15
	s_mul_i32 s14, ttmp9, s14
	s_getreg_b32 s20, hwreg(HW_REG_IB_STS2, 6, 4)
	s_add_co_i32 s2, s2, s14
	s_load_b128 s[16:19], s[0:1], 0x3c
	s_cmp_eq_u32 s20, 0
	s_cselect_b32 s14, ttmp9, s2
	s_cselect_b32 s13, s15, s13
	s_wait_kmcnt 0x0
	s_mul_hi_u32 s2, s7, s14
	s_cselect_b32 s12, s3, s12
	s_add_co_i32 s2, s14, s2
	s_delay_alu instid0(SALU_CYCLE_1) | instskip(NEXT) | instid1(SALU_CYCLE_1)
	s_lshr_b32 s7, s2, s8
	s_mul_i32 s2, s7, s9
	s_delay_alu instid0(SALU_CYCLE_1) | instskip(SKIP_2) | instid1(SALU_CYCLE_1)
	s_sub_co_i32 s8, s14, s2
	s_load_b64 s[2:3], s[0:1], 0x10
	s_mul_hi_u32 s9, s8, s10
	s_add_co_i32 s9, s8, s9
	s_delay_alu instid0(SALU_CYCLE_1) | instskip(NEXT) | instid1(SALU_CYCLE_1)
	s_lshr_b32 s15, s9, s11
	s_mul_i32 s9, s15, s16
	s_delay_alu instid0(SALU_CYCLE_1) | instskip(NEXT) | instid1(SALU_CYCLE_1)
	s_sub_co_i32 s8, s8, s9
	s_mul_hi_u32 s9, s8, s17
	s_delay_alu instid0(SALU_CYCLE_1) | instskip(NEXT) | instid1(SALU_CYCLE_1)
	s_add_co_i32 s9, s8, s9
	s_lshr_b32 s9, s9, s18
	s_delay_alu instid0(SALU_CYCLE_1) | instskip(SKIP_2) | instid1(SALU_CYCLE_1)
	s_mul_i32 s10, s9, s19
	s_lshl_b32 s17, s9, 1
	s_sub_co_i32 s16, s8, s10
	s_add_co_i32 s16, s16, s13
	s_wait_kmcnt 0x0
	s_cmp_lt_i32 s16, s2
	s_cselect_b32 s8, -1, 0
	s_add_co_i32 s17, s17, s12
	s_delay_alu instid0(SALU_CYCLE_1) | instskip(SKIP_1) | instid1(SALU_CYCLE_1)
	s_cmp_lt_i32 s17, s5
	s_cselect_b32 s9, -1, 0
	s_and_b32 s8, s8, s9
	s_delay_alu instid0(SALU_CYCLE_1)
	s_and_not1_b32 vcc_lo, exec_lo, s8
	s_cbranch_vccnz .LBB50_6
; %bb.1:
	s_load_b128 s[8:11], s[0:1], 0x0
	s_mul_i32 s7, s7, s2
	s_mul_i32 s15, s15, s5
	s_wait_xcnt 0x0
	s_add_co_i32 s0, s16, s7
	s_add_co_i32 s1, s17, s15
	s_mul_i32 s0, s0, s3
	s_mul_i32 s7, s6, s14
	s_add_co_i32 s1, s1, s0
	s_add_co_i32 s5, s7, s6
	v_mad_u32 v4, 0x60, s1, v0
	s_add_co_i32 s0, s13, s5
	s_add_co_i32 s2, s5, -2
	s_lshl_b32 s0, s0, 1
	s_delay_alu instid0(SALU_CYCLE_1) | instskip(NEXT) | instid1(SALU_CYCLE_1)
	s_add_co_i32 s0, s0, s12
	s_add_co_i32 s0, s0, -2
	s_delay_alu instid0(SALU_CYCLE_1) | instskip(NEXT) | instid1(SALU_CYCLE_1)
	s_ashr_i32 s1, s0, 31
	s_lshl_b64 s[0:1], s[0:1], 3
	s_wait_kmcnt 0x0
	global_load_b32 v3, v4, s[8:9] scale_offset
	s_add_nc_u64 s[0:1], s[10:11], s[0:1]
	v_ashrrev_i32_e32 v5, 31, v4
	s_load_b32 s15, s[0:1], 0x4
	s_cmp_lt_i32 s2, s7
	s_cbranch_scc1 .LBB50_4
; %bb.2:
	s_wait_xcnt 0x0
	s_load_b32 s0, s[0:1], 0x0
	s_add_co_i32 s14, s14, 1
	s_lshl_b32 s2, s4, 3
	s_wait_xcnt 0x0
	s_mul_i32 s1, s6, s14
	s_mul_i32 s6, s13, 0xc0
	s_mul_i32 s14, s12, 0x60
	s_add_co_i32 s4, s13, s4
	s_mulk_i32 s1, 0xc0
	s_add_co_i32 s6, s14, s6
	s_add_co_i32 s4, s4, s5
	;; [unrolled: 1-line block ×3, first 2 shown]
	s_ashr_i32 s3, s2, 31
	s_lshl_b32 s1, s4, 1
	v_add3_u32 v0, s6, v0, 0xfffffe80
	s_wait_kmcnt 0x0
	v_mov_b32_e32 v2, s15
	s_lshl_b64 s[2:3], s[2:3], 2
	s_add_co_i32 s4, s12, s1
	s_add_nc_u64 s[2:3], s[10:11], s[2:3]
	s_add_co_i32 s1, s5, -1
	s_add_co_i32 s4, s4, -4
.LBB50_3:                               ; =>This Inner Loop Header: Depth=1
	global_load_b32 v7, v0, s[2:3] scale_offset
	s_ashr_i32 s5, s4, 31
	v_max_num_f32_e64 v1, s0, s0
	s_lshl_b64 s[12:13], s[4:5], 3
	s_delay_alu instid0(SALU_CYCLE_1) | instskip(SKIP_1) | instid1(VALU_DEP_1)
	s_add_nc_u64 s[12:13], s[10:11], s[12:13]
	s_load_b64 s[12:13], s[12:13], 0x0
	v_readfirstlane_b32 s5, v1
	v_add_nc_u32_e32 v0, 0xffffff40, v0
	s_wait_kmcnt 0x0
	v_max_num_f32_e64 v1, s12, s12
	s_delay_alu instid0(VALU_DEP_1) | instskip(SKIP_1) | instid1(SALU_CYCLE_3)
	v_readfirstlane_b32 s6, v1
	s_max_num_f32 s5, s5, s6
	s_sub_f32 s0, s0, s5
	s_sub_f32 s6, s12, s5
	s_delay_alu instid0(SALU_CYCLE_2) | instskip(NEXT) | instid1(SALU_CYCLE_2)
	s_mul_f32 s12, s0, 0x3fb8aa3b
	s_mul_f32 s14, s6, 0x3fb8aa3b
	s_delay_alu instid0(SALU_CYCLE_2)
	s_xor_b32 s15, s12, 0x80000000
	s_rndne_f32 s16, s12
	s_fmamk_f32 s15, s0, 0x3fb8aa3b, s15
	s_cmp_nlt_f32 s0, 0xc2ce8ed0
	s_rndne_f32 s17, s14
	s_sub_f32 s12, s12, s16
	s_fmamk_f32 s15, s0, 0x32a5705f, s15
	s_cselect_b32 vcc_lo, -1, 0
	s_cmp_ngt_f32 s0, 0x42b17218
	s_delay_alu instid0(SALU_CYCLE_1) | instskip(SKIP_2) | instid1(SALU_CYCLE_1)
	s_add_f32 s12, s12, s15
	s_cvt_i32_f32 s15, s16
	s_sub_f32 s16, s14, s17
	v_s_exp_f32 s12, s12
	v_nop
	s_delay_alu instid0(TRANS32_DEP_1) | instskip(SKIP_1) | instid1(VALU_DEP_1)
	v_ldexp_f32 v1, s12, s15
	s_cvt_i32_f32 s12, s17
	v_cndmask_b32_e32 v1, 0, v1, vcc_lo
	s_cselect_b32 vcc_lo, -1, 0
	s_cmp_ge_f32 s0, 0xc1a00000
	s_delay_alu instid0(VALU_DEP_1)
	v_cndmask_b32_e32 v1, 0x7f800000, v1, vcc_lo
	s_cselect_b32 vcc_lo, -1, 0
	s_xor_b32 s0, s14, 0x80000000
	s_cmp_nlt_f32 s6, 0xc2ce8ed0
	s_fmamk_f32 s0, s6, 0x3fb8aa3b, s0
	v_cndmask_b32_e32 v10, 0, v1, vcc_lo
	s_delay_alu instid0(SALU_CYCLE_2) | instskip(NEXT) | instid1(SALU_CYCLE_3)
	s_fmamk_f32 s0, s6, 0x32a5705f, s0
	s_add_f32 s0, s16, s0
	s_delay_alu instid0(SALU_CYCLE_3) | instskip(SKIP_1) | instid1(TRANS32_DEP_1)
	v_s_exp_f32 s0, s0
	v_nop
	v_ldexp_f32 v6, s0, s12
	s_cselect_b32 s0, -1, 0
	s_cmp_ngt_f32 s6, 0x42b17218
	s_delay_alu instid0(VALU_DEP_1) | instskip(SKIP_2) | instid1(VALU_DEP_1)
	v_cndmask_b32_e64 v6, 0, v6, s0
	s_cselect_b32 s0, -1, 0
	s_cmp_ge_f32 s6, 0xc1a00000
	v_cndmask_b32_e64 v8, 0x7f800000, v6, s0
	s_cselect_b32 s0, -1, 0
	v_mov_b32_e32 v6, s13
	s_add_co_i32 s1, s1, -1
	s_add_co_i32 s4, s4, -2
	v_cndmask_b32_e64 v8, 0, v8, s0
	s_cmp_le_i32 s1, s7
	s_mov_b32 s0, s5
	s_wait_loadcnt 0x0
	s_delay_alu instid0(VALU_DEP_1) | instskip(NEXT) | instid1(VALU_DEP_1)
	v_pk_mul_f32 v[6:7], v[6:7], v[8:9] op_sel_hi:[1,0]
	v_pk_fma_f32 v[2:3], v[2:3], v[10:11], v[6:7] op_sel_hi:[1,0,1]
	s_cbranch_scc0 .LBB50_3
	s_branch .LBB50_5
.LBB50_4:
	s_wait_kmcnt 0x0
	v_mov_b32_e32 v2, s15
.LBB50_5:
	v_lshl_add_u64 v[0:1], v[4:5], 2, s[8:9]
	s_wait_loadcnt 0x0
	s_delay_alu instid0(VALU_DEP_2) | instskip(NEXT) | instid1(VALU_DEP_1)
	v_div_scale_f32 v4, null, v2, v2, v3
	v_rcp_f32_e32 v5, v4
	v_nop
	s_delay_alu instid0(TRANS32_DEP_1) | instskip(NEXT) | instid1(VALU_DEP_1)
	v_fma_f32 v6, -v4, v5, 1.0
	v_fmac_f32_e32 v5, v6, v5
	v_div_scale_f32 v6, vcc_lo, v3, v2, v3
	s_delay_alu instid0(VALU_DEP_1) | instskip(NEXT) | instid1(VALU_DEP_1)
	v_mul_f32_e32 v7, v6, v5
	v_fma_f32 v8, -v4, v7, v6
	s_delay_alu instid0(VALU_DEP_1) | instskip(NEXT) | instid1(VALU_DEP_1)
	v_fmac_f32_e32 v7, v8, v5
	v_fma_f32 v4, -v4, v7, v6
	s_delay_alu instid0(VALU_DEP_1) | instskip(NEXT) | instid1(VALU_DEP_1)
	v_div_fmas_f32 v4, v4, v5, v7
	v_div_fixup_f32 v2, v4, v2, v3
	global_store_b32 v[0:1], v2, off
.LBB50_6:
	s_endpgm
	.section	.rodata,"a",@progbits
	.p2align	6, 0x0
	.amdhsa_kernel _ZL33flash_attn_stream_k_fixup_uniformILi96ELi1ELi2EEvPfPK15HIP_vector_typeIfLj2EEiiiiiiS1_IjLj3EES5_S5_
		.amdhsa_group_segment_fixed_size 0
		.amdhsa_private_segment_fixed_size 0
		.amdhsa_kernarg_size 76
		.amdhsa_user_sgpr_count 2
		.amdhsa_user_sgpr_dispatch_ptr 0
		.amdhsa_user_sgpr_queue_ptr 0
		.amdhsa_user_sgpr_kernarg_segment_ptr 1
		.amdhsa_user_sgpr_dispatch_id 0
		.amdhsa_user_sgpr_kernarg_preload_length 0
		.amdhsa_user_sgpr_kernarg_preload_offset 0
		.amdhsa_user_sgpr_private_segment_size 0
		.amdhsa_wavefront_size32 1
		.amdhsa_uses_dynamic_stack 0
		.amdhsa_enable_private_segment 0
		.amdhsa_system_sgpr_workgroup_id_x 1
		.amdhsa_system_sgpr_workgroup_id_y 1
		.amdhsa_system_sgpr_workgroup_id_z 1
		.amdhsa_system_sgpr_workgroup_info 0
		.amdhsa_system_vgpr_workitem_id 0
		.amdhsa_next_free_vgpr 12
		.amdhsa_next_free_sgpr 21
		.amdhsa_named_barrier_count 0
		.amdhsa_reserve_vcc 1
		.amdhsa_float_round_mode_32 0
		.amdhsa_float_round_mode_16_64 0
		.amdhsa_float_denorm_mode_32 3
		.amdhsa_float_denorm_mode_16_64 3
		.amdhsa_fp16_overflow 0
		.amdhsa_memory_ordered 1
		.amdhsa_forward_progress 1
		.amdhsa_inst_pref_size 9
		.amdhsa_round_robin_scheduling 0
		.amdhsa_exception_fp_ieee_invalid_op 0
		.amdhsa_exception_fp_denorm_src 0
		.amdhsa_exception_fp_ieee_div_zero 0
		.amdhsa_exception_fp_ieee_overflow 0
		.amdhsa_exception_fp_ieee_underflow 0
		.amdhsa_exception_fp_ieee_inexact 0
		.amdhsa_exception_int_div_zero 0
	.end_amdhsa_kernel
	.section	.text._ZL33flash_attn_stream_k_fixup_uniformILi96ELi1ELi2EEvPfPK15HIP_vector_typeIfLj2EEiiiiiiS1_IjLj3EES5_S5_,"axG",@progbits,_ZL33flash_attn_stream_k_fixup_uniformILi96ELi1ELi2EEvPfPK15HIP_vector_typeIfLj2EEiiiiiiS1_IjLj3EES5_S5_,comdat
.Lfunc_end50:
	.size	_ZL33flash_attn_stream_k_fixup_uniformILi96ELi1ELi2EEvPfPK15HIP_vector_typeIfLj2EEiiiiiiS1_IjLj3EES5_S5_, .Lfunc_end50-_ZL33flash_attn_stream_k_fixup_uniformILi96ELi1ELi2EEvPfPK15HIP_vector_typeIfLj2EEiiiiiiS1_IjLj3EES5_S5_
                                        ; -- End function
	.set _ZL33flash_attn_stream_k_fixup_uniformILi96ELi1ELi2EEvPfPK15HIP_vector_typeIfLj2EEiiiiiiS1_IjLj3EES5_S5_.num_vgpr, 12
	.set _ZL33flash_attn_stream_k_fixup_uniformILi96ELi1ELi2EEvPfPK15HIP_vector_typeIfLj2EEiiiiiiS1_IjLj3EES5_S5_.num_agpr, 0
	.set _ZL33flash_attn_stream_k_fixup_uniformILi96ELi1ELi2EEvPfPK15HIP_vector_typeIfLj2EEiiiiiiS1_IjLj3EES5_S5_.numbered_sgpr, 21
	.set _ZL33flash_attn_stream_k_fixup_uniformILi96ELi1ELi2EEvPfPK15HIP_vector_typeIfLj2EEiiiiiiS1_IjLj3EES5_S5_.num_named_barrier, 0
	.set _ZL33flash_attn_stream_k_fixup_uniformILi96ELi1ELi2EEvPfPK15HIP_vector_typeIfLj2EEiiiiiiS1_IjLj3EES5_S5_.private_seg_size, 0
	.set _ZL33flash_attn_stream_k_fixup_uniformILi96ELi1ELi2EEvPfPK15HIP_vector_typeIfLj2EEiiiiiiS1_IjLj3EES5_S5_.uses_vcc, 1
	.set _ZL33flash_attn_stream_k_fixup_uniformILi96ELi1ELi2EEvPfPK15HIP_vector_typeIfLj2EEiiiiiiS1_IjLj3EES5_S5_.uses_flat_scratch, 0
	.set _ZL33flash_attn_stream_k_fixup_uniformILi96ELi1ELi2EEvPfPK15HIP_vector_typeIfLj2EEiiiiiiS1_IjLj3EES5_S5_.has_dyn_sized_stack, 0
	.set _ZL33flash_attn_stream_k_fixup_uniformILi96ELi1ELi2EEvPfPK15HIP_vector_typeIfLj2EEiiiiiiS1_IjLj3EES5_S5_.has_recursion, 0
	.set _ZL33flash_attn_stream_k_fixup_uniformILi96ELi1ELi2EEvPfPK15HIP_vector_typeIfLj2EEiiiiiiS1_IjLj3EES5_S5_.has_indirect_call, 0
	.section	.AMDGPU.csdata,"",@progbits
; Kernel info:
; codeLenInByte = 1076
; TotalNumSgprs: 23
; NumVgprs: 12
; ScratchSize: 0
; MemoryBound: 0
; FloatMode: 240
; IeeeMode: 1
; LDSByteSize: 0 bytes/workgroup (compile time only)
; SGPRBlocks: 0
; VGPRBlocks: 0
; NumSGPRsForWavesPerEU: 23
; NumVGPRsForWavesPerEU: 12
; NamedBarCnt: 0
; Occupancy: 16
; WaveLimiterHint : 0
; COMPUTE_PGM_RSRC2:SCRATCH_EN: 0
; COMPUTE_PGM_RSRC2:USER_SGPR: 2
; COMPUTE_PGM_RSRC2:TRAP_HANDLER: 0
; COMPUTE_PGM_RSRC2:TGID_X_EN: 1
; COMPUTE_PGM_RSRC2:TGID_Y_EN: 1
; COMPUTE_PGM_RSRC2:TGID_Z_EN: 1
; COMPUTE_PGM_RSRC2:TIDIG_COMP_CNT: 0
	.section	.text._ZL33flash_attn_stream_k_fixup_generalILi96ELi1ELi2EEvPfPK15HIP_vector_typeIfLj2EEiiiiS1_IjLj3EES5_S5_S5_,"axG",@progbits,_ZL33flash_attn_stream_k_fixup_generalILi96ELi1ELi2EEvPfPK15HIP_vector_typeIfLj2EEiiiiS1_IjLj3EES5_S5_S5_,comdat
	.globl	_ZL33flash_attn_stream_k_fixup_generalILi96ELi1ELi2EEvPfPK15HIP_vector_typeIfLj2EEiiiiS1_IjLj3EES5_S5_S5_ ; -- Begin function _ZL33flash_attn_stream_k_fixup_generalILi96ELi1ELi2EEvPfPK15HIP_vector_typeIfLj2EEiiiiS1_IjLj3EES5_S5_S5_
	.p2align	8
	.type	_ZL33flash_attn_stream_k_fixup_generalILi96ELi1ELi2EEvPfPK15HIP_vector_typeIfLj2EEiiiiS1_IjLj3EES5_S5_S5_,@function
_ZL33flash_attn_stream_k_fixup_generalILi96ELi1ELi2EEvPfPK15HIP_vector_typeIfLj2EEiiiiS1_IjLj3EES5_S5_S5_: ; @_ZL33flash_attn_stream_k_fixup_generalILi96ELi1ELi2EEvPfPK15HIP_vector_typeIfLj2EEiiiiS1_IjLj3EES5_S5_S5_
; %bb.0:
	s_clause 0x1
	s_load_b128 s[4:7], s[0:1], 0x10
	s_load_b32 s16, s[0:1], 0x50
	s_bfe_u32 s2, ttmp6, 0x4000c
	s_and_b32 s3, ttmp6, 15
	s_add_co_i32 s2, s2, 1
	s_getreg_b32 s15, hwreg(HW_REG_IB_STS2, 6, 4)
	s_mul_i32 s2, ttmp9, s2
	s_mov_b32 s17, 0
	s_add_co_i32 s3, s3, s2
	s_cmp_eq_u32 s15, 0
	s_cselect_b32 s2, ttmp9, s3
	s_delay_alu instid0(SALU_CYCLE_1) | instskip(SKIP_3) | instid1(SALU_CYCLE_1)
	s_ashr_i32 s3, s2, 31
	s_wait_kmcnt 0x0
	s_ashr_i32 s19, s7, 31
	s_mov_b32 s18, s7
	s_mul_u64 s[8:9], s[18:19], s[2:3]
	s_delay_alu instid0(SALU_CYCLE_1) | instskip(NEXT) | instid1(SALU_CYCLE_1)
	s_and_b64 s[10:11], s[8:9], 0xffffffff00000000
	s_cmp_lg_u64 s[10:11], 0
	s_cbranch_scc0 .LBB51_21
; %bb.1:
	s_add_nc_u64 s[10:11], s[16:17], 0
	s_mov_b32 s23, s17
	s_xor_b64 s[10:11], s[10:11], 0
	s_mov_b32 s27, s17
	s_cvt_f32_u32 s3, s10
	s_cvt_f32_u32 s7, s11
	s_sub_nc_u64 s[20:21], 0, s[10:11]
	s_delay_alu instid0(SALU_CYCLE_2) | instskip(NEXT) | instid1(SALU_CYCLE_3)
	s_fmamk_f32 s3, s7, 0x4f800000, s3
	v_s_rcp_f32 s3, s3
	s_delay_alu instid0(TRANS32_DEP_1) | instskip(NEXT) | instid1(SALU_CYCLE_3)
	s_mul_f32 s3, s3, 0x5f7ffffc
	s_mul_f32 s7, s3, 0x2f800000
	s_delay_alu instid0(SALU_CYCLE_3) | instskip(NEXT) | instid1(SALU_CYCLE_3)
	s_trunc_f32 s7, s7
	s_fmamk_f32 s3, s7, 0xcf800000, s3
	s_cvt_u32_f32 s13, s7
	s_delay_alu instid0(SALU_CYCLE_2) | instskip(NEXT) | instid1(SALU_CYCLE_3)
	s_cvt_u32_f32 s12, s3
	s_mul_u64 s[24:25], s[20:21], s[12:13]
	s_delay_alu instid0(SALU_CYCLE_1)
	s_mul_hi_u32 s29, s12, s25
	s_mul_i32 s28, s12, s25
	s_mul_hi_u32 s22, s12, s24
	s_mul_i32 s7, s13, s24
	s_add_nc_u64 s[22:23], s[22:23], s[28:29]
	s_mul_hi_u32 s3, s13, s24
	s_mul_hi_u32 s14, s13, s25
	s_add_co_u32 s7, s22, s7
	s_add_co_ci_u32 s26, s23, s3
	s_mul_i32 s24, s13, s25
	s_add_co_ci_u32 s25, s14, 0
	s_delay_alu instid0(SALU_CYCLE_1) | instskip(SKIP_3) | instid1(SALU_CYCLE_1)
	s_add_nc_u64 s[22:23], s[26:27], s[24:25]
	s_mov_b32 s25, s17
	s_add_co_u32 s12, s12, s22
	s_cselect_b32 s3, -1, 0
	s_cmp_lg_u32 s3, 0
	s_add_co_ci_u32 s13, s13, s23
	s_mov_b32 s23, s17
	s_mul_u64 s[20:21], s[20:21], s[12:13]
	s_delay_alu instid0(SALU_CYCLE_1)
	s_mul_hi_u32 s27, s12, s21
	s_mul_i32 s26, s12, s21
	s_mul_hi_u32 s22, s12, s20
	s_mul_i32 s7, s13, s20
	s_add_nc_u64 s[22:23], s[22:23], s[26:27]
	s_mul_hi_u32 s3, s13, s20
	s_mul_hi_u32 s14, s13, s21
	s_add_co_u32 s7, s22, s7
	s_add_co_ci_u32 s24, s23, s3
	s_mul_i32 s20, s13, s21
	s_add_co_ci_u32 s21, s14, 0
	s_mov_b32 s23, s17
	s_add_nc_u64 s[20:21], s[24:25], s[20:21]
	s_delay_alu instid0(SALU_CYCLE_1) | instskip(SKIP_1) | instid1(SALU_CYCLE_1)
	s_add_co_u32 s3, s12, s20
	s_cselect_b32 s7, -1, 0
	s_cmp_lg_u32 s7, 0
	s_add_co_ci_u32 s7, s13, s21
	s_ashr_i32 s12, s9, 31
	s_delay_alu instid0(SALU_CYCLE_1) | instskip(NEXT) | instid1(SALU_CYCLE_1)
	s_mov_b32 s13, s12
	s_add_nc_u64 s[20:21], s[8:9], s[12:13]
	s_delay_alu instid0(SALU_CYCLE_1) | instskip(NEXT) | instid1(SALU_CYCLE_1)
	s_xor_b64 s[20:21], s[20:21], s[12:13]
	s_mul_hi_u32 s27, s20, s7
	s_mul_i32 s26, s20, s7
	s_mul_hi_u32 s22, s20, s3
	s_mul_hi_u32 s14, s21, s3
	s_mul_i32 s3, s21, s3
	s_add_nc_u64 s[22:23], s[22:23], s[26:27]
	s_mul_hi_u32 s9, s21, s7
	s_add_co_u32 s3, s22, s3
	s_add_co_ci_u32 s24, s23, s14
	s_mul_i32 s26, s21, s7
	s_add_co_ci_u32 s27, s9, 0
	s_delay_alu instid0(SALU_CYCLE_1) | instskip(NEXT) | instid1(SALU_CYCLE_1)
	s_add_nc_u64 s[22:23], s[24:25], s[26:27]
	s_and_b64 s[24:25], s[22:23], 0xffffffff00000000
	s_delay_alu instid0(SALU_CYCLE_1) | instskip(NEXT) | instid1(SALU_CYCLE_1)
	s_or_b32 s24, s24, s22
	s_mul_u64 s[22:23], s[10:11], s[24:25]
	s_add_nc_u64 s[26:27], s[24:25], 1
	s_sub_co_u32 s3, s20, s22
	s_cselect_b32 s7, -1, 0
	s_sub_co_i32 s9, s21, s23
	s_cmp_lg_u32 s7, 0
	s_add_nc_u64 s[28:29], s[24:25], 2
	s_sub_co_ci_u32 s9, s9, s11
	s_sub_co_u32 s14, s3, s10
	s_cselect_b32 s20, -1, 0
	s_delay_alu instid0(SALU_CYCLE_1) | instskip(SKIP_1) | instid1(SALU_CYCLE_1)
	s_cmp_lg_u32 s20, 0
	s_sub_co_ci_u32 s9, s9, 0
	s_cmp_ge_u32 s9, s11
	s_cselect_b32 s20, -1, 0
	s_cmp_ge_u32 s14, s10
	s_cselect_b32 s14, -1, 0
	s_cmp_eq_u32 s9, s11
	s_cselect_b32 s9, s14, s20
	s_delay_alu instid0(SALU_CYCLE_1) | instskip(SKIP_4) | instid1(SALU_CYCLE_1)
	s_cmp_lg_u32 s9, 0
	s_cselect_b32 s9, s28, s26
	s_cselect_b32 s14, s29, s27
	s_cmp_lg_u32 s7, 0
	s_sub_co_ci_u32 s7, s21, s23
	s_cmp_ge_u32 s7, s11
	s_cselect_b32 s20, -1, 0
	s_cmp_ge_u32 s3, s10
	s_cselect_b32 s3, -1, 0
	s_cmp_eq_u32 s7, s11
	s_cselect_b32 s3, s3, s20
	s_delay_alu instid0(SALU_CYCLE_1) | instskip(SKIP_4) | instid1(SALU_CYCLE_1)
	s_cmp_lg_u32 s3, 0
	s_mov_b32 s3, s17
	s_cselect_b32 s11, s14, s25
	s_cselect_b32 s10, s9, s24
	s_xor_b64 s[12:13], s[12:13], 0
	s_xor_b64 s[10:11], s[10:11], s[12:13]
	s_delay_alu instid0(SALU_CYCLE_1)
	s_sub_nc_u64 s[20:21], s[10:11], s[12:13]
	s_and_not1_b32 vcc_lo, exec_lo, s3
	s_cbranch_vccnz .LBB51_3
.LBB51_2:
	v_cvt_f32_u32_e32 v1, s16
	s_sub_co_i32 s7, 0, s16
	s_mov_b32 s21, 0
	s_delay_alu instid0(VALU_DEP_1) | instskip(SKIP_1) | instid1(TRANS32_DEP_1)
	v_rcp_iflag_f32_e32 v1, v1
	v_nop
	v_mul_f32_e32 v1, 0x4f7ffffe, v1
	s_delay_alu instid0(VALU_DEP_1) | instskip(NEXT) | instid1(VALU_DEP_1)
	v_cvt_u32_f32_e32 v1, v1
	v_readfirstlane_b32 s3, v1
	s_mul_i32 s7, s7, s3
	s_delay_alu instid0(SALU_CYCLE_1) | instskip(NEXT) | instid1(SALU_CYCLE_1)
	s_mul_hi_u32 s7, s3, s7
	s_add_co_i32 s3, s3, s7
	s_delay_alu instid0(SALU_CYCLE_1) | instskip(NEXT) | instid1(SALU_CYCLE_1)
	s_mul_hi_u32 s3, s8, s3
	s_mul_i32 s7, s3, s16
	s_delay_alu instid0(SALU_CYCLE_1)
	s_sub_co_i32 s7, s8, s7
	s_add_co_i32 s8, s3, 1
	s_sub_co_i32 s9, s7, s16
	s_cmp_ge_u32 s7, s16
	s_cselect_b32 s3, s8, s3
	s_cselect_b32 s7, s9, s7
	s_add_co_i32 s8, s3, 1
	s_cmp_ge_u32 s7, s16
	s_cselect_b32 s20, s8, s3
.LBB51_3:
	s_add_co_i32 s8, s2, 1
	s_delay_alu instid0(SALU_CYCLE_1) | instskip(NEXT) | instid1(SALU_CYCLE_1)
	s_ashr_i32 s9, s8, 31
	s_mul_u64 s[8:9], s[18:19], s[8:9]
	s_delay_alu instid0(SALU_CYCLE_1) | instskip(NEXT) | instid1(SALU_CYCLE_1)
	s_and_b64 s[10:11], s[8:9], 0xffffffff00000000
	s_cmp_lg_u64 s[10:11], 0
	s_cbranch_scc0 .LBB51_22
; %bb.4:
	s_add_nc_u64 s[10:11], s[16:17], 0
	s_delay_alu instid0(SALU_CYCLE_1) | instskip(SKIP_4) | instid1(SALU_CYCLE_2)
	s_xor_b64 s[12:13], s[10:11], 0
	s_mov_b32 s11, 0
	s_cvt_f32_u32 s3, s12
	s_cvt_f32_u32 s7, s13
	s_sub_nc_u64 s[24:25], 0, s[12:13]
	s_fmamk_f32 s3, s7, 0x4f800000, s3
	s_delay_alu instid0(SALU_CYCLE_3) | instskip(NEXT) | instid1(TRANS32_DEP_1)
	v_s_rcp_f32 s3, s3
	s_mul_f32 s3, s3, 0x5f7ffffc
	s_delay_alu instid0(SALU_CYCLE_3) | instskip(NEXT) | instid1(SALU_CYCLE_3)
	s_mul_f32 s7, s3, 0x2f800000
	s_trunc_f32 s7, s7
	s_delay_alu instid0(SALU_CYCLE_3) | instskip(SKIP_1) | instid1(SALU_CYCLE_2)
	s_fmamk_f32 s3, s7, 0xcf800000, s3
	s_cvt_u32_f32 s23, s7
	s_cvt_u32_f32 s22, s3
	s_delay_alu instid0(SALU_CYCLE_3) | instskip(NEXT) | instid1(SALU_CYCLE_1)
	s_mul_u64 s[26:27], s[24:25], s[22:23]
	s_mul_hi_u32 s29, s22, s27
	s_mul_i32 s28, s22, s27
	s_mul_hi_u32 s10, s22, s26
	s_mul_i32 s7, s23, s26
	s_add_nc_u64 s[28:29], s[10:11], s[28:29]
	s_mul_hi_u32 s3, s23, s26
	s_mul_hi_u32 s14, s23, s27
	s_add_co_u32 s7, s28, s7
	s_add_co_ci_u32 s10, s29, s3
	s_mul_i32 s26, s23, s27
	s_add_co_ci_u32 s27, s14, 0
	s_delay_alu instid0(SALU_CYCLE_1) | instskip(NEXT) | instid1(SALU_CYCLE_1)
	s_add_nc_u64 s[26:27], s[10:11], s[26:27]
	s_add_co_u32 s22, s22, s26
	s_cselect_b32 s3, -1, 0
	s_delay_alu instid0(SALU_CYCLE_1) | instskip(SKIP_1) | instid1(SALU_CYCLE_1)
	s_cmp_lg_u32 s3, 0
	s_add_co_ci_u32 s23, s23, s27
	s_mul_u64 s[24:25], s[24:25], s[22:23]
	s_delay_alu instid0(SALU_CYCLE_1)
	s_mul_hi_u32 s27, s22, s25
	s_mul_i32 s26, s22, s25
	s_mul_hi_u32 s10, s22, s24
	s_mul_i32 s7, s23, s24
	s_add_nc_u64 s[26:27], s[10:11], s[26:27]
	s_mul_hi_u32 s3, s23, s24
	s_mul_hi_u32 s14, s23, s25
	s_add_co_u32 s7, s26, s7
	s_add_co_ci_u32 s10, s27, s3
	s_mul_i32 s24, s23, s25
	s_add_co_ci_u32 s25, s14, 0
	s_delay_alu instid0(SALU_CYCLE_1) | instskip(NEXT) | instid1(SALU_CYCLE_1)
	s_add_nc_u64 s[24:25], s[10:11], s[24:25]
	s_add_co_u32 s3, s22, s24
	s_cselect_b32 s7, -1, 0
	s_delay_alu instid0(SALU_CYCLE_1) | instskip(SKIP_2) | instid1(SALU_CYCLE_1)
	s_cmp_lg_u32 s7, 0
	s_add_co_ci_u32 s7, s23, s25
	s_ashr_i32 s22, s9, 31
	s_mov_b32 s23, s22
	s_delay_alu instid0(SALU_CYCLE_1) | instskip(NEXT) | instid1(SALU_CYCLE_1)
	s_add_nc_u64 s[24:25], s[8:9], s[22:23]
	s_xor_b64 s[24:25], s[24:25], s[22:23]
	s_delay_alu instid0(SALU_CYCLE_1)
	s_mul_hi_u32 s27, s24, s7
	s_mul_i32 s26, s24, s7
	s_mul_hi_u32 s10, s24, s3
	s_mul_hi_u32 s14, s25, s3
	s_mul_i32 s3, s25, s3
	s_add_nc_u64 s[26:27], s[10:11], s[26:27]
	s_mul_hi_u32 s9, s25, s7
	s_add_co_u32 s3, s26, s3
	s_add_co_ci_u32 s10, s27, s14
	s_mul_i32 s28, s25, s7
	s_add_co_ci_u32 s29, s9, 0
	s_delay_alu instid0(SALU_CYCLE_1) | instskip(NEXT) | instid1(SALU_CYCLE_1)
	s_add_nc_u64 s[26:27], s[10:11], s[28:29]
	s_and_b64 s[28:29], s[26:27], 0xffffffff00000000
	s_delay_alu instid0(SALU_CYCLE_1) | instskip(NEXT) | instid1(SALU_CYCLE_1)
	s_or_b32 s28, s28, s26
	s_mul_u64 s[26:27], s[12:13], s[28:29]
	s_add_nc_u64 s[30:31], s[28:29], 1
	s_sub_co_u32 s3, s24, s26
	s_cselect_b32 s7, -1, 0
	s_sub_co_i32 s9, s25, s27
	s_cmp_lg_u32 s7, 0
	s_add_nc_u64 s[34:35], s[28:29], 2
	s_sub_co_ci_u32 s9, s9, s13
	s_sub_co_u32 s10, s3, s12
	s_cselect_b32 s14, -1, 0
	s_delay_alu instid0(SALU_CYCLE_1) | instskip(SKIP_1) | instid1(SALU_CYCLE_1)
	s_cmp_lg_u32 s14, 0
	s_sub_co_ci_u32 s9, s9, 0
	s_cmp_ge_u32 s9, s13
	s_cselect_b32 s14, -1, 0
	s_cmp_ge_u32 s10, s12
	s_cselect_b32 s10, -1, 0
	s_cmp_eq_u32 s9, s13
	s_cselect_b32 s9, s10, s14
	s_delay_alu instid0(SALU_CYCLE_1) | instskip(SKIP_4) | instid1(SALU_CYCLE_1)
	s_cmp_lg_u32 s9, 0
	s_cselect_b32 s9, s34, s30
	s_cselect_b32 s10, s35, s31
	s_cmp_lg_u32 s7, 0
	s_sub_co_ci_u32 s7, s25, s27
	s_cmp_ge_u32 s7, s13
	s_cselect_b32 s14, -1, 0
	s_cmp_ge_u32 s3, s12
	s_cselect_b32 s3, -1, 0
	s_cmp_eq_u32 s7, s13
	s_cselect_b32 s3, s3, s14
	s_delay_alu instid0(SALU_CYCLE_1) | instskip(SKIP_3) | instid1(SALU_CYCLE_1)
	s_cmp_lg_u32 s3, 0
	s_cselect_b32 s13, s10, s29
	s_cselect_b32 s12, s9, s28
	s_xor_b64 s[22:23], s[22:23], 0
	s_xor_b64 s[12:13], s[12:13], s[22:23]
	s_delay_alu instid0(SALU_CYCLE_1)
	s_sub_nc_u64 s[24:25], s[12:13], s[22:23]
	s_load_b96 s[12:14], s[0:1], 0x44
	s_cbranch_execnz .LBB51_6
.LBB51_5:
	v_cvt_f32_u32_e32 v1, s16
	s_sub_co_i32 s7, 0, s16
	s_delay_alu instid0(VALU_DEP_1) | instskip(SKIP_1) | instid1(TRANS32_DEP_1)
	v_rcp_iflag_f32_e32 v1, v1
	v_nop
	v_mul_f32_e32 v1, 0x4f7ffffe, v1
	s_delay_alu instid0(VALU_DEP_1) | instskip(NEXT) | instid1(VALU_DEP_1)
	v_cvt_u32_f32_e32 v1, v1
	v_readfirstlane_b32 s3, v1
	s_mul_i32 s7, s7, s3
	s_delay_alu instid0(SALU_CYCLE_1) | instskip(NEXT) | instid1(SALU_CYCLE_1)
	s_mul_hi_u32 s7, s3, s7
	s_add_co_i32 s3, s3, s7
	s_delay_alu instid0(SALU_CYCLE_1) | instskip(NEXT) | instid1(SALU_CYCLE_1)
	s_mul_hi_u32 s3, s8, s3
	s_mul_i32 s7, s3, s16
	s_delay_alu instid0(SALU_CYCLE_1)
	s_sub_co_i32 s7, s8, s7
	s_add_co_i32 s8, s3, 1
	s_sub_co_i32 s9, s7, s16
	s_cmp_ge_u32 s7, s16
	s_cselect_b32 s3, s8, s3
	s_cselect_b32 s7, s9, s7
	s_add_co_i32 s8, s3, 1
	s_cmp_ge_u32 s7, s16
	s_cselect_b32 s24, s8, s3
.LBB51_6:
	s_delay_alu instid0(SALU_CYCLE_1)
	s_cmp_eq_u32 s20, s24
	s_mov_b64 s[8:9], 0xffffffff
	s_cselect_b32 s3, -1, 0
	s_and_b64 s[8:9], s[20:21], s[8:9]
	s_mov_b32 s23, 0
	s_wait_kmcnt 0x0
	s_mov_b32 s22, s12
	s_mov_b32 s25, s23
	s_mul_u64 s[10:11], s[8:9], s[22:23]
	s_delay_alu instid0(SALU_CYCLE_1) | instskip(SKIP_2) | instid1(SALU_CYCLE_1)
	s_add_co_i32 s7, s11, s20
	s_mul_u64 s[10:11], s[24:25], s[22:23]
	s_lshr_b32 s12, s7, s13
	s_mul_i32 s7, s12, s14
	s_delay_alu instid0(SALU_CYCLE_1) | instskip(SKIP_2) | instid1(SALU_CYCLE_1)
	s_cmp_eq_u32 s7, s20
	s_cselect_b32 s7, -1, 0
	s_add_co_i32 s10, s11, s24
	s_lshr_b32 s10, s10, s13
	s_delay_alu instid0(SALU_CYCLE_1)
	s_cmp_eq_u32 s12, s10
	s_mul_i32 s10, s10, s14
	s_cselect_b32 s11, -1, 0
	s_cmp_lg_u32 s10, s24
	s_cselect_b32 s10, -1, 0
	s_or_b32 s3, s3, s7
	s_and_b32 s10, s11, s10
	s_delay_alu instid0(SALU_CYCLE_1) | instskip(NEXT) | instid1(SALU_CYCLE_1)
	s_or_b32 s3, s3, s10
	s_and_b32 vcc_lo, exec_lo, s3
	s_cbranch_vccnz .LBB51_24
; %bb.7:
	s_load_b256 s[24:31], s[0:1], 0x20
	s_bfe_u32 s3, ttmp6, 0x40014
	s_bfe_u32 s33, ttmp6, 0x40010
	s_lshr_b32 s7, ttmp7, 16
	s_add_co_i32 s3, s3, 1
	s_and_b32 s21, ttmp7, 0xffff
	s_add_co_i32 s33, s33, 1
	s_bfe_u32 s10, ttmp6, 0x40008
	s_mul_i32 s3, s7, s3
	s_bfe_u32 s34, ttmp6, 0x40004
	s_mul_i32 s33, s21, s33
	s_mov_b32 s11, s23
	s_add_co_i32 s35, s10, s3
	s_add_co_i32 s34, s34, s33
	s_cmp_eq_u32 s15, 0
	s_cselect_b32 s3, s21, s34
	s_cselect_b32 s15, s7, s35
	s_wait_kmcnt 0x0
	s_mov_b32 s10, s24
	s_delay_alu instid0(SALU_CYCLE_1) | instskip(SKIP_2) | instid1(SALU_CYCLE_1)
	s_mul_u64 s[8:9], s[8:9], s[10:11]
	s_load_b32 s8, s[0:1], 0x40
	s_add_co_i32 s7, s9, s20
	s_lshr_b32 s7, s7, s25
	s_delay_alu instid0(SALU_CYCLE_1) | instskip(NEXT) | instid1(SALU_CYCLE_1)
	s_mul_i32 s9, s7, s26
	s_sub_co_i32 s9, s20, s9
	s_delay_alu instid0(SALU_CYCLE_1) | instskip(NEXT) | instid1(SALU_CYCLE_1)
	s_mul_hi_u32 s10, s9, s27
	s_add_co_i32 s10, s9, s10
	s_delay_alu instid0(SALU_CYCLE_1) | instskip(NEXT) | instid1(SALU_CYCLE_1)
	s_lshr_b32 s21, s10, s28
	s_mul_i32 s10, s21, s29
	s_delay_alu instid0(SALU_CYCLE_1) | instskip(NEXT) | instid1(SALU_CYCLE_1)
	s_sub_co_i32 s10, s9, s10
	s_mul_hi_u32 s9, s10, s30
	s_delay_alu instid0(SALU_CYCLE_1) | instskip(NEXT) | instid1(SALU_CYCLE_1)
	s_add_co_i32 s9, s10, s9
	s_lshr_b32 s25, s9, s31
	s_mov_b32 s9, s23
	s_wait_kmcnt 0x0
	s_mul_i32 s8, s25, s8
	s_lshl_b32 s25, s25, 1
	s_sub_co_i32 s8, s10, s8
	s_delay_alu instid0(SALU_CYCLE_1) | instskip(NEXT) | instid1(SALU_CYCLE_1)
	s_mul_u64 s[10:11], s[8:9], s[22:23]
	s_add_co_i32 s8, s8, s11
	s_delay_alu instid0(SALU_CYCLE_1) | instskip(NEXT) | instid1(SALU_CYCLE_1)
	s_lshr_b32 s24, s8, s13
	s_add_co_i32 s24, s24, s3
	s_delay_alu instid0(SALU_CYCLE_1) | instskip(SKIP_2) | instid1(SALU_CYCLE_1)
	s_cmp_lt_i32 s24, s4
	s_cselect_b32 s8, -1, 0
	s_add_co_i32 s25, s25, s15
	s_cmp_lt_i32 s25, s6
	s_cselect_b32 s9, -1, 0
	s_delay_alu instid0(SALU_CYCLE_1) | instskip(NEXT) | instid1(SALU_CYCLE_1)
	s_and_b32 s8, s8, s9
	s_and_not1_b32 vcc_lo, exec_lo, s8
	s_cbranch_vccnz .LBB51_24
; %bb.8:
	s_load_b128 s[8:11], s[0:1], 0x0
	s_mul_i32 s7, s7, s4
	s_mul_i32 s21, s21, s6
	s_wait_xcnt 0x0
	s_add_co_i32 s0, s24, s7
	s_add_co_i32 s1, s25, s21
	s_mul_i32 s0, s0, s5
	s_add_co_i32 s4, s3, s2
	s_add_co_i32 s1, s1, s0
	s_lshl_b32 s4, s4, 1
	v_mad_u32 v2, 0x60, s1, v0
	s_add_nc_u64 s[0:1], s[16:17], 0
	v_cvt_f32_u32_e32 v4, s16
	s_xor_b64 s[6:7], s[0:1], 0
	s_add_co_i32 s0, s4, s15
	s_cvt_f32_u32 s4, s6
	s_cvt_f32_u32 s5, s7
	s_ashr_i32 s1, s0, 31
	v_rcp_iflag_f32_e32 v4, v4
	s_lshl_b64 s[0:1], s[0:1], 3
	s_fmamk_f32 s4, s5, 0x4f800000, s4
	s_wait_kmcnt 0x0
	global_load_b32 v1, v2, s[8:9] scale_offset
	s_add_nc_u64 s[0:1], s[10:11], s[0:1]
	s_lshl_b32 s24, s16, 3
	s_load_b64 s[28:29], s[0:1], 0x0
	s_wait_xcnt 0x0
	v_s_rcp_f32 s0, s4
	s_lshl_b32 s1, s3, 1
	s_mov_b32 s25, 0
	s_add_co_i32 s4, s1, s15
	v_dual_mul_f32 v4, 0x4f7ffffe, v4 :: v_dual_ashrrev_i32 v3, 31, v2
	v_mad_u32 v6, 0x60, s4, v0
	s_add_co_i32 s36, s2, -1
	s_delay_alu instid0(TRANS32_DEP_1)
	s_mul_f32 s5, s0, 0x5f7ffffc
	s_lshl_b64 s[0:1], s[24:25], 2
	v_lshl_add_u64 v[2:3], v[2:3], 2, s[8:9]
	s_add_nc_u64 s[26:27], s[10:11], s[0:1]
	s_mul_f32 s17, s5, 0x2f800000
	v_cvt_u32_f32_e32 v7, v4
	s_mov_b64 s[8:9], 0xffffffff
	s_sub_nc_u64 s[34:35], 0, s[6:7]
	s_trunc_f32 s0, s17
	s_add_co_i32 s17, s16, s3
	s_wait_kmcnt 0x0
	v_mov_b32_e32 v0, s29
	s_fmamk_f32 s1, s0, 0xcf800000, s5
	s_cvt_u32_f32 s31, s0
	s_delay_alu instid0(SALU_CYCLE_2)
	s_cvt_u32_f32 s30, s1
.LBB51_9:                               ; =>This Inner Loop Header: Depth=1
	s_ashr_i32 s37, s36, 31
                                        ; implicit-def: $sgpr40_sgpr41
	s_delay_alu instid0(SALU_CYCLE_1) | instskip(NEXT) | instid1(SALU_CYCLE_1)
	s_mul_u64 s[0:1], s[36:37], s[18:19]
	s_and_b64 s[2:3], s[0:1], 0xffffffff00000000
	s_delay_alu instid0(SALU_CYCLE_1)
	s_cmp_lg_u64 s[2:3], 0
	s_mov_b32 s2, -1
	s_cbranch_scc0 .LBB51_11
; %bb.10:                               ;   in Loop: Header=BB51_9 Depth=1
	s_mul_u64 s[2:3], s[34:35], s[30:31]
	s_delay_alu instid0(SALU_CYCLE_1)
	s_mul_hi_u32 s5, s30, s3
	s_mul_i32 s4, s30, s3
	s_mul_hi_u32 s24, s30, s2
	s_mul_hi_u32 s21, s31, s2
	s_add_nc_u64 s[4:5], s[24:25], s[4:5]
	s_mul_i32 s2, s31, s2
	s_mul_hi_u32 s29, s31, s3
	s_add_co_u32 s2, s4, s2
	s_add_co_ci_u32 s24, s5, s21
	s_add_co_ci_u32 s5, s29, 0
	s_mul_i32 s4, s31, s3
	s_delay_alu instid0(SALU_CYCLE_1) | instskip(NEXT) | instid1(SALU_CYCLE_1)
	s_add_nc_u64 s[2:3], s[24:25], s[4:5]
	s_add_co_u32 s2, s30, s2
	s_cselect_b32 s4, -1, 0
	s_delay_alu instid0(SALU_CYCLE_1) | instskip(SKIP_1) | instid1(SALU_CYCLE_1)
	s_cmp_lg_u32 s4, 0
	s_add_co_ci_u32 s3, s31, s3
	s_mul_u64 s[4:5], s[34:35], s[2:3]
	s_delay_alu instid0(SALU_CYCLE_1)
	s_mul_hi_u32 s39, s2, s5
	s_mul_i32 s38, s2, s5
	s_mul_hi_u32 s24, s2, s4
	s_mul_hi_u32 s21, s3, s4
	s_mul_i32 s4, s3, s4
	s_add_nc_u64 s[38:39], s[24:25], s[38:39]
	s_mul_hi_u32 s29, s3, s5
	s_add_co_u32 s4, s38, s4
	s_add_co_ci_u32 s24, s39, s21
	s_mul_i32 s4, s3, s5
	s_add_co_ci_u32 s5, s29, 0
	s_delay_alu instid0(SALU_CYCLE_1) | instskip(NEXT) | instid1(SALU_CYCLE_1)
	s_add_nc_u64 s[4:5], s[24:25], s[4:5]
	s_add_co_u32 s21, s2, s4
	s_cselect_b32 s2, -1, 0
	s_delay_alu instid0(SALU_CYCLE_1) | instskip(SKIP_2) | instid1(SALU_CYCLE_1)
	s_cmp_lg_u32 s2, 0
	s_add_co_ci_u32 s29, s3, s5
	s_ashr_i32 s2, s1, 31
	s_mov_b32 s3, s2
	s_delay_alu instid0(SALU_CYCLE_1) | instskip(NEXT) | instid1(SALU_CYCLE_1)
	s_add_nc_u64 s[4:5], s[0:1], s[2:3]
	s_xor_b64 s[4:5], s[4:5], s[2:3]
	s_delay_alu instid0(SALU_CYCLE_1)
	s_mul_hi_u32 s39, s4, s29
	s_mul_i32 s38, s4, s29
	s_mul_hi_u32 s24, s4, s21
	s_mul_hi_u32 s33, s5, s21
	s_mul_i32 s21, s5, s21
	s_add_nc_u64 s[38:39], s[24:25], s[38:39]
	s_mul_hi_u32 s1, s5, s29
	s_add_co_u32 s21, s38, s21
	s_add_co_ci_u32 s24, s39, s33
	s_mul_i32 s40, s5, s29
	s_add_co_ci_u32 s41, s1, 0
	s_delay_alu instid0(SALU_CYCLE_1) | instskip(NEXT) | instid1(SALU_CYCLE_1)
	s_add_nc_u64 s[38:39], s[24:25], s[40:41]
	s_and_b64 s[40:41], s[38:39], 0xffffffff00000000
	s_delay_alu instid0(SALU_CYCLE_1) | instskip(NEXT) | instid1(SALU_CYCLE_1)
	s_or_b32 s40, s40, s38
	s_mul_u64 s[38:39], s[6:7], s[40:41]
	s_add_nc_u64 s[42:43], s[40:41], 1
	s_sub_co_u32 s1, s4, s38
	s_cselect_b32 s4, -1, 0
	s_sub_co_i32 s21, s5, s39
	s_cmp_lg_u32 s4, 0
	s_add_nc_u64 s[44:45], s[40:41], 2
	s_sub_co_ci_u32 s21, s21, s7
	s_sub_co_u32 s24, s1, s6
	s_cselect_b32 s29, -1, 0
	s_delay_alu instid0(SALU_CYCLE_1) | instskip(SKIP_1) | instid1(SALU_CYCLE_1)
	s_cmp_lg_u32 s29, 0
	s_sub_co_ci_u32 s21, s21, 0
	s_cmp_ge_u32 s21, s7
	s_cselect_b32 s29, -1, 0
	s_cmp_ge_u32 s24, s6
	s_cselect_b32 s24, -1, 0
	s_cmp_eq_u32 s21, s7
	s_cselect_b32 s21, s24, s29
	s_delay_alu instid0(SALU_CYCLE_1) | instskip(SKIP_4) | instid1(SALU_CYCLE_1)
	s_cmp_lg_u32 s21, 0
	s_cselect_b32 s21, s44, s42
	s_cselect_b32 s24, s45, s43
	s_cmp_lg_u32 s4, 0
	s_sub_co_ci_u32 s4, s5, s39
	s_cmp_ge_u32 s4, s7
	s_cselect_b32 s5, -1, 0
	s_cmp_ge_u32 s1, s6
	s_cselect_b32 s1, -1, 0
	s_cmp_eq_u32 s4, s7
	s_cselect_b32 s1, s1, s5
	s_delay_alu instid0(SALU_CYCLE_1) | instskip(SKIP_3) | instid1(SALU_CYCLE_1)
	s_cmp_lg_u32 s1, 0
	s_cselect_b32 s5, s24, s41
	s_cselect_b32 s4, s21, s40
	s_xor_b64 s[2:3], s[2:3], 0
	s_xor_b64 s[4:5], s[4:5], s[2:3]
	s_delay_alu instid0(SALU_CYCLE_1)
	s_sub_nc_u64 s[40:41], s[4:5], s[2:3]
	s_mov_b32 s2, 0
.LBB51_11:                              ;   in Loop: Header=BB51_9 Depth=1
	s_delay_alu instid0(SALU_CYCLE_1)
	s_and_not1_b32 vcc_lo, exec_lo, s2
	s_cbranch_vccnz .LBB51_13
; %bb.12:                               ;   in Loop: Header=BB51_9 Depth=1
	v_readfirstlane_b32 s1, v7
	s_sub_co_i32 s2, 0, s16
	s_delay_alu instid0(SALU_CYCLE_1) | instskip(NEXT) | instid1(SALU_CYCLE_1)
	s_mul_i32 s2, s2, s1
	s_mul_hi_u32 s2, s1, s2
	s_delay_alu instid0(SALU_CYCLE_1) | instskip(NEXT) | instid1(SALU_CYCLE_1)
	s_add_co_i32 s1, s1, s2
	s_mul_hi_u32 s1, s0, s1
	s_delay_alu instid0(SALU_CYCLE_1) | instskip(NEXT) | instid1(SALU_CYCLE_1)
	s_mul_i32 s2, s1, s16
	s_sub_co_i32 s0, s0, s2
	s_add_co_i32 s2, s1, 1
	s_sub_co_i32 s3, s0, s16
	s_cmp_ge_u32 s0, s16
	s_cselect_b32 s1, s2, s1
	s_cselect_b32 s0, s3, s0
	s_add_co_i32 s2, s1, 1
	s_cmp_ge_u32 s0, s16
	s_cselect_b32 s24, s2, s1
	s_delay_alu instid0(SALU_CYCLE_1)
	s_mov_b64 s[40:41], s[24:25]
.LBB51_13:                              ;   in Loop: Header=BB51_9 Depth=1
	s_delay_alu instid0(SALU_CYCLE_1)
	s_cmp_lg_u32 s20, s40
	s_mov_b32 s0, -1
                                        ; implicit-def: $vgpr4_vgpr5
                                        ; implicit-def: $sgpr29
                                        ; implicit-def: $sgpr21
                                        ; implicit-def: $sgpr24
                                        ; implicit-def: $sgpr33
	s_cbranch_scc0 .LBB51_18
; %bb.14:                               ;   in Loop: Header=BB51_9 Depth=1
	s_add_co_i32 s0, s17, s36
	v_max_num_f32_e64 v4, s28, s28
	s_lshl_b32 s0, s0, 1
	s_mov_b32 s33, s20
	s_add_co_i32 s0, s0, s15
	s_load_b64 s[38:39], s[10:11], s0 offset:0x0 scale_offset
	s_wait_xcnt 0x0
	v_readfirstlane_b32 s0, v4
	s_wait_kmcnt 0x0
	v_max_num_f32_e64 v5, s38, s38
	s_delay_alu instid0(VALU_DEP_1) | instskip(SKIP_1) | instid1(SALU_CYCLE_3)
	v_readfirstlane_b32 s1, v5
	s_max_num_f32 s21, s0, s1
	s_sub_f32 s37, s28, s21
	s_sub_f32 s38, s38, s21
	s_delay_alu instid0(SALU_CYCLE_2)
	s_cmp_nlt_f32 s37, 0xc2ce8ed0
	s_cselect_b32 s1, -1, 0
	s_cmp_ngt_f32 s37, 0x42b17218
	s_cselect_b32 s2, -1, 0
	s_cmp_ge_f32 s37, 0xc1a00000
	s_cselect_b32 s0, -1, 0
	s_cmp_nlt_f32 s38, 0xc2ce8ed0
	s_cselect_b32 s3, -1, 0
	s_cmp_ngt_f32 s38, 0x42b17218
	s_cselect_b32 s4, -1, 0
	s_cmp_ge_f32 s38, 0xc1a00000
	s_cselect_b32 s5, -1, 0
	s_and_b64 s[42:43], s[40:41], s[8:9]
	s_delay_alu instid0(SALU_CYCLE_1) | instskip(NEXT) | instid1(SALU_CYCLE_1)
	s_mul_u64 s[42:43], s[42:43], s[22:23]
	s_add_co_i32 s24, s43, s40
	s_delay_alu instid0(SALU_CYCLE_1) | instskip(NEXT) | instid1(SALU_CYCLE_1)
	s_lshr_b32 s24, s24, s13
	s_mul_i32 s29, s24, s14
	s_delay_alu instid0(SALU_CYCLE_1) | instskip(SKIP_3) | instid1(SALU_CYCLE_1)
	s_cmp_eq_u32 s29, s40
	s_cselect_b32 s29, -1, 0
	s_cmp_lt_u32 s24, s12
	s_cselect_b32 s24, -1, 0
	s_or_b32 s24, s24, s29
	s_mov_b32 s29, -1
	s_and_b32 vcc_lo, exec_lo, s24
	s_mov_b32 s24, s36
	s_cbranch_vccnz .LBB51_16
; %bb.15:                               ;   in Loop: Header=BB51_9 Depth=1
	s_add_co_i32 s24, s36, -1
	s_mov_b32 s29, 0
	s_mov_b32 s33, s40
.LBB51_16:                              ;   in Loop: Header=BB51_9 Depth=1
	v_mad_u32 v4, 0xc0, s36, v6
	s_mul_f32 s41, s37, 0x3fb8aa3b
	s_mul_f32 s40, s38, 0x3fb8aa3b
	s_delay_alu instid0(SALU_CYCLE_2)
	s_xor_b32 s43, s41, 0x80000000
	s_rndne_f32 s45, s41
	s_fmamk_f32 s43, s37, 0x3fb8aa3b, s43
	s_xor_b32 s42, s40, 0x80000000
	s_rndne_f32 s44, s40
	s_sub_f32 s41, s41, s45
	global_load_b32 v5, v4, s[26:27] scale_offset
	s_fmamk_f32 s37, s37, 0x32a5705f, s43
	s_fmamk_f32 s42, s38, 0x3fb8aa3b, s42
	s_sub_f32 s40, s40, s44
	s_delay_alu instid0(SALU_CYCLE_1) | instskip(NEXT) | instid1(SALU_CYCLE_1)
	s_add_f32 s37, s41, s37
	s_fmamk_f32 s38, s38, 0x32a5705f, s42
	s_cvt_i32_f32 s41, s45
	s_delay_alu instid0(SALU_CYCLE_1) | instskip(NEXT) | instid1(SALU_CYCLE_1)
	v_s_exp_f32 s37, s37
	s_add_f32 s38, s40, s38
	s_cvt_i32_f32 s40, s44
	s_delay_alu instid0(SALU_CYCLE_2) | instskip(NEXT) | instid1(TRANS32_DEP_2)
	v_s_exp_f32 s38, s38
	v_ldexp_f32 v8, s37, s41
	s_wait_xcnt 0x0
	s_delay_alu instid0(TRANS32_DEP_1) | instskip(NEXT) | instid1(VALU_DEP_2)
	v_ldexp_f32 v4, s38, s40
	v_cndmask_b32_e64 v8, 0, v8, s1
	s_delay_alu instid0(VALU_DEP_1) | instskip(NEXT) | instid1(VALU_DEP_1)
	v_cndmask_b32_e64 v9, 0x7f800000, v8, s2
	v_dual_cndmask_b32 v4, 0, v4, s3 :: v_dual_cndmask_b32 v10, 0, v9, s0
	s_delay_alu instid0(VALU_DEP_1) | instskip(NEXT) | instid1(VALU_DEP_1)
	v_cndmask_b32_e64 v4, 0x7f800000, v4, s4
	v_dual_cndmask_b32 v8, 0, v4, s5 :: v_dual_mov_b32 v4, s39
	s_wait_loadcnt 0x0
	s_delay_alu instid0(VALU_DEP_1) | instskip(NEXT) | instid1(VALU_DEP_1)
	v_pk_mul_f32 v[4:5], v[4:5], v[8:9] op_sel_hi:[1,0]
	v_pk_fma_f32 v[4:5], v[0:1], v[10:11], v[4:5] op_sel_hi:[1,0,1]
	s_cbranch_execz .LBB51_19
.LBB51_17:                              ;   in Loop: Header=BB51_9 Depth=1
	s_and_not1_b32 vcc_lo, exec_lo, s29
	s_cbranch_vccnz .LBB51_20
	s_branch .LBB51_23
.LBB51_18:                              ;   in Loop: Header=BB51_9 Depth=1
	s_and_not1_b32 vcc_lo, exec_lo, s0
	s_cbranch_vccnz .LBB51_17
.LBB51_19:                              ;   in Loop: Header=BB51_9 Depth=1
	s_wait_loadcnt 0x0
	v_mov_b64_e32 v[4:5], v[0:1]
	s_add_co_i32 s24, s36, -1
	s_mov_b32 s33, s20
	s_mov_b32 s21, s28
	s_cbranch_execz .LBB51_23
.LBB51_20:                              ;   in Loop: Header=BB51_9 Depth=1
	s_wait_loadcnt 0x0
	s_delay_alu instid0(VALU_DEP_1)
	v_mov_b64_e32 v[0:1], v[4:5]
	s_mov_b32 s20, s33
	s_mov_b32 s36, s24
	;; [unrolled: 1-line block ×3, first 2 shown]
	s_branch .LBB51_9
.LBB51_21:
                                        ; implicit-def: $sgpr20_sgpr21
	s_branch .LBB51_2
.LBB51_22:
                                        ; implicit-def: $sgpr24_sgpr25
	s_load_b96 s[12:14], s[0:1], 0x44
	s_branch .LBB51_5
.LBB51_23:
	s_delay_alu instid0(VALU_DEP_1) | instskip(SKIP_1) | instid1(VALU_DEP_1)
	v_div_scale_f32 v0, null, v4, v4, v5
	s_wait_loadcnt 0x0
	v_rcp_f32_e32 v1, v0
	v_nop
	s_delay_alu instid0(TRANS32_DEP_1) | instskip(NEXT) | instid1(VALU_DEP_1)
	v_fma_f32 v6, -v0, v1, 1.0
	v_fmac_f32_e32 v1, v6, v1
	v_div_scale_f32 v6, vcc_lo, v5, v4, v5
	s_delay_alu instid0(VALU_DEP_1) | instskip(NEXT) | instid1(VALU_DEP_1)
	v_mul_f32_e32 v7, v6, v1
	v_fma_f32 v8, -v0, v7, v6
	s_delay_alu instid0(VALU_DEP_1) | instskip(NEXT) | instid1(VALU_DEP_1)
	v_fmac_f32_e32 v7, v8, v1
	v_fma_f32 v0, -v0, v7, v6
	s_delay_alu instid0(VALU_DEP_1) | instskip(NEXT) | instid1(VALU_DEP_1)
	v_div_fmas_f32 v0, v0, v1, v7
	v_div_fixup_f32 v0, v0, v4, v5
	global_store_b32 v[2:3], v0, off
.LBB51_24:
	s_endpgm
	.section	.rodata,"a",@progbits
	.p2align	6, 0x0
	.amdhsa_kernel _ZL33flash_attn_stream_k_fixup_generalILi96ELi1ELi2EEvPfPK15HIP_vector_typeIfLj2EEiiiiS1_IjLj3EES5_S5_S5_
		.amdhsa_group_segment_fixed_size 0
		.amdhsa_private_segment_fixed_size 0
		.amdhsa_kernarg_size 336
		.amdhsa_user_sgpr_count 2
		.amdhsa_user_sgpr_dispatch_ptr 0
		.amdhsa_user_sgpr_queue_ptr 0
		.amdhsa_user_sgpr_kernarg_segment_ptr 1
		.amdhsa_user_sgpr_dispatch_id 0
		.amdhsa_user_sgpr_kernarg_preload_length 0
		.amdhsa_user_sgpr_kernarg_preload_offset 0
		.amdhsa_user_sgpr_private_segment_size 0
		.amdhsa_wavefront_size32 1
		.amdhsa_uses_dynamic_stack 0
		.amdhsa_enable_private_segment 0
		.amdhsa_system_sgpr_workgroup_id_x 1
		.amdhsa_system_sgpr_workgroup_id_y 1
		.amdhsa_system_sgpr_workgroup_id_z 1
		.amdhsa_system_sgpr_workgroup_info 0
		.amdhsa_system_vgpr_workitem_id 0
		.amdhsa_next_free_vgpr 12
		.amdhsa_next_free_sgpr 46
		.amdhsa_named_barrier_count 0
		.amdhsa_reserve_vcc 1
		.amdhsa_float_round_mode_32 0
		.amdhsa_float_round_mode_16_64 0
		.amdhsa_float_denorm_mode_32 3
		.amdhsa_float_denorm_mode_16_64 3
		.amdhsa_fp16_overflow 0
		.amdhsa_memory_ordered 1
		.amdhsa_forward_progress 1
		.amdhsa_inst_pref_size 27
		.amdhsa_round_robin_scheduling 0
		.amdhsa_exception_fp_ieee_invalid_op 0
		.amdhsa_exception_fp_denorm_src 0
		.amdhsa_exception_fp_ieee_div_zero 0
		.amdhsa_exception_fp_ieee_overflow 0
		.amdhsa_exception_fp_ieee_underflow 0
		.amdhsa_exception_fp_ieee_inexact 0
		.amdhsa_exception_int_div_zero 0
	.end_amdhsa_kernel
	.section	.text._ZL33flash_attn_stream_k_fixup_generalILi96ELi1ELi2EEvPfPK15HIP_vector_typeIfLj2EEiiiiS1_IjLj3EES5_S5_S5_,"axG",@progbits,_ZL33flash_attn_stream_k_fixup_generalILi96ELi1ELi2EEvPfPK15HIP_vector_typeIfLj2EEiiiiS1_IjLj3EES5_S5_S5_,comdat
.Lfunc_end51:
	.size	_ZL33flash_attn_stream_k_fixup_generalILi96ELi1ELi2EEvPfPK15HIP_vector_typeIfLj2EEiiiiS1_IjLj3EES5_S5_S5_, .Lfunc_end51-_ZL33flash_attn_stream_k_fixup_generalILi96ELi1ELi2EEvPfPK15HIP_vector_typeIfLj2EEiiiiS1_IjLj3EES5_S5_S5_
                                        ; -- End function
	.set _ZL33flash_attn_stream_k_fixup_generalILi96ELi1ELi2EEvPfPK15HIP_vector_typeIfLj2EEiiiiS1_IjLj3EES5_S5_S5_.num_vgpr, 12
	.set _ZL33flash_attn_stream_k_fixup_generalILi96ELi1ELi2EEvPfPK15HIP_vector_typeIfLj2EEiiiiS1_IjLj3EES5_S5_S5_.num_agpr, 0
	.set _ZL33flash_attn_stream_k_fixup_generalILi96ELi1ELi2EEvPfPK15HIP_vector_typeIfLj2EEiiiiS1_IjLj3EES5_S5_S5_.numbered_sgpr, 46
	.set _ZL33flash_attn_stream_k_fixup_generalILi96ELi1ELi2EEvPfPK15HIP_vector_typeIfLj2EEiiiiS1_IjLj3EES5_S5_S5_.num_named_barrier, 0
	.set _ZL33flash_attn_stream_k_fixup_generalILi96ELi1ELi2EEvPfPK15HIP_vector_typeIfLj2EEiiiiS1_IjLj3EES5_S5_S5_.private_seg_size, 0
	.set _ZL33flash_attn_stream_k_fixup_generalILi96ELi1ELi2EEvPfPK15HIP_vector_typeIfLj2EEiiiiS1_IjLj3EES5_S5_S5_.uses_vcc, 1
	.set _ZL33flash_attn_stream_k_fixup_generalILi96ELi1ELi2EEvPfPK15HIP_vector_typeIfLj2EEiiiiS1_IjLj3EES5_S5_S5_.uses_flat_scratch, 0
	.set _ZL33flash_attn_stream_k_fixup_generalILi96ELi1ELi2EEvPfPK15HIP_vector_typeIfLj2EEiiiiS1_IjLj3EES5_S5_S5_.has_dyn_sized_stack, 0
	.set _ZL33flash_attn_stream_k_fixup_generalILi96ELi1ELi2EEvPfPK15HIP_vector_typeIfLj2EEiiiiS1_IjLj3EES5_S5_S5_.has_recursion, 0
	.set _ZL33flash_attn_stream_k_fixup_generalILi96ELi1ELi2EEvPfPK15HIP_vector_typeIfLj2EEiiiiS1_IjLj3EES5_S5_S5_.has_indirect_call, 0
	.section	.AMDGPU.csdata,"",@progbits
; Kernel info:
; codeLenInByte = 3348
; TotalNumSgprs: 48
; NumVgprs: 12
; ScratchSize: 0
; MemoryBound: 0
; FloatMode: 240
; IeeeMode: 1
; LDSByteSize: 0 bytes/workgroup (compile time only)
; SGPRBlocks: 0
; VGPRBlocks: 0
; NumSGPRsForWavesPerEU: 48
; NumVGPRsForWavesPerEU: 12
; NamedBarCnt: 0
; Occupancy: 16
; WaveLimiterHint : 0
; COMPUTE_PGM_RSRC2:SCRATCH_EN: 0
; COMPUTE_PGM_RSRC2:USER_SGPR: 2
; COMPUTE_PGM_RSRC2:TRAP_HANDLER: 0
; COMPUTE_PGM_RSRC2:TGID_X_EN: 1
; COMPUTE_PGM_RSRC2:TGID_Y_EN: 1
; COMPUTE_PGM_RSRC2:TGID_Z_EN: 1
; COMPUTE_PGM_RSRC2:TIDIG_COMP_CNT: 0
	.section	.text._ZL15flash_attn_tileILi96ELi96ELi64ELi1ELb0EEvPKcS1_S1_S1_S1_PKiPfP15HIP_vector_typeIfLj2EEffffjfiS5_IjLj3EEiiiiiiiiiiiliiliiiiil,"axG",@progbits,_ZL15flash_attn_tileILi96ELi96ELi64ELi1ELb0EEvPKcS1_S1_S1_S1_PKiPfP15HIP_vector_typeIfLj2EEffffjfiS5_IjLj3EEiiiiiiiiiiiliiliiiiil,comdat
	.globl	_ZL15flash_attn_tileILi96ELi96ELi64ELi1ELb0EEvPKcS1_S1_S1_S1_PKiPfP15HIP_vector_typeIfLj2EEffffjfiS5_IjLj3EEiiiiiiiiiiiliiliiiiil ; -- Begin function _ZL15flash_attn_tileILi96ELi96ELi64ELi1ELb0EEvPKcS1_S1_S1_S1_PKiPfP15HIP_vector_typeIfLj2EEffffjfiS5_IjLj3EEiiiiiiiiiiiliiliiiiil
	.p2align	8
	.type	_ZL15flash_attn_tileILi96ELi96ELi64ELi1ELb0EEvPKcS1_S1_S1_S1_PKiPfP15HIP_vector_typeIfLj2EEffffjfiS5_IjLj3EEiiiiiiiiiiiliiliiiiil,@function
_ZL15flash_attn_tileILi96ELi96ELi64ELi1ELb0EEvPKcS1_S1_S1_S1_PKiPfP15HIP_vector_typeIfLj2EEffffjfiS5_IjLj3EEiiiiiiiiiiiliiliiiiil: ; @_ZL15flash_attn_tileILi96ELi96ELi64ELi1ELb0EEvPKcS1_S1_S1_S1_PKiPfP15HIP_vector_typeIfLj2EEffffjfiS5_IjLj3EEiiiiiiiiiiiliiliiiiil
; %bb.0:
	s_clause 0x1
	s_load_b128 s[36:39], s[0:1], 0x5c
	s_load_b64 s[46:47], s[0:1], 0x80
	s_bfe_u32 s4, ttmp6, 0x40014
	s_lshr_b32 s3, ttmp7, 16
	s_add_co_i32 s4, s4, 1
	s_bfe_u32 s5, ttmp6, 0x40008
	s_mul_i32 s4, s3, s4
	s_getreg_b32 s12, hwreg(HW_REG_IB_STS2, 6, 4)
	s_add_co_i32 s5, s5, s4
	s_load_b512 s[16:31], s[0:1], 0x0
	s_mov_b32 s11, 0
	s_mov_b64 s[40:41], 0
	s_wait_kmcnt 0x0
	s_cvt_f32_u32 s2, s39
	s_sub_co_i32 s6, 0, s39
	s_delay_alu instid0(SALU_CYCLE_2) | instskip(SKIP_1) | instid1(TRANS32_DEP_1)
	v_rcp_iflag_f32_e32 v1, s2
	v_nop
	v_readfirstlane_b32 s2, v1
	s_mul_f32 s2, s2, 0x4f7ffffe
	s_delay_alu instid0(SALU_CYCLE_3) | instskip(NEXT) | instid1(SALU_CYCLE_3)
	s_cvt_u32_f32 s2, s2
	s_mul_i32 s6, s6, s2
	s_delay_alu instid0(SALU_CYCLE_1) | instskip(NEXT) | instid1(SALU_CYCLE_1)
	s_mul_hi_u32 s6, s2, s6
	s_add_co_i32 s2, s2, s6
	s_cmp_eq_u32 s12, 0
	s_cselect_b32 s8, s3, s5
	s_delay_alu instid0(SALU_CYCLE_1) | instskip(NEXT) | instid1(SALU_CYCLE_1)
	s_mul_hi_u32 s2, s8, s2
	s_mul_i32 s3, s2, s39
	s_add_co_i32 s4, s2, 1
	s_sub_co_i32 s3, s8, s3
	s_delay_alu instid0(SALU_CYCLE_1)
	s_sub_co_i32 s5, s3, s39
	s_cmp_ge_u32 s3, s39
	s_cselect_b32 s2, s4, s2
	s_cselect_b32 s3, s5, s3
	s_add_co_i32 s4, s2, 1
	s_cmp_ge_u32 s3, s39
	s_cselect_b32 s34, s4, s2
	s_abs_i32 s2, s47
	s_abs_i32 s5, s39
	s_cvt_f32_u32 s3, s2
	s_sub_co_i32 s4, 0, s2
	s_mul_i32 s9, s34, s39
	s_delay_alu instid0(SALU_CYCLE_1) | instskip(SKIP_1) | instid1(TRANS32_DEP_1)
	v_rcp_iflag_f32_e32 v1, s3
	v_nop
	v_readfirstlane_b32 s3, v1
	s_mul_f32 s3, s3, 0x4f7ffffe
	s_delay_alu instid0(SALU_CYCLE_3) | instskip(NEXT) | instid1(SALU_CYCLE_3)
	s_cvt_u32_f32 s3, s3
	s_mul_i32 s4, s4, s3
	s_delay_alu instid0(SALU_CYCLE_1) | instskip(NEXT) | instid1(SALU_CYCLE_1)
	s_mul_hi_u32 s4, s3, s4
	s_add_co_i32 s3, s3, s4
	s_xor_b32 s4, s39, s47
	s_mul_hi_u32 s3, s5, s3
	s_ashr_i32 s4, s4, 31
	s_mul_i32 s6, s3, s2
	s_delay_alu instid0(SALU_CYCLE_1)
	s_sub_co_i32 s5, s5, s6
	s_add_co_i32 s6, s3, 1
	s_sub_co_i32 s7, s5, s2
	s_cmp_ge_u32 s5, s2
	s_cselect_b32 s3, s6, s3
	s_cselect_b32 s5, s7, s5
	s_add_co_i32 s6, s3, 1
	s_cmp_ge_u32 s5, s2
	s_cselect_b32 s2, s6, s3
	s_delay_alu instid0(SALU_CYCLE_1) | instskip(SKIP_2) | instid1(SALU_CYCLE_1)
	s_xor_b32 s5, s2, s4
	s_load_b64 s[2:3], s[0:1], 0xb8
	s_sub_co_i32 s14, s5, s4
	s_abs_i32 s13, s14
	s_cmp_eq_u64 s[22:23], 0
	s_cvt_f32_u32 s4, s13
	s_delay_alu instid0(SALU_CYCLE_3) | instskip(SKIP_1) | instid1(TRANS32_DEP_1)
	v_rcp_iflag_f32_e32 v1, s4
	v_nop
	v_readfirstlane_b32 s15, v1
	s_cbranch_scc1 .LBB52_2
; %bb.1:
	s_wait_kmcnt 0x0
	s_abs_i32 s2, s2
	s_abs_i32 s6, s34
	s_cvt_f32_u32 s4, s2
	s_sub_co_i32 s5, 0, s2
	s_delay_alu instid0(SALU_CYCLE_2) | instskip(SKIP_1) | instid1(TRANS32_DEP_1)
	v_rcp_iflag_f32_e32 v1, s4
	v_nop
	v_readfirstlane_b32 s4, v1
	s_mul_f32 s4, s4, 0x4f7ffffe
	s_delay_alu instid0(SALU_CYCLE_3) | instskip(NEXT) | instid1(SALU_CYCLE_3)
	s_cvt_u32_f32 s4, s4
	s_mul_i32 s5, s5, s4
	s_delay_alu instid0(SALU_CYCLE_1) | instskip(NEXT) | instid1(SALU_CYCLE_1)
	s_mul_hi_u32 s5, s4, s5
	s_add_co_i32 s4, s4, s5
	s_delay_alu instid0(SALU_CYCLE_1) | instskip(SKIP_2) | instid1(SALU_CYCLE_1)
	s_mul_hi_u32 s7, s6, s4
	s_load_b64 s[4:5], s[0:1], 0xc8
	s_mul_i32 s7, s7, s2
	s_sub_co_i32 s6, s6, s7
	s_ashr_i32 s7, s34, 31
	s_sub_co_i32 s10, s6, s2
	s_cmp_ge_u32 s6, s2
	s_cselect_b32 s6, s10, s6
	s_delay_alu instid0(SALU_CYCLE_1) | instskip(SKIP_2) | instid1(SALU_CYCLE_1)
	s_sub_co_i32 s10, s6, s2
	s_cmp_ge_u32 s6, s2
	s_cselect_b32 s2, s10, s6
	s_xor_b32 s2, s2, s7
	s_delay_alu instid0(SALU_CYCLE_1) | instskip(NEXT) | instid1(SALU_CYCLE_1)
	s_sub_co_i32 s6, s2, s7
	s_ashr_i32 s7, s6, 31
	s_wait_kmcnt 0x0
	s_mul_u64 s[4:5], s[4:5], s[6:7]
	s_delay_alu instid0(SALU_CYCLE_1)
	s_add_nc_u64 s[40:41], s[22:23], s[4:5]
.LBB52_2:
	s_load_b128 s[4:7], s[0:1], 0x40
	s_wait_kmcnt 0x0
	s_load_b32 s2, s[0:1], 0x50
	s_sub_co_i32 s33, s8, s9
	v_mov_b32_e32 v176, 1.0
	s_cmp_le_f32 s5, 0
	s_cbranch_scc1 .LBB52_4
; %bb.3:
	s_wait_kmcnt 0x0
	v_sub_co_u32 v1, s2, s33, s2
	s_and_b32 s8, s2, exec_lo
	s_cselect_b32 s6, s6, s7
	s_add_co_i32 s7, s33, 1
	v_readfirstlane_b32 s5, v1
	s_lshl_b32 s5, s5, 1
	s_delay_alu instid0(SALU_CYCLE_1) | instskip(SKIP_4) | instid1(SALU_CYCLE_3)
	s_or_b32 s5, s5, 1
	s_and_b32 s2, s2, exec_lo
	s_cselect_b32 s2, s7, s5
	s_cmp_neq_f32 s6, 1.0
	s_cvt_f32_i32 s2, s2
	s_cselect_b32 s5, s2, 1.0
	s_delay_alu instid0(SALU_CYCLE_1) | instskip(SKIP_1) | instid1(SALU_CYCLE_1)
	s_cmp_neq_f32 s5, 0
	s_cselect_b32 s2, s6, 1.0
	v_cvt_f64_f32_e64 v[2:3], |s2|
	s_delay_alu instid0(VALU_DEP_1) | instskip(SKIP_1) | instid1(VALU_DEP_1)
	v_frexp_exp_i32_f64_e32 v1, v[2:3]
	v_frexp_mant_f32_e64 v2, |s2|
	v_readfirstlane_b32 s6, v2
	s_cmp_lt_f32 s6, 0x3f2aaaab
	s_cselect_b32 vcc_lo, -1, 0
	s_delay_alu instid0(SALU_CYCLE_1) | instskip(SKIP_1) | instid1(SALU_CYCLE_1)
	s_and_b32 s7, vcc_lo, exec_lo
	s_cselect_b32 s7, 2.0, 1.0
	s_mul_f32 s6, s6, s7
	s_delay_alu instid0(SALU_CYCLE_3) | instskip(SKIP_1) | instid1(SALU_CYCLE_2)
	s_add_f32 s7, s6, 1.0
	s_add_f32 s9, s6, -1.0
	v_s_rcp_f32 s8, s7
	s_add_f32 s23, s7, -1.0
	v_subrev_co_ci_u32_e64 v1, null, 0, v1, vcc_lo
	s_delay_alu instid0(SALU_CYCLE_2) | instskip(NEXT) | instid1(TRANS32_DEP_1)
	s_sub_f32 s6, s6, s23
	s_mul_f32 s10, s9, s8
	v_cvt_f32_i32_e32 v1, v1
	s_delay_alu instid0(SALU_CYCLE_2) | instskip(NEXT) | instid1(SALU_CYCLE_3)
	s_mul_f32 s22, s7, s10
	v_dual_mov_b32 v3, s9 :: v_dual_mov_b32 v4, s22
	s_xor_b32 s35, s22, 0x80000000
	s_delay_alu instid0(SALU_CYCLE_1) | instskip(NEXT) | instid1(SALU_CYCLE_3)
	s_fmac_f32 s35, s10, s7
	s_fmac_f32 s35, s10, s6
	s_delay_alu instid0(SALU_CYCLE_3) | instskip(SKIP_2) | instid1(SALU_CYCLE_1)
	s_add_f32 s6, s22, s35
	v_mov_b32_e32 v6, s35
	s_mov_b32 s22, 0x3e76c4e1
	s_sub_f32 s7, s9, s6
	v_dual_mov_b32 v2, s6 :: v_dual_mov_b32 v7, s6
	s_delay_alu instid0(SALU_CYCLE_2) | instskip(NEXT) | instid1(VALU_DEP_1)
	v_mov_b32_e32 v5, s7
	v_pk_add_f32 v[2:3], v[2:3], v[4:5] neg_lo:[0,1] neg_hi:[0,1]
	s_delay_alu instid0(VALU_DEP_1) | instskip(NEXT) | instid1(VALU_DEP_1)
	v_pk_add_f32 v[2:3], v[2:3], v[6:7] neg_lo:[0,1] neg_hi:[0,1]
	v_readfirstlane_b32 s6, v3
	s_delay_alu instid0(VALU_DEP_2) | instskip(SKIP_1) | instid1(SALU_CYCLE_3)
	v_readfirstlane_b32 s9, v2
	s_add_f32 s6, s9, s6
	s_add_f32 s6, s7, s6
	s_delay_alu instid0(SALU_CYCLE_3) | instskip(NEXT) | instid1(SALU_CYCLE_3)
	s_mul_f32 s7, s8, s6
	s_add_f32 s6, s10, s7
	s_delay_alu instid0(SALU_CYCLE_3) | instskip(SKIP_1) | instid1(SALU_CYCLE_2)
	s_sub_f32 s8, s6, s10
	s_mul_f32 s9, s6, s6
	s_sub_f32 s10, s7, s8
	s_delay_alu instid0(SALU_CYCLE_2) | instskip(NEXT) | instid1(SALU_CYCLE_1)
	s_xor_b32 s7, s9, 0x80000000
	s_fmac_f32 s7, s6, s6
	s_delay_alu instid0(SALU_CYCLE_1) | instskip(NEXT) | instid1(SALU_CYCLE_3)
	s_add_f32 s8, s10, s10
	s_fmac_f32 s7, s6, s8
	s_delay_alu instid0(SALU_CYCLE_3) | instskip(NEXT) | instid1(SALU_CYCLE_3)
	s_add_f32 s8, s9, s7
	s_fmaak_f32 s22, s8, s22, 0x3e91f4c4
	s_sub_f32 s9, s8, s9
	s_delay_alu instid0(SALU_CYCLE_2) | instskip(NEXT) | instid1(SALU_CYCLE_2)
	s_fmaak_f32 s22, s8, s22, 0x3ecccdef
	s_sub_f32 s42, s7, s9
	s_delay_alu instid0(SALU_CYCLE_2) | instskip(NEXT) | instid1(SALU_CYCLE_3)
	s_mul_f32 s23, s8, s22
	s_xor_b32 s35, s23, 0x80000000
	s_delay_alu instid0(SALU_CYCLE_1) | instskip(NEXT) | instid1(SALU_CYCLE_3)
	s_fmac_f32 s35, s8, s22
	s_fmac_f32 s35, s42, s22
	s_delay_alu instid0(SALU_CYCLE_3) | instskip(NEXT) | instid1(SALU_CYCLE_3)
	s_add_f32 s9, s23, s35
	s_sub_f32 s7, s9, s23
	s_add_f32 s22, s9, 0x3f2aaaaa
	s_delay_alu instid0(SALU_CYCLE_2) | instskip(NEXT) | instid1(SALU_CYCLE_2)
	s_sub_f32 s7, s35, s7
	s_add_f32 s23, s22, 0xbf2aaaaa
	s_delay_alu instid0(SALU_CYCLE_2) | instskip(NEXT) | instid1(SALU_CYCLE_2)
	s_add_f32 s7, s7, 0x31739010
	s_sub_f32 s9, s9, s23
	s_delay_alu instid0(SALU_CYCLE_2) | instskip(NEXT) | instid1(SALU_CYCLE_2)
	v_mov_b64_e32 v[2:3], s[6:7]
	v_mov_b64_e32 v[4:5], s[8:9]
	s_delay_alu instid0(VALU_DEP_1) | instskip(SKIP_2) | instid1(VALU_DEP_3)
	v_pk_mul_f32 v[6:7], v[2:3], v[4:5]
	v_pk_add_f32 v[2:3], v[2:3], v[4:5]
	v_mov_b32_e32 v9, s22
	v_xor_b32_e32 v8, 0x80000000, v6
	s_delay_alu instid0(VALU_DEP_3) | instskip(NEXT) | instid1(VALU_DEP_2)
	v_mov_b32_e32 v7, v3
	v_fmac_f32_e64 v8, s8, s6
	s_delay_alu instid0(VALU_DEP_1) | instskip(NEXT) | instid1(VALU_DEP_1)
	v_fmac_f32_e64 v8, s8, s10
	v_fmac_f32_e64 v8, s42, s6
	s_delay_alu instid0(VALU_DEP_1) | instskip(NEXT) | instid1(VALU_DEP_1)
	v_pk_add_f32 v[4:5], v[6:7], v[8:9]
	v_dual_mov_b32 v2, v5 :: v_dual_sub_f32 v7, s22, v5
	v_mul_f32_e32 v12, 0x3f317218, v1
	s_delay_alu instid0(VALU_DEP_2) | instskip(NEXT) | instid1(VALU_DEP_3)
	v_pk_mul_f32 v[10:11], v[4:5], v[2:3]
	v_add_f32_e32 v3, v3, v7
	s_delay_alu instid0(VALU_DEP_3) | instskip(NEXT) | instid1(VALU_DEP_3)
	v_xor_b32_e32 v7, 0x80000000, v12
	v_xor_b32_e32 v2, 0x80000000, v10
	s_delay_alu instid0(VALU_DEP_2) | instskip(NEXT) | instid1(VALU_DEP_2)
	v_dual_sub_f32 v6, v4, v6 :: v_dual_fmac_f32 v7, 0x3f317218, v1
	v_fmac_f32_e32 v2, v4, v5
	s_delay_alu instid0(VALU_DEP_2) | instskip(NEXT) | instid1(VALU_DEP_2)
	v_sub_f32_e32 v6, v8, v6
	v_fmac_f32_e32 v2, v4, v3
	s_delay_alu instid0(VALU_DEP_1) | instskip(SKIP_3) | instid1(VALU_DEP_2)
	v_fmac_f32_e32 v2, v6, v5
	v_fmamk_f32 v4, v1, 0xb102e308, v7
	v_ldexp_f32 v5, s6, 1
	v_ldexp_f32 v1, s10, 1
	v_dual_add_f32 v13, v10, v2 :: v_dual_mov_b32 v11, v5
	s_delay_alu instid0(VALU_DEP_1) | instskip(SKIP_1) | instid1(VALU_DEP_2)
	v_pk_add_f32 v[6:7], v[12:13], v[4:5]
	v_dual_mov_b32 v8, v13 :: v_dual_mov_b32 v3, v13
	v_dual_mov_b32 v9, v7 :: v_dual_mov_b32 v5, v6
	v_mov_b32_e32 v14, v7
	s_delay_alu instid0(VALU_DEP_2) | instskip(NEXT) | instid1(VALU_DEP_1)
	v_pk_add_f32 v[8:9], v[8:9], v[10:11] neg_lo:[0,1] neg_hi:[0,1]
	v_pk_add_f32 v[2:3], v[2:3], v[8:9] neg_lo:[0,1] neg_hi:[0,1]
	s_delay_alu instid0(VALU_DEP_1) | instskip(NEXT) | instid1(VALU_DEP_1)
	v_add_f32_e32 v1, v1, v2
	v_add_f32_e32 v13, v1, v3
	s_delay_alu instid0(VALU_DEP_1) | instskip(SKIP_1) | instid1(VALU_DEP_2)
	v_pk_add_f32 v[2:3], v[6:7], v[12:13]
	v_pk_add_f32 v[8:9], v[6:7], v[12:13] neg_lo:[0,1] neg_hi:[0,1]
	v_mov_b32_e32 v9, v3
	s_delay_alu instid0(VALU_DEP_1) | instskip(SKIP_2) | instid1(VALU_DEP_3)
	v_pk_add_f32 v[10:11], v[4:5], v[8:9]
	v_pk_add_f32 v[4:5], v[4:5], v[8:9] neg_lo:[0,1] neg_hi:[0,1]
	v_dual_mov_b32 v16, v3 :: v_dual_mov_b32 v5, v6
	v_dual_mov_b32 v12, v11 :: v_dual_mov_b32 v17, v11
	s_delay_alu instid0(VALU_DEP_3) | instskip(NEXT) | instid1(VALU_DEP_2)
	v_readfirstlane_b32 s6, v4
	v_pk_add_f32 v[8:9], v[12:13], v[6:7] neg_lo:[0,1] neg_hi:[0,1]
	s_delay_alu instid0(VALU_DEP_2) | instskip(NEXT) | instid1(VALU_DEP_2)
	v_dual_mov_b32 v4, v13 :: v_dual_mov_b32 v10, s6
	v_dual_mov_b32 v15, v8 :: v_dual_mov_b32 v1, v8
	s_delay_alu instid0(VALU_DEP_1) | instskip(NEXT) | instid1(VALU_DEP_2)
	v_pk_add_f32 v[6:7], v[16:17], v[14:15] neg_lo:[0,1] neg_hi:[0,1]
	v_pk_add_f32 v[2:3], v[2:3], v[0:1] neg_lo:[0,1] neg_hi:[0,1]
	v_mov_b32_e32 v2, s6
	s_delay_alu instid0(VALU_DEP_3) | instskip(NEXT) | instid1(VALU_DEP_1)
	v_pk_add_f32 v[4:5], v[4:5], v[6:7] neg_lo:[0,1] neg_hi:[0,1]
	v_pk_add_f32 v[2:3], v[2:3], v[4:5]
	s_delay_alu instid0(VALU_DEP_1) | instskip(NEXT) | instid1(VALU_DEP_2)
	v_readfirstlane_b32 s7, v2
	v_mov_b32_e32 v6, v3
	s_delay_alu instid0(VALU_DEP_1) | instskip(NEXT) | instid1(VALU_DEP_3)
	v_pk_add_f32 v[6:7], v[2:3], v[6:7]
	v_mov_b32_e32 v2, s7
	s_delay_alu instid0(VALU_DEP_2) | instskip(SKIP_1) | instid1(VALU_DEP_2)
	v_pk_add_f32 v[8:9], v[12:13], v[6:7]
	v_mov_b32_e32 v5, v6
	v_readfirstlane_b32 s8, v8
	s_delay_alu instid0(VALU_DEP_1) | instskip(NEXT) | instid1(VALU_DEP_1)
	v_mov_b32_e32 v3, s8
	v_pk_add_f32 v[2:3], v[2:3], v[10:11] neg_lo:[0,1] neg_hi:[0,1]
	s_delay_alu instid0(VALU_DEP_1) | instskip(NEXT) | instid1(VALU_DEP_2)
	v_readfirstlane_b32 s9, v2
	v_pk_add_f32 v[2:3], v[4:5], v[2:3] neg_lo:[0,1] neg_hi:[0,1]
	s_sub_f32 s7, s7, s9
	s_delay_alu instid0(VALU_DEP_1) | instskip(NEXT) | instid1(SALU_CYCLE_2)
	v_readfirstlane_b32 s9, v2
	s_sub_f32 s6, s6, s7
	v_readfirstlane_b32 s7, v3
	s_delay_alu instid0(SALU_CYCLE_2) | instskip(NEXT) | instid1(SALU_CYCLE_3)
	s_add_f32 s6, s9, s6
	s_add_f32 s6, s6, s7
	s_delay_alu instid0(SALU_CYCLE_3) | instskip(NEXT) | instid1(SALU_CYCLE_3)
	s_add_f32 s7, s8, s6
	s_mul_f32 s9, s5, s7
	s_sub_f32 s8, s7, s8
	s_delay_alu instid0(SALU_CYCLE_2) | instskip(NEXT) | instid1(SALU_CYCLE_2)
	s_xor_b32 s10, s9, 0x80000000
	s_sub_f32 s6, s6, s8
	s_fmac_f32 s10, s5, s7
	s_delay_alu instid0(SALU_CYCLE_3) | instskip(SKIP_1) | instid1(SALU_CYCLE_2)
	s_fmac_f32 s10, s5, s6
	v_cmp_class_f32_e64 s6, s9, 0x204
	s_add_f32 s7, s9, s10
	s_and_b32 s6, s6, exec_lo
	s_delay_alu instid0(SALU_CYCLE_2) | instskip(SKIP_1) | instid1(SALU_CYCLE_1)
	s_sub_f32 s6, s7, s9
	s_cselect_b32 s7, s9, s7
	s_and_b32 s8, s7, 0x7fffffff
	s_delay_alu instid0(SALU_CYCLE_1) | instskip(SKIP_1) | instid1(SALU_CYCLE_2)
	s_sub_f32 s6, s10, s6
	s_cmp_neq_f32 s8, 0x7f800000
	s_cselect_b32 s6, s6, 0
	s_cmp_eq_f32 s7, 0x42b17218
	s_cselect_b32 s8, 0x37000000, 0
	s_delay_alu instid0(SALU_CYCLE_1) | instskip(SKIP_1) | instid1(SALU_CYCLE_2)
	s_sub_f32 s7, s7, s8
	s_add_f32 s6, s8, s6
	s_mul_f32 s9, s7, 0x3fb8aa3b
	s_delay_alu instid0(SALU_CYCLE_3) | instskip(SKIP_3) | instid1(SALU_CYCLE_1)
	s_xor_b32 s10, s9, 0x80000000
	s_rndne_f32 s22, s9
	s_fmamk_f32 s10, s7, 0x3fb8aa3b, s10
	s_cmp_nlt_f32 s7, 0xc2ce8ed0
	s_sub_f32 s9, s9, s22
	s_delay_alu instid0(SALU_CYCLE_1)
	s_fmamk_f32 s10, s7, 0x32a5705f, s10
	s_cselect_b32 vcc_lo, -1, 0
	s_cmp_ngt_f32 s7, 0x42b17218
	s_trunc_f32 s7, s5
	s_add_f32 s9, s9, s10
	s_cvt_i32_f32 s10, s22
	s_delay_alu instid0(SALU_CYCLE_2)
	v_s_exp_f32 s9, s9
	v_nop
	s_delay_alu instid0(TRANS32_DEP_1) | instid1(SALU_CYCLE_1)
	v_ldexp_f32 v1, s9, s10
	s_mul_f32 s9, s5, 0.5
	s_delay_alu instid0(VALU_DEP_1) | instskip(SKIP_3) | instid1(VALU_DEP_1)
	v_cndmask_b32_e32 v1, 0, v1, vcc_lo
	s_cselect_b32 vcc_lo, -1, 0
	s_cmp_eq_f32 s7, s5
	s_trunc_f32 s10, s9
	v_cndmask_b32_e32 v1, 0x7f800000, v1, vcc_lo
	s_cselect_b32 s22, -1, 0
	s_delay_alu instid0(SALU_CYCLE_1) | instskip(NEXT) | instid1(VALU_DEP_1)
	s_cmp_neq_f32 s10, s9
	v_fma_f32 v2, s6, v1, v1
	v_cmp_class_f32_e64 vcc_lo, v1, 0x204
	s_cselect_b32 s8, -1, 0
	s_delay_alu instid0(SALU_CYCLE_1)
	s_and_b32 s6, s22, s8
	v_cndmask_b32_e32 v1, v2, v1, vcc_lo
	s_and_b32 s8, s6, exec_lo
	s_cselect_b32 s8, s2, 1.0
	s_cmp_eq_f32 s7, s5
	v_cmp_class_f32_e64 s7, s2, 0x204
	v_bfi_b32 v1, 0x7fffffff, v1, s8
	s_cselect_b32 vcc_lo, -1, 0
	s_cmp_lt_f32 s2, 0
	s_delay_alu instid0(VALU_DEP_1) | instskip(SKIP_2) | instid1(VALU_DEP_1)
	v_cndmask_b32_e32 v2, 0x7fc00000, v1, vcc_lo
	s_cselect_b32 vcc_lo, -1, 0
	s_cmp_eq_f32 s2, 0
	v_cndmask_b32_e32 v1, v1, v2, vcc_lo
	s_cselect_b32 s8, -1, 0
	s_delay_alu instid0(SALU_CYCLE_1) | instskip(SKIP_2) | instid1(SALU_CYCLE_1)
	s_or_b32 vcc_lo, s8, s7
	s_cmp_lt_f32 s5, 0
	s_cselect_b32 s5, -1, 0
	s_xor_b32 s5, s5, s8
	s_delay_alu instid0(SALU_CYCLE_1)
	s_and_b32 s5, s5, exec_lo
	s_cselect_b32 s5, 0, 0x7f800000
	s_and_b32 s6, s6, exec_lo
	s_cselect_b32 s6, s2, 0
	s_cmp_o_f32 s2, s2
	v_mov_b32_e32 v2, s6
	s_delay_alu instid0(VALU_DEP_1) | instskip(NEXT) | instid1(VALU_DEP_1)
	v_bfi_b32 v2, 0x7fffffff, s5, v2
	v_cndmask_b32_e32 v1, v1, v2, vcc_lo
	s_cselect_b32 vcc_lo, -1, 0
	s_delay_alu instid0(VALU_DEP_1)
	v_cndmask_b32_e32 v176, 0x7fc00000, v1, vcc_lo
.LBB52_4:
	s_load_b96 s[8:10], s[0:1], 0x70
	s_bfe_u32 s5, ttmp6, 0x4000c
	s_wait_kmcnt 0x0
	s_and_b32 s2, ttmp6, 15
	s_add_co_i32 s5, s5, 1
	v_and_b32_e32 v153, 0x3ff, v0
	s_mul_i32 s5, ttmp9, s5
	v_bfe_u32 v169, v0, 10, 10
	s_add_co_i32 s2, s2, s5
	s_cmp_eq_u32 s12, 0
	v_dual_mov_b32 v1, 0 :: v_dual_lshlrev_b32 v0, 4, v153
	s_cselect_b32 s5, ttmp9, s2
	v_lshlrev_b32_e32 v155, 3, v169
	s_lshl_b32 s47, s5, 6
	v_cmp_gt_u32_e64 s2, 24, v153
	v_lshlrev_b32_e32 v156, 3, v153
	s_mov_b32 s45, 0
	v_add_nc_u32_e32 v114, s47, v155
	s_mov_b32 s44, s36
	s_mul_i32 s6, s34, s10
	s_mul_i32 s22, s33, s9
	s_ashr_i32 s7, s6, 31
	s_ashr_i32 s23, s22, 31
	s_add_nc_u64 s[6:7], s[16:17], s[6:7]
	s_ashr_i32 s9, s8, 31
	s_add_nc_u64 s[6:7], s[6:7], s[22:23]
	s_delay_alu instid0(SALU_CYCLE_1)
	v_add_nc_u64_e32 v[2:3], s[6:7], v[0:1]
	s_lshr_b64 s[6:7], s[8:9], 2
	s_and_saveexec_b32 s8, s2
	s_cbranch_execz .LBB52_6
; %bb.5:
	v_mov_b32_e32 v115, v1
	s_delay_alu instid0(VALU_DEP_1) | instskip(NEXT) | instid1(VALU_DEP_1)
	v_mul_u64_e32 v[4:5], s[44:45], v[114:115]
	v_dual_mov_b32 v5, v1 :: v_dual_add_nc_u32 v4, v114, v5
	s_delay_alu instid0(VALU_DEP_1) | instskip(NEXT) | instid1(VALU_DEP_1)
	v_lshrrev_b32_e32 v4, s37, v4
	v_mul_lo_u32 v4, v4, s38
	s_delay_alu instid0(VALU_DEP_1) | instskip(NEXT) | instid1(VALU_DEP_1)
	v_sub_nc_u32_e32 v4, v114, v4
	v_mul_u64_e32 v[4:5], s[6:7], v[4:5]
	s_delay_alu instid0(VALU_DEP_1) | instskip(SKIP_3) | instid1(VALU_DEP_1)
	v_lshl_add_u64 v[4:5], v[4:5], 2, v[2:3]
	global_load_b128 v[4:7], v[4:5], off
	s_wait_loadcnt 0x0
	v_fma_mixlo_f16 v1, s4, v4, 0
	v_and_b32_e32 v1, 0xffff, v1
	v_mov_b32_e32 v4, v7
	s_delay_alu instid0(VALU_DEP_1) | instskip(NEXT) | instid1(VALU_DEP_1)
	v_pk_mul_f32 v[4:5], s[4:5], v[4:5] op_sel_hi:[0,1]
	v_cvt_pk_f16_f32 v4, v4, v5
	v_fma_mixlo_f16 v5, s4, v6, 0
	s_delay_alu instid0(VALU_DEP_2) | instskip(NEXT) | instid1(VALU_DEP_2)
	v_and_b32_e32 v6, 0xffff0000, v4
	v_and_b32_e32 v5, 0xffff, v5
	s_delay_alu instid0(VALU_DEP_2) | instskip(SKIP_1) | instid1(VALU_DEP_2)
	v_dual_lshlrev_b32 v4, 16, v4 :: v_dual_bitop2_b32 v1, v6, v1 bitop3:0x54
	v_mad_u32_u24 v6, 0x600, v169, v156
	v_or3_b32 v5, v4, v5, 0
	s_delay_alu instid0(VALU_DEP_3)
	v_or3_b32 v4, 0, 0, v1
	ds_store_b64 v6, v[4:5]
.LBB52_6:
	s_or_b32 exec_lo, exec_lo, s8
	v_or_b32_e32 v154, 1, v155
	s_delay_alu instid0(VALU_DEP_1)
	v_add_nc_u32_e32 v112, s47, v154
	s_and_saveexec_b32 s8, s2
	s_cbranch_execz .LBB52_8
; %bb.7:
	v_mov_b32_e32 v113, 0
	s_delay_alu instid0(VALU_DEP_1) | instskip(NEXT) | instid1(VALU_DEP_1)
	v_mul_u64_e32 v[4:5], s[44:45], v[112:113]
	v_dual_add_nc_u32 v1, v112, v5 :: v_dual_mov_b32 v5, v113
	s_delay_alu instid0(VALU_DEP_1) | instskip(NEXT) | instid1(VALU_DEP_1)
	v_lshrrev_b32_e32 v1, s37, v1
	v_mul_lo_u32 v1, v1, s38
	s_delay_alu instid0(VALU_DEP_1) | instskip(NEXT) | instid1(VALU_DEP_1)
	v_sub_nc_u32_e32 v4, v112, v1
	v_mul_u64_e32 v[4:5], s[6:7], v[4:5]
	s_delay_alu instid0(VALU_DEP_1) | instskip(SKIP_4) | instid1(VALU_DEP_2)
	v_lshl_add_u64 v[4:5], v[4:5], 2, v[2:3]
	global_load_b128 v[4:7], v[4:5], off
	s_wait_loadcnt 0x0
	v_fma_mixlo_f16 v1, s4, v4, 0
	v_mov_b32_e32 v4, v7
	v_and_b32_e32 v1, 0xffff, v1
	s_delay_alu instid0(VALU_DEP_2) | instskip(NEXT) | instid1(VALU_DEP_1)
	v_pk_mul_f32 v[4:5], s[4:5], v[4:5] op_sel_hi:[0,1]
	v_cvt_pk_f16_f32 v4, v4, v5
	v_fma_mixlo_f16 v5, s4, v6, 0
	s_delay_alu instid0(VALU_DEP_2) | instskip(NEXT) | instid1(VALU_DEP_2)
	v_and_b32_e32 v6, 0xffff0000, v4
	v_and_b32_e32 v5, 0xffff, v5
	s_delay_alu instid0(VALU_DEP_2) | instskip(SKIP_1) | instid1(VALU_DEP_2)
	v_dual_lshlrev_b32 v4, 16, v4 :: v_dual_bitop2_b32 v1, v6, v1 bitop3:0x54
	v_mad_u32_u24 v6, 0xc0, v154, v156
	v_or3_b32 v5, v4, v5, 0
	s_delay_alu instid0(VALU_DEP_3)
	v_or3_b32 v4, 0, 0, v1
	ds_store_b64 v6, v[4:5]
.LBB52_8:
	s_or_b32 exec_lo, exec_lo, s8
	v_or_b32_e32 v152, 2, v155
	s_mul_f32 s8, s15, 0x4f7ffffe
	s_and_saveexec_b32 s9, s2
	s_cbranch_execz .LBB52_10
; %bb.9:
	s_delay_alu instid0(VALU_DEP_1) | instskip(NEXT) | instid1(VALU_DEP_1)
	v_dual_mov_b32 v5, 0 :: v_dual_add_nc_u32 v4, s47, v152
	v_mul_u64_e32 v[6:7], s[44:45], v[4:5]
	s_delay_alu instid0(VALU_DEP_1) | instskip(NEXT) | instid1(VALU_DEP_1)
	v_add_nc_u32_e32 v1, v4, v7
	v_lshrrev_b32_e32 v1, s37, v1
	s_delay_alu instid0(VALU_DEP_1) | instskip(NEXT) | instid1(VALU_DEP_1)
	v_mul_lo_u32 v1, v1, s38
	v_sub_nc_u32_e32 v4, v4, v1
	s_delay_alu instid0(VALU_DEP_1) | instskip(NEXT) | instid1(VALU_DEP_1)
	v_mul_u64_e32 v[4:5], s[6:7], v[4:5]
	v_lshl_add_u64 v[4:5], v[4:5], 2, v[2:3]
	global_load_b128 v[4:7], v[4:5], off
	s_wait_loadcnt 0x0
	v_fma_mixlo_f16 v1, s4, v4, 0
	v_mov_b32_e32 v4, v7
	s_delay_alu instid0(VALU_DEP_2) | instskip(NEXT) | instid1(VALU_DEP_2)
	v_and_b32_e32 v1, 0xffff, v1
	v_pk_mul_f32 v[4:5], s[4:5], v[4:5] op_sel_hi:[0,1]
	s_delay_alu instid0(VALU_DEP_1) | instskip(SKIP_1) | instid1(VALU_DEP_2)
	v_cvt_pk_f16_f32 v4, v4, v5
	v_fma_mixlo_f16 v5, s4, v6, 0
	v_and_b32_e32 v6, 0xffff0000, v4
	s_delay_alu instid0(VALU_DEP_2) | instskip(NEXT) | instid1(VALU_DEP_2)
	v_and_b32_e32 v5, 0xffff, v5
	v_dual_lshlrev_b32 v4, 16, v4 :: v_dual_bitop2_b32 v1, v6, v1 bitop3:0x54
	v_mad_u32_u24 v6, 0xc0, v152, v156
	s_delay_alu instid0(VALU_DEP_2) | instskip(NEXT) | instid1(VALU_DEP_3)
	v_or3_b32 v5, v4, v5, 0
	v_or3_b32 v4, 0, 0, v1
	ds_store_b64 v6, v[4:5]
.LBB52_10:
	s_or_b32 exec_lo, exec_lo, s9
	v_or_b32_e32 v151, 3, v155
	s_cvt_u32_f32 s8, s8
	s_sub_co_i32 s9, 0, s13
	s_and_saveexec_b32 s10, s2
	s_cbranch_execz .LBB52_12
; %bb.11:
	v_dual_mov_b32 v5, 0 :: v_dual_add_nc_u32 v4, s47, v151
	s_delay_alu instid0(VALU_DEP_1) | instskip(NEXT) | instid1(VALU_DEP_1)
	v_mul_u64_e32 v[6:7], s[44:45], v[4:5]
	v_add_nc_u32_e32 v1, v4, v7
	s_delay_alu instid0(VALU_DEP_1) | instskip(NEXT) | instid1(VALU_DEP_1)
	v_lshrrev_b32_e32 v1, s37, v1
	v_mul_lo_u32 v1, v1, s38
	s_delay_alu instid0(VALU_DEP_1) | instskip(NEXT) | instid1(VALU_DEP_1)
	v_sub_nc_u32_e32 v4, v4, v1
	v_mul_u64_e32 v[4:5], s[6:7], v[4:5]
	s_delay_alu instid0(VALU_DEP_1) | instskip(SKIP_4) | instid1(VALU_DEP_2)
	v_lshl_add_u64 v[4:5], v[4:5], 2, v[2:3]
	global_load_b128 v[4:7], v[4:5], off
	s_wait_loadcnt 0x0
	v_fma_mixlo_f16 v1, s4, v4, 0
	v_mov_b32_e32 v4, v7
	v_and_b32_e32 v1, 0xffff, v1
	s_delay_alu instid0(VALU_DEP_2) | instskip(NEXT) | instid1(VALU_DEP_1)
	v_pk_mul_f32 v[4:5], s[4:5], v[4:5] op_sel_hi:[0,1]
	v_cvt_pk_f16_f32 v4, v4, v5
	v_fma_mixlo_f16 v5, s4, v6, 0
	s_delay_alu instid0(VALU_DEP_2) | instskip(NEXT) | instid1(VALU_DEP_2)
	v_and_b32_e32 v6, 0xffff0000, v4
	v_and_b32_e32 v5, 0xffff, v5
	s_delay_alu instid0(VALU_DEP_2) | instskip(SKIP_1) | instid1(VALU_DEP_2)
	v_dual_lshlrev_b32 v4, 16, v4 :: v_dual_bitop2_b32 v1, v6, v1 bitop3:0x54
	v_mad_u32_u24 v6, 0xc0, v151, v156
	v_or3_b32 v5, v4, v5, 0
	s_delay_alu instid0(VALU_DEP_3)
	v_or3_b32 v4, 0, 0, v1
	ds_store_b64 v6, v[4:5]
.LBB52_12:
	s_or_b32 exec_lo, exec_lo, s10
	v_or_b32_e32 v150, 4, v155
	s_mul_i32 s9, s9, s8
	s_and_saveexec_b32 s10, s2
	s_cbranch_execz .LBB52_14
; %bb.13:
	s_delay_alu instid0(VALU_DEP_1) | instskip(NEXT) | instid1(VALU_DEP_1)
	v_dual_mov_b32 v5, 0 :: v_dual_add_nc_u32 v4, s47, v150
	v_mul_u64_e32 v[6:7], s[44:45], v[4:5]
	s_delay_alu instid0(VALU_DEP_1) | instskip(NEXT) | instid1(VALU_DEP_1)
	v_add_nc_u32_e32 v1, v4, v7
	v_lshrrev_b32_e32 v1, s37, v1
	s_delay_alu instid0(VALU_DEP_1) | instskip(NEXT) | instid1(VALU_DEP_1)
	v_mul_lo_u32 v1, v1, s38
	v_sub_nc_u32_e32 v4, v4, v1
	s_delay_alu instid0(VALU_DEP_1) | instskip(NEXT) | instid1(VALU_DEP_1)
	v_mul_u64_e32 v[4:5], s[6:7], v[4:5]
	v_lshl_add_u64 v[4:5], v[4:5], 2, v[2:3]
	global_load_b128 v[4:7], v[4:5], off
	s_wait_loadcnt 0x0
	v_fma_mixlo_f16 v1, s4, v4, 0
	v_mov_b32_e32 v4, v7
	s_delay_alu instid0(VALU_DEP_2) | instskip(NEXT) | instid1(VALU_DEP_2)
	v_and_b32_e32 v1, 0xffff, v1
	v_pk_mul_f32 v[4:5], s[4:5], v[4:5] op_sel_hi:[0,1]
	s_delay_alu instid0(VALU_DEP_1) | instskip(SKIP_1) | instid1(VALU_DEP_2)
	v_cvt_pk_f16_f32 v4, v4, v5
	v_fma_mixlo_f16 v5, s4, v6, 0
	v_and_b32_e32 v6, 0xffff0000, v4
	s_delay_alu instid0(VALU_DEP_2) | instskip(NEXT) | instid1(VALU_DEP_2)
	v_and_b32_e32 v5, 0xffff, v5
	v_dual_lshlrev_b32 v4, 16, v4 :: v_dual_bitop2_b32 v1, v6, v1 bitop3:0x54
	v_mad_u32_u24 v6, 0xc0, v150, v156
	s_delay_alu instid0(VALU_DEP_2) | instskip(NEXT) | instid1(VALU_DEP_3)
	v_or3_b32 v5, v4, v5, 0
	v_or3_b32 v4, 0, 0, v1
	ds_store_b64 v6, v[4:5]
.LBB52_14:
	s_or_b32 exec_lo, exec_lo, s10
	v_or_b32_e32 v119, 5, v155
	s_mul_hi_u32 s9, s8, s9
	s_and_saveexec_b32 s10, s2
	s_cbranch_execz .LBB52_16
; %bb.15:
	s_delay_alu instid0(VALU_DEP_1) | instskip(NEXT) | instid1(VALU_DEP_1)
	v_dual_mov_b32 v5, 0 :: v_dual_add_nc_u32 v4, s47, v119
	v_mul_u64_e32 v[6:7], s[44:45], v[4:5]
	s_delay_alu instid0(VALU_DEP_1) | instskip(NEXT) | instid1(VALU_DEP_1)
	v_add_nc_u32_e32 v1, v4, v7
	v_lshrrev_b32_e32 v1, s37, v1
	s_delay_alu instid0(VALU_DEP_1) | instskip(NEXT) | instid1(VALU_DEP_1)
	v_mul_lo_u32 v1, v1, s38
	v_sub_nc_u32_e32 v4, v4, v1
	s_delay_alu instid0(VALU_DEP_1) | instskip(NEXT) | instid1(VALU_DEP_1)
	v_mul_u64_e32 v[4:5], s[6:7], v[4:5]
	v_lshl_add_u64 v[4:5], v[4:5], 2, v[2:3]
	global_load_b128 v[4:7], v[4:5], off
	s_wait_loadcnt 0x0
	v_fma_mixlo_f16 v1, s4, v4, 0
	v_mov_b32_e32 v4, v7
	s_delay_alu instid0(VALU_DEP_2) | instskip(NEXT) | instid1(VALU_DEP_2)
	v_and_b32_e32 v1, 0xffff, v1
	v_pk_mul_f32 v[4:5], s[4:5], v[4:5] op_sel_hi:[0,1]
	s_delay_alu instid0(VALU_DEP_1) | instskip(SKIP_1) | instid1(VALU_DEP_2)
	v_cvt_pk_f16_f32 v4, v4, v5
	v_fma_mixlo_f16 v5, s4, v6, 0
	v_and_b32_e32 v6, 0xffff0000, v4
	s_delay_alu instid0(VALU_DEP_2) | instskip(NEXT) | instid1(VALU_DEP_2)
	v_and_b32_e32 v5, 0xffff, v5
	v_dual_lshlrev_b32 v4, 16, v4 :: v_dual_bitop2_b32 v1, v6, v1 bitop3:0x54
	v_mad_u32_u24 v6, 0xc0, v119, v156
	s_delay_alu instid0(VALU_DEP_2) | instskip(NEXT) | instid1(VALU_DEP_3)
	v_or3_b32 v5, v4, v5, 0
	v_or3_b32 v4, 0, 0, v1
	ds_store_b64 v6, v[4:5]
.LBB52_16:
	s_or_b32 exec_lo, exec_lo, s10
	v_or_b32_e32 v117, 6, v155
	s_abs_i32 s10, s33
	s_add_co_i32 s8, s8, s9
	s_and_saveexec_b32 s9, s2
	s_cbranch_execz .LBB52_18
; %bb.17:
	v_dual_mov_b32 v5, 0 :: v_dual_add_nc_u32 v4, s47, v117
	s_delay_alu instid0(VALU_DEP_1) | instskip(NEXT) | instid1(VALU_DEP_1)
	v_mul_u64_e32 v[6:7], s[44:45], v[4:5]
	v_add_nc_u32_e32 v1, v4, v7
	s_delay_alu instid0(VALU_DEP_1) | instskip(NEXT) | instid1(VALU_DEP_1)
	v_lshrrev_b32_e32 v1, s37, v1
	v_mul_lo_u32 v1, v1, s38
	s_delay_alu instid0(VALU_DEP_1) | instskip(NEXT) | instid1(VALU_DEP_1)
	v_sub_nc_u32_e32 v4, v4, v1
	v_mul_u64_e32 v[4:5], s[6:7], v[4:5]
	s_delay_alu instid0(VALU_DEP_1) | instskip(SKIP_4) | instid1(VALU_DEP_2)
	v_lshl_add_u64 v[4:5], v[4:5], 2, v[2:3]
	global_load_b128 v[4:7], v[4:5], off
	s_wait_loadcnt 0x0
	v_fma_mixlo_f16 v1, s4, v4, 0
	v_mov_b32_e32 v4, v7
	v_and_b32_e32 v1, 0xffff, v1
	s_delay_alu instid0(VALU_DEP_2) | instskip(NEXT) | instid1(VALU_DEP_1)
	v_pk_mul_f32 v[4:5], s[4:5], v[4:5] op_sel_hi:[0,1]
	v_cvt_pk_f16_f32 v4, v4, v5
	v_fma_mixlo_f16 v5, s4, v6, 0
	s_delay_alu instid0(VALU_DEP_2) | instskip(NEXT) | instid1(VALU_DEP_2)
	v_and_b32_e32 v6, 0xffff0000, v4
	v_and_b32_e32 v5, 0xffff, v5
	s_delay_alu instid0(VALU_DEP_2) | instskip(SKIP_1) | instid1(VALU_DEP_2)
	v_dual_lshlrev_b32 v4, 16, v4 :: v_dual_bitop2_b32 v1, v6, v1 bitop3:0x54
	v_mad_u32_u24 v6, 0xc0, v117, v156
	v_or3_b32 v5, v4, v5, 0
	s_delay_alu instid0(VALU_DEP_3)
	v_or3_b32 v4, 0, 0, v1
	ds_store_b64 v6, v[4:5]
.LBB52_18:
	s_or_b32 exec_lo, exec_lo, s9
	v_or_b32_e32 v113, 7, v155
	s_mov_b32 s9, s11
	s_and_saveexec_b32 s15, s2
	s_cbranch_execz .LBB52_20
; %bb.19:
	s_delay_alu instid0(VALU_DEP_1) | instskip(NEXT) | instid1(VALU_DEP_1)
	v_dual_mov_b32 v5, 0 :: v_dual_add_nc_u32 v4, s47, v113
	v_mul_u64_e32 v[6:7], s[44:45], v[4:5]
	s_delay_alu instid0(VALU_DEP_1) | instskip(NEXT) | instid1(VALU_DEP_1)
	v_add_nc_u32_e32 v1, v4, v7
	v_lshrrev_b32_e32 v1, s37, v1
	s_delay_alu instid0(VALU_DEP_1) | instskip(NEXT) | instid1(VALU_DEP_1)
	v_mul_lo_u32 v1, v1, s38
	v_sub_nc_u32_e32 v4, v4, v1
	s_delay_alu instid0(VALU_DEP_1) | instskip(NEXT) | instid1(VALU_DEP_1)
	v_mul_u64_e32 v[4:5], s[6:7], v[4:5]
	v_lshl_add_u64 v[2:3], v[4:5], 2, v[2:3]
	global_load_b128 v[2:5], v[2:3], off
	s_wait_loadcnt 0x0
	v_fma_mixlo_f16 v1, s4, v2, 0
	v_mov_b32_e32 v2, v5
	s_delay_alu instid0(VALU_DEP_2) | instskip(NEXT) | instid1(VALU_DEP_2)
	v_and_b32_e32 v1, 0xffff, v1
	v_pk_mul_f32 v[2:3], s[4:5], v[2:3] op_sel_hi:[0,1]
	s_delay_alu instid0(VALU_DEP_1) | instskip(SKIP_1) | instid1(VALU_DEP_2)
	v_cvt_pk_f16_f32 v2, v2, v3
	v_fma_mixlo_f16 v3, s4, v4, 0
	v_and_b32_e32 v4, 0xffff0000, v2
	s_delay_alu instid0(VALU_DEP_2) | instskip(NEXT) | instid1(VALU_DEP_2)
	v_and_b32_e32 v3, 0xffff, v3
	v_dual_lshlrev_b32 v2, 16, v2 :: v_dual_bitop2_b32 v1, v4, v1 bitop3:0x54
	v_mad_u32_u24 v4, 0xc0, v113, v156
	s_delay_alu instid0(VALU_DEP_2) | instskip(NEXT) | instid1(VALU_DEP_3)
	v_or3_b32 v3, v2, v3, 0
	v_or3_b32 v2, 0, 0, v1
	ds_store_b64 v4, v[2:3]
.LBB52_20:
	s_or_b32 exec_lo, exec_lo, s15
	s_ashr_i32 s15, s33, 31
	s_ashr_i32 s14, s14, 31
	s_mul_u64 s[8:9], s[10:11], s[8:9]
	s_cmp_eq_u64 s[26:27], 0
	s_wait_dscnt 0x0
	s_barrier_signal -1
	s_barrier_wait -1
	s_cbranch_scc1 .LBB52_22
; %bb.21:
	s_load_b32 s4, s[0:1], 0xd0
	s_wait_kmcnt 0x0
	s_mul_i32 s4, s4, s34
	s_delay_alu instid0(SALU_CYCLE_1)
	s_add_co_i32 s4, s4, s5
	s_load_b32 s46, s[26:27], s4 offset:0x0 scale_offset
.LBB52_22:
	s_load_b64 s[16:17], s[0:1], 0x8c
	s_wait_xcnt 0x0
	s_clause 0x1
	s_load_b128 s[4:7], s[0:1], 0x98
	s_load_b64 s[26:27], s[0:1], 0xa8
	s_mul_i32 s8, s9, s13
	s_ashr_i32 s36, s3, 1
	s_sub_co_i32 s8, s10, s8
	s_ashr_i32 s35, s34, 31
	s_xor_b32 s3, s15, s14
	s_add_co_i32 s14, s9, 1
	s_sub_co_i32 s15, s8, s13
	v_dual_lshlrev_b32 v121, 2, v153 :: v_dual_lshrrev_b32 v181, 1, v153
	v_dual_lshrrev_b32 v180, 2, v153 :: v_dual_lshrrev_b32 v177, 3, v153
	v_mul_u32_u24_e32 v179, 0x70, v153
	v_mul_u32_u24_e32 v178, 0x600, v169
	s_delay_alu instid0(VALU_DEP_4)
	v_and_b32_e32 v120, 4, v121
	v_and_b32_e32 v118, 12, v121
	v_lshl_add_u32 v158, v169, 9, 0x3000
	v_and_b32_e32 v116, 28, v121
	s_wait_kmcnt 0x0
	s_ashr_i32 s48, s16, 2
	s_ashr_i32 s22, s6, 2
	s_cmp_ge_u32 s8, s13
	s_mul_u64 s[4:5], s[4:5], s[34:35]
	s_cselect_b32 s6, s14, s9
	s_cselect_b32 s8, s15, s8
	s_add_co_i32 s9, s6, 1
	s_cmp_ge_u32 s8, s13
	s_mul_u64 s[10:11], s[26:27], s[34:35]
	s_cselect_b32 s6, s9, s6
	s_bfe_u32 s8, ttmp6, 0x40010
	s_xor_b32 s6, s6, s3
	s_and_b32 s13, ttmp7, 0xffff
	s_add_co_i32 s8, s8, 1
	s_sub_co_i32 s3, s6, s3
	s_bfe_u32 s9, ttmp6, 0x40004
	s_mul_i32 s14, s13, s8
	s_mul_i32 s6, s3, s17
	;; [unrolled: 1-line block ×3, first 2 shown]
	s_add_co_i32 s3, s9, s14
	s_ashr_i32 s7, s6, 31
	s_ashr_i32 s9, s8, 31
	s_cmp_eq_u32 s12, 0
	s_add_nc_u64 s[4:5], s[18:19], s[4:5]
	s_cselect_b32 s35, s13, s3
	v_mbcnt_lo_u32_b32 v157, -1, 0
	s_add_nc_u64 s[50:51], s[4:5], s[6:7]
	s_sub_co_i32 s56, s46, 32
	s_lshl_b32 s42, s35, 5
	s_add_nc_u64 s[4:5], s[20:21], s[10:11]
	s_cmp_ge_i32 s42, s56
	s_add_nc_u64 s[26:27], s[4:5], s[8:9]
	s_cbranch_scc1 .LBB52_58
; %bb.23:
	v_dual_mov_b32 v123, 0 :: v_dual_bitop2_b32 v122, 1, v114 bitop3:0x54
	v_dual_lshlrev_b32 v18, 2, v118 :: v_dual_lshlrev_b32 v19, 2, v116
	v_lshl_add_u32 v4, v169, 4, v181
	s_delay_alu instid0(VALU_DEP_3) | instskip(NEXT) | instid1(VALU_DEP_4)
	v_dual_mov_b32 v115, v123 :: v_dual_mov_b32 v16, 0xfeffffff
	v_mul_u64_e32 v[2:3], s[44:45], v[122:123]
	v_lshl_add_u32 v6, v169, 2, v177
	s_delay_alu instid0(VALU_DEP_4)
	v_mul_u32_u24_e32 v21, 0x70, v4
	v_mul_lo_u32 v124, s48, v4
	s_ashr_i32 s49, s48, 31
	v_dual_mov_b32 v17, 0xfeffffff :: v_dual_add_nc_u32 v182, v158, v0
	v_mul_lo_u32 v130, s22, v6
	v_mul_u32_u24_e32 v23, 0xc0, v6
	v_mbcnt_lo_u32_b32 v183, -1, 0
	v_cmp_gt_u32_e64 s3, 32, v4
	v_cmp_gt_u32_e64 s6, 16, v6
	v_dual_mov_b32 v160, v123 :: v_dual_mov_b32 v159, v123
	v_dual_mov_b32 v162, v123 :: v_dual_mov_b32 v161, v123
	;; [unrolled: 1-line block ×7, first 2 shown]
	v_mov_b32_e32 v175, v123
	v_add3_u32 v185, v23, v19, 0x4000
	v_mov_b32_e32 v144, 0xfeffffff
	v_lshlrev_b32_e32 v132, 2, v118
	s_cmp_lg_u64 s[40:41], 0
	s_add_nc_u64 s[52:53], s[0:1], 0xd0
	v_add_nc_u32_e32 v1, v122, v3
	s_cselect_b32 s57, -1, 0
	s_ashr_i32 s23, s22, 31
	v_dual_add_nc_u32 v5, v180, v155 :: v_dual_ashrrev_i32 v125, 31, v124
	s_delay_alu instid0(VALU_DEP_2) | instskip(SKIP_1) | instid1(VALU_DEP_3)
	v_dual_lshrrev_b32 v1, s37, v1 :: v_dual_ashrrev_i32 v131, 31, v130
	v_lshlrev_b32_e32 v15, 2, v120
	v_mul_lo_u32 v126, s48, v5
	v_mul_lo_u32 v128, s22, v5
	s_delay_alu instid0(VALU_DEP_4) | instskip(SKIP_4) | instid1(VALU_DEP_4)
	v_mul_lo_u32 v1, v1, s38
	v_mul_u32_u24_e32 v22, 0xc0, v5
	v_cmp_gt_u32_e64 s4, 32, v5
	v_cmp_gt_u32_e64 s5, 16, v5
	v_dual_mov_b32 v145, 0xfeffffff :: v_dual_mov_b32 v6, v123
	v_dual_mov_b32 v4, v123 :: v_dual_bitop2_b32 v22, v22, v18 bitop3:0x54
	v_mov_b32_e32 v19, 0xfeffffff
	v_dual_ashrrev_i32 v127, 31, v126 :: v_dual_ashrrev_i32 v129, 31, v128
	v_dual_sub_nc_u32 v10, v122, v1 :: v_dual_bitop2_b32 v122, 2, v114 bitop3:0x54
	s_delay_alu instid0(VALU_DEP_4) | instskip(NEXT) | instid1(VALU_DEP_2)
	v_add_nc_u32_e32 v186, 0x4080, v22
	v_mul_u64_e32 v[2:3], s[44:45], v[122:123]
	s_delay_alu instid0(VALU_DEP_1) | instskip(NEXT) | instid1(VALU_DEP_4)
	v_add_nc_u32_e32 v1, v122, v3
	v_mul_lo_u32 v187, v10, s36
	s_delay_alu instid0(VALU_DEP_2) | instskip(NEXT) | instid1(VALU_DEP_1)
	v_lshrrev_b32_e32 v1, s37, v1
	v_mul_lo_u32 v1, v1, s38
	s_delay_alu instid0(VALU_DEP_1) | instskip(NEXT) | instid1(VALU_DEP_1)
	v_dual_sub_nc_u32 v11, v122, v1 :: v_dual_bitop2_b32 v122, 3, v114 bitop3:0x54
	v_mul_u64_e32 v[2:3], s[44:45], v[122:123]
	s_delay_alu instid0(VALU_DEP_1) | instskip(NEXT) | instid1(VALU_DEP_3)
	v_add_nc_u32_e32 v1, v122, v3
	v_mul_lo_u32 v189, v11, s36
	s_delay_alu instid0(VALU_DEP_2) | instskip(NEXT) | instid1(VALU_DEP_1)
	v_lshrrev_b32_e32 v1, s37, v1
	v_mul_lo_u32 v1, v1, s38
	s_delay_alu instid0(VALU_DEP_1) | instskip(NEXT) | instid1(VALU_DEP_1)
	v_dual_sub_nc_u32 v12, v122, v1 :: v_dual_bitop2_b32 v122, 4, v114 bitop3:0x54
	v_mul_u64_e32 v[2:3], s[44:45], v[122:123]
	s_delay_alu instid0(VALU_DEP_1) | instskip(NEXT) | instid1(VALU_DEP_3)
	;; [unrolled: 9-line block ×3, first 2 shown]
	v_add_nc_u32_e32 v1, v122, v3
	v_mul_lo_u32 v191, v13, s36
	s_delay_alu instid0(VALU_DEP_2) | instskip(NEXT) | instid1(VALU_DEP_1)
	v_lshrrev_b32_e32 v1, s37, v1
	v_mul_lo_u32 v1, v1, s38
	s_delay_alu instid0(VALU_DEP_1) | instskip(NEXT) | instid1(VALU_DEP_1)
	v_dual_sub_nc_u32 v14, v122, v1 :: v_dual_bitop2_b32 v122, 6, v114 bitop3:0x54
	v_mul_u64_e32 v[2:3], s[44:45], v[122:123]
	s_delay_alu instid0(VALU_DEP_1)
	v_add_nc_u32_e32 v1, v122, v3
	v_mul_u64_e32 v[2:3], s[44:45], v[114:115]
	v_mov_b32_e32 v2, v123
	v_add3_u32 v115, v21, v15, 0x4040
	v_mul_lo_u32 v192, v14, s36
	v_lshrrev_b32_e32 v1, s37, v1
	v_mov_b32_e32 v21, 0xfeffffff
	s_delay_alu instid0(VALU_DEP_2) | instskip(NEXT) | instid1(VALU_DEP_1)
	v_mul_lo_u32 v1, v1, s38
	v_dual_sub_nc_u32 v20, v122, v1 :: v_dual_bitop2_b32 v122, 7, v114 bitop3:0x54
	v_mov_b32_e32 v1, v123
	s_delay_alu instid0(VALU_DEP_2) | instskip(NEXT) | instid1(VALU_DEP_3)
	v_mul_lo_u32 v193, v20, s36
	v_mul_u64_e32 v[8:9], s[44:45], v[122:123]
	v_mov_b32_e32 v173, v123
	v_mul_u32_u24_e32 v8, 0x70, v5
	v_dual_mov_b32 v5, v123 :: v_dual_mov_b32 v20, 0xfeffffff
	v_add_nc_u32_e32 v7, v114, v3
	s_delay_alu instid0(VALU_DEP_3) | instskip(SKIP_1) | instid1(VALU_DEP_3)
	v_add3_u32 v184, v8, v18, 0x4000
	v_dual_mov_b32 v3, v123 :: v_dual_mov_b32 v18, 0xfeffffff
	v_dual_mov_b32 v7, v123 :: v_dual_lshrrev_b32 v24, s37, v7
	s_delay_alu instid0(VALU_DEP_1) | instskip(SKIP_1) | instid1(VALU_DEP_1)
	v_mul_lo_u32 v24, v24, s38
	v_dual_mov_b32 v174, v123 :: v_dual_add_nc_u32 v9, v122, v9
	v_lshrrev_b32_e32 v9, s37, v9
	s_delay_alu instid0(VALU_DEP_1) | instskip(NEXT) | instid1(VALU_DEP_4)
	v_mul_lo_u32 v8, v9, s38
	v_sub_nc_u32_e32 v9, v114, v24
	s_delay_alu instid0(VALU_DEP_1) | instskip(NEXT) | instid1(VALU_DEP_3)
	v_mul_lo_u32 v188, v9, s36
	v_sub_nc_u32_e32 v8, v122, v8
	v_lshlrev_b32_e32 v122, 2, v120
	s_delay_alu instid0(VALU_DEP_2)
	v_mul_lo_u32 v194, v8, s36
.LBB52_24:                              ; =>This Inner Loop Header: Depth=1
	s_ashr_i32 s43, s42, 31
	s_delay_alu instid0(SALU_CYCLE_1) | instskip(NEXT) | instid1(SALU_CYCLE_1)
	s_mul_u64 s[8:9], s[42:43], s[48:49]
	s_lshl_b64 s[8:9], s[8:9], 2
	s_delay_alu instid0(SALU_CYCLE_1) | instskip(NEXT) | instid1(SALU_CYCLE_1)
	s_add_nc_u64 s[8:9], s[50:51], s[8:9]
	v_lshl_add_u64 v[8:9], v[124:125], 2, s[8:9]
	s_and_saveexec_b32 s7, s3
	s_cbranch_execz .LBB52_26
; %bb.25:                               ;   in Loop: Header=BB52_24 Depth=1
	s_delay_alu instid0(VALU_DEP_1)
	v_add_nc_u64_e32 v[10:11], v[8:9], v[122:123]
	global_load_b128 v[10:13], v[10:11], off offset:64
	s_wait_loadcnt 0x0
	ds_store_b128 v115, v[10:13]
.LBB52_26:                              ;   in Loop: Header=BB52_24 Depth=1
	s_or_b32 exec_lo, exec_lo, s7
	v_lshl_add_u64 v[10:11], v[126:127], 2, s[8:9]
	s_and_saveexec_b32 s7, s4
	s_cbranch_execz .LBB52_28
; %bb.27:                               ;   in Loop: Header=BB52_24 Depth=1
	v_mov_b32_e32 v133, v123
	s_delay_alu instid0(VALU_DEP_1)
	v_add_nc_u64_e32 v[12:13], v[10:11], v[132:133]
	global_load_b128 v[12:15], v[12:13], off
	s_wait_loadcnt 0x0
	ds_store_b128 v184, v[12:15]
.LBB52_28:                              ;   in Loop: Header=BB52_24 Depth=1
	s_or_b32 exec_lo, exec_lo, s7
	s_wait_dscnt 0x0
	s_barrier_signal -1
	s_barrier_wait -1
	ds_load_b128 v[36:39], v179 offset:16384
	ds_load_b128 v[30:33], v178
	ds_load_b128 v[40:43], v178 offset:192
	ds_load_b128 v[44:47], v178 offset:384
	;; [unrolled: 1-line block ×6, first 2 shown]
	v_dual_mov_b32 v12, 0 :: v_dual_mov_b32 v24, 0
	ds_load_b128 v[64:67], v178 offset:1344
	v_dual_mov_b32 v29, 0 :: v_dual_mov_b32 v27, 0
	v_mov_b32_e32 v35, 0
	s_wait_dscnt 0x7
	;;#ASMSTART
	v_dot2_f32_f16 v12, v36, v30, v12
	;;#ASMEND
	;;#ASMSTART
	v_dot2_f32_f16 v12, v37, v31, v12
	;;#ASMEND
	;;#ASMSTART
	v_dot2_f32_f16 v12, v38, v32, v12
	;;#ASMEND
	;;#ASMSTART
	v_dot2_f32_f16 v12, v39, v33, v12
	;;#ASMEND
	s_wait_dscnt 0x6
	;;#ASMSTART
	v_dot2_f32_f16 v24, v36, v40, v24
	;;#ASMEND
	;;#ASMSTART
	v_dot2_f32_f16 v24, v37, v41, v24
	;;#ASMEND
	;;#ASMSTART
	v_dot2_f32_f16 v24, v38, v42, v24
	;;#ASMEND
	;;#ASMSTART
	v_dot2_f32_f16 v24, v39, v43, v24
	;;#ASMEND
	;; [unrolled: 13-line block ×4, first 2 shown]
	v_mov_b32_e32 v30, 0
	s_wait_dscnt 0x3
	;;#ASMSTART
	v_dot2_f32_f16 v35, v36, v52, v35
	;;#ASMEND
	;;#ASMSTART
	v_dot2_f32_f16 v35, v37, v53, v35
	;;#ASMEND
	;;#ASMSTART
	v_dot2_f32_f16 v35, v38, v54, v35
	;;#ASMEND
	;;#ASMSTART
	v_dot2_f32_f16 v35, v39, v55, v35
	;;#ASMEND
	s_wait_dscnt 0x2
	;;#ASMSTART
	v_dot2_f32_f16 v30, v36, v56, v30
	;;#ASMEND
	;;#ASMSTART
	v_dot2_f32_f16 v30, v37, v57, v30
	;;#ASMEND
	v_dual_mov_b32 v40, 0 :: v_dual_mov_b32 v42, 0
	;;#ASMSTART
	v_dot2_f32_f16 v30, v38, v58, v30
	;;#ASMEND
	;;#ASMSTART
	v_dot2_f32_f16 v30, v39, v59, v30
	;;#ASMEND
	s_wait_dscnt 0x1
	;;#ASMSTART
	v_dot2_f32_f16 v40, v36, v60, v40
	;;#ASMEND
	;;#ASMSTART
	v_dot2_f32_f16 v40, v37, v61, v40
	;;#ASMEND
	;;#ASMSTART
	v_dot2_f32_f16 v40, v38, v62, v40
	;;#ASMEND
	;;#ASMSTART
	v_dot2_f32_f16 v40, v39, v63, v40
	;;#ASMEND
	s_wait_dscnt 0x0
	;;#ASMSTART
	v_dot2_f32_f16 v42, v36, v64, v42
	;;#ASMEND
	;;#ASMSTART
	v_dot2_f32_f16 v42, v37, v65, v42
	;;#ASMEND
	;; [unrolled: 3-line block ×4, first 2 shown]
	ds_load_b128 v[36:39], v179 offset:16400
	ds_load_b128 v[44:47], v178 offset:16
	;; [unrolled: 1-line block ×9, first 2 shown]
	s_wait_dscnt 0x7
	;;#ASMSTART
	v_dot2_f32_f16 v12, v36, v44, v12
	;;#ASMEND
	;;#ASMSTART
	v_dot2_f32_f16 v12, v37, v45, v12
	;;#ASMEND
	;;#ASMSTART
	v_dot2_f32_f16 v12, v38, v46, v12
	;;#ASMEND
	;;#ASMSTART
	v_dot2_f32_f16 v12, v39, v47, v12
	;;#ASMEND
	s_wait_dscnt 0x6
	;;#ASMSTART
	v_dot2_f32_f16 v24, v36, v48, v24
	;;#ASMEND
	;;#ASMSTART
	v_dot2_f32_f16 v24, v37, v49, v24
	;;#ASMEND
	;;#ASMSTART
	v_dot2_f32_f16 v24, v38, v50, v24
	;;#ASMEND
	;;#ASMSTART
	v_dot2_f32_f16 v24, v39, v51, v24
	;;#ASMEND
	;; [unrolled: 13-line block ×8, first 2 shown]
	ds_load_b128 v[36:39], v179 offset:16416
	ds_load_b128 v[44:47], v178 offset:32
	;; [unrolled: 1-line block ×9, first 2 shown]
	s_wait_dscnt 0x7
	;;#ASMSTART
	v_dot2_f32_f16 v12, v36, v44, v12
	;;#ASMEND
	;;#ASMSTART
	v_dot2_f32_f16 v12, v37, v45, v12
	;;#ASMEND
	;;#ASMSTART
	v_dot2_f32_f16 v12, v38, v46, v12
	;;#ASMEND
	;;#ASMSTART
	v_dot2_f32_f16 v12, v39, v47, v12
	;;#ASMEND
	s_wait_dscnt 0x6
	;;#ASMSTART
	v_dot2_f32_f16 v24, v36, v48, v24
	;;#ASMEND
	;;#ASMSTART
	v_dot2_f32_f16 v24, v37, v49, v24
	;;#ASMEND
	;;#ASMSTART
	v_dot2_f32_f16 v24, v38, v50, v24
	;;#ASMEND
	;;#ASMSTART
	v_dot2_f32_f16 v24, v39, v51, v24
	;;#ASMEND
	;; [unrolled: 13-line block ×8, first 2 shown]
	ds_load_b128 v[36:39], v179 offset:16432
	ds_load_b128 v[44:47], v178 offset:48
	;; [unrolled: 1-line block ×9, first 2 shown]
	s_wait_dscnt 0x7
	;;#ASMSTART
	v_dot2_f32_f16 v12, v36, v44, v12
	;;#ASMEND
	;;#ASMSTART
	v_dot2_f32_f16 v12, v37, v45, v12
	;;#ASMEND
	;;#ASMSTART
	v_dot2_f32_f16 v12, v38, v46, v12
	;;#ASMEND
	;;#ASMSTART
	v_dot2_f32_f16 v12, v39, v47, v12
	;;#ASMEND
	s_wait_dscnt 0x6
	;;#ASMSTART
	v_dot2_f32_f16 v24, v36, v48, v24
	;;#ASMEND
	;;#ASMSTART
	v_dot2_f32_f16 v24, v37, v49, v24
	;;#ASMEND
	;;#ASMSTART
	v_dot2_f32_f16 v24, v38, v50, v24
	;;#ASMEND
	;;#ASMSTART
	v_dot2_f32_f16 v24, v39, v51, v24
	;;#ASMEND
	;; [unrolled: 13-line block ×8, first 2 shown]
	ds_load_b128 v[36:39], v179 offset:16448
	ds_load_b128 v[44:47], v178 offset:64
	;; [unrolled: 1-line block ×9, first 2 shown]
	s_wait_dscnt 0x7
	;;#ASMSTART
	v_dot2_f32_f16 v12, v36, v44, v12
	;;#ASMEND
	;;#ASMSTART
	v_dot2_f32_f16 v12, v37, v45, v12
	;;#ASMEND
	;;#ASMSTART
	v_dot2_f32_f16 v12, v38, v46, v12
	;;#ASMEND
	;;#ASMSTART
	v_dot2_f32_f16 v12, v39, v47, v12
	;;#ASMEND
	s_wait_dscnt 0x6
	;;#ASMSTART
	v_dot2_f32_f16 v24, v36, v48, v24
	;;#ASMEND
	;;#ASMSTART
	v_dot2_f32_f16 v24, v37, v49, v24
	;;#ASMEND
	;;#ASMSTART
	v_dot2_f32_f16 v24, v38, v50, v24
	;;#ASMEND
	;;#ASMSTART
	v_dot2_f32_f16 v24, v39, v51, v24
	;;#ASMEND
	;; [unrolled: 13-line block ×8, first 2 shown]
	ds_load_b128 v[36:39], v179 offset:16464
	ds_load_b128 v[44:47], v178 offset:80
	;; [unrolled: 1-line block ×9, first 2 shown]
	s_wait_dscnt 0x7
	;;#ASMSTART
	v_dot2_f32_f16 v12, v36, v44, v12
	;;#ASMEND
	;;#ASMSTART
	v_dot2_f32_f16 v12, v37, v45, v12
	;;#ASMEND
	;;#ASMSTART
	v_dot2_f32_f16 v12, v38, v46, v12
	;;#ASMEND
	;;#ASMSTART
	v_dot2_f32_f16 v12, v39, v47, v12
	;;#ASMEND
	s_wait_dscnt 0x6
	;;#ASMSTART
	v_dot2_f32_f16 v24, v36, v48, v24
	;;#ASMEND
	;;#ASMSTART
	v_dot2_f32_f16 v24, v37, v49, v24
	;;#ASMEND
	;;#ASMSTART
	v_dot2_f32_f16 v24, v38, v50, v24
	;;#ASMEND
	;;#ASMSTART
	v_dot2_f32_f16 v24, v39, v51, v24
	;;#ASMEND
	;; [unrolled: 13-line block ×8, first 2 shown]
	s_barrier_signal -1
	s_barrier_wait -1
	s_and_saveexec_b32 s7, s3
	s_cbranch_execz .LBB52_30
; %bb.29:                               ;   in Loop: Header=BB52_24 Depth=1
	v_add_nc_u64_e32 v[8:9], v[8:9], v[122:123]
	global_load_b128 v[36:39], v[8:9], off offset:160
	s_wait_loadcnt 0x0
	ds_store_b128 v115, v[36:39]
.LBB52_30:                              ;   in Loop: Header=BB52_24 Depth=1
	s_or_b32 exec_lo, exec_lo, s7
	s_and_saveexec_b32 s7, s4
	s_cbranch_execz .LBB52_32
; %bb.31:                               ;   in Loop: Header=BB52_24 Depth=1
	v_mov_b32_e32 v133, v123
	s_delay_alu instid0(VALU_DEP_1)
	v_add_nc_u64_e32 v[8:9], v[10:11], v[132:133]
	global_load_b128 v[8:11], v[8:9], off offset:96
	s_wait_loadcnt 0x0
	ds_store_b128 v184, v[8:11]
.LBB52_32:                              ;   in Loop: Header=BB52_24 Depth=1
	s_or_b32 exec_lo, exec_lo, s7
	s_wait_dscnt 0x0
	s_barrier_signal -1
	s_barrier_wait -1
	ds_load_b128 v[8:11], v179 offset:16384
	ds_load_b128 v[36:39], v178 offset:96
	ds_load_b128 v[44:47], v178 offset:288
	ds_load_b128 v[48:51], v178 offset:480
	ds_load_b128 v[52:55], v178 offset:672
	ds_load_b128 v[56:59], v178 offset:864
	ds_load_b128 v[60:63], v178 offset:1056
	ds_load_b128 v[64:67], v178 offset:1248
	ds_load_b128 v[68:71], v178 offset:1440
	s_and_not1_b32 vcc_lo, exec_lo, s57
	s_wait_dscnt 0x7
	;;#ASMSTART
	v_dot2_f32_f16 v12, v8, v36, v12
	;;#ASMEND
	;;#ASMSTART
	v_dot2_f32_f16 v12, v9, v37, v12
	;;#ASMEND
	;;#ASMSTART
	v_dot2_f32_f16 v12, v10, v38, v12
	;;#ASMEND
	;;#ASMSTART
	v_dot2_f32_f16 v12, v11, v39, v12
	;;#ASMEND
	s_wait_dscnt 0x6
	;;#ASMSTART
	v_dot2_f32_f16 v24, v8, v44, v24
	;;#ASMEND
	;;#ASMSTART
	v_dot2_f32_f16 v24, v9, v45, v24
	;;#ASMEND
	;;#ASMSTART
	v_dot2_f32_f16 v24, v10, v46, v24
	;;#ASMEND
	;;#ASMSTART
	v_dot2_f32_f16 v24, v11, v47, v24
	;;#ASMEND
	;; [unrolled: 13-line block ×8, first 2 shown]
	ds_load_b128 v[8:11], v179 offset:16400
	ds_load_b128 v[36:39], v178 offset:112
	ds_load_b128 v[44:47], v178 offset:304
	ds_load_b128 v[48:51], v178 offset:496
	ds_load_b128 v[52:55], v178 offset:688
	ds_load_b128 v[56:59], v178 offset:880
	ds_load_b128 v[60:63], v178 offset:1072
	ds_load_b128 v[64:67], v178 offset:1264
	ds_load_b128 v[68:71], v178 offset:1456
	s_wait_dscnt 0x7
	;;#ASMSTART
	v_dot2_f32_f16 v12, v8, v36, v12
	;;#ASMEND
	;;#ASMSTART
	v_dot2_f32_f16 v12, v9, v37, v12
	;;#ASMEND
	;;#ASMSTART
	v_dot2_f32_f16 v12, v10, v38, v12
	;;#ASMEND
	;;#ASMSTART
	v_dot2_f32_f16 v12, v11, v39, v12
	;;#ASMEND
	s_wait_dscnt 0x6
	;;#ASMSTART
	v_dot2_f32_f16 v24, v8, v44, v24
	;;#ASMEND
	;;#ASMSTART
	v_dot2_f32_f16 v24, v9, v45, v24
	;;#ASMEND
	;;#ASMSTART
	v_dot2_f32_f16 v24, v10, v46, v24
	;;#ASMEND
	;;#ASMSTART
	v_dot2_f32_f16 v24, v11, v47, v24
	;;#ASMEND
	;; [unrolled: 13-line block ×8, first 2 shown]
	ds_load_b128 v[8:11], v179 offset:16416
	ds_load_b128 v[36:39], v178 offset:128
	;; [unrolled: 1-line block ×9, first 2 shown]
	s_wait_dscnt 0x7
	;;#ASMSTART
	v_dot2_f32_f16 v12, v8, v36, v12
	;;#ASMEND
	;;#ASMSTART
	v_dot2_f32_f16 v12, v9, v37, v12
	;;#ASMEND
	;;#ASMSTART
	v_dot2_f32_f16 v12, v10, v38, v12
	;;#ASMEND
	;;#ASMSTART
	v_dot2_f32_f16 v12, v11, v39, v12
	;;#ASMEND
	s_wait_dscnt 0x6
	;;#ASMSTART
	v_dot2_f32_f16 v24, v8, v44, v24
	;;#ASMEND
	;;#ASMSTART
	v_dot2_f32_f16 v24, v9, v45, v24
	;;#ASMEND
	;;#ASMSTART
	v_dot2_f32_f16 v24, v10, v46, v24
	;;#ASMEND
	;;#ASMSTART
	v_dot2_f32_f16 v24, v11, v47, v24
	;;#ASMEND
	;; [unrolled: 13-line block ×8, first 2 shown]
	ds_load_b128 v[8:11], v179 offset:16432
	ds_load_b128 v[36:39], v178 offset:144
	;; [unrolled: 1-line block ×9, first 2 shown]
	s_wait_dscnt 0x7
	;;#ASMSTART
	v_dot2_f32_f16 v12, v8, v36, v12
	;;#ASMEND
	;;#ASMSTART
	v_dot2_f32_f16 v12, v9, v37, v12
	;;#ASMEND
	;;#ASMSTART
	v_dot2_f32_f16 v12, v10, v38, v12
	;;#ASMEND
	;;#ASMSTART
	v_dot2_f32_f16 v12, v11, v39, v12
	;;#ASMEND
	s_wait_dscnt 0x6
	;;#ASMSTART
	v_dot2_f32_f16 v24, v8, v44, v24
	;;#ASMEND
	;;#ASMSTART
	v_dot2_f32_f16 v24, v9, v45, v24
	;;#ASMEND
	;;#ASMSTART
	v_dot2_f32_f16 v24, v10, v46, v24
	;;#ASMEND
	;;#ASMSTART
	v_dot2_f32_f16 v24, v11, v47, v24
	;;#ASMEND
	;; [unrolled: 13-line block ×8, first 2 shown]
	ds_load_b128 v[8:11], v179 offset:16448
	ds_load_b128 v[36:39], v178 offset:160
	;; [unrolled: 1-line block ×9, first 2 shown]
	s_wait_dscnt 0x7
	;;#ASMSTART
	v_dot2_f32_f16 v12, v8, v36, v12
	;;#ASMEND
	;;#ASMSTART
	v_dot2_f32_f16 v12, v9, v37, v12
	;;#ASMEND
	;;#ASMSTART
	v_dot2_f32_f16 v12, v10, v38, v12
	;;#ASMEND
	;;#ASMSTART
	v_dot2_f32_f16 v12, v11, v39, v12
	;;#ASMEND
	s_wait_dscnt 0x6
	;;#ASMSTART
	v_dot2_f32_f16 v24, v8, v44, v24
	;;#ASMEND
	;;#ASMSTART
	v_dot2_f32_f16 v24, v9, v45, v24
	;;#ASMEND
	;;#ASMSTART
	v_dot2_f32_f16 v24, v10, v46, v24
	;;#ASMEND
	;;#ASMSTART
	v_dot2_f32_f16 v24, v11, v47, v24
	;;#ASMEND
	;; [unrolled: 13-line block ×8, first 2 shown]
	ds_load_b128 v[36:39], v179 offset:16464
	ds_load_b128 v[44:47], v178 offset:176
	;; [unrolled: 1-line block ×9, first 2 shown]
	s_wait_dscnt 0x7
	;;#ASMSTART
	v_dot2_f32_f16 v12, v36, v44, v12
	;;#ASMEND
	;;#ASMSTART
	v_dot2_f32_f16 v12, v37, v45, v12
	;;#ASMEND
	;;#ASMSTART
	v_dot2_f32_f16 v12, v38, v46, v12
	;;#ASMEND
	;;#ASMSTART
	v_dot2_f32_f16 v12, v39, v47, v12
	;;#ASMEND
	s_wait_dscnt 0x6
	;;#ASMSTART
	v_dot2_f32_f16 v24, v36, v48, v24
	;;#ASMEND
	;;#ASMSTART
	v_dot2_f32_f16 v24, v37, v49, v24
	;;#ASMEND
	;;#ASMSTART
	v_dot2_f32_f16 v24, v38, v50, v24
	;;#ASMEND
	;;#ASMSTART
	v_dot2_f32_f16 v24, v39, v51, v24
	;;#ASMEND
	;; [unrolled: 13-line block ×6, first 2 shown]
	s_wait_dscnt 0x1
	;;#ASMSTART
	v_dot2_f32_f16 v40, v36, v68, v40
	;;#ASMEND
	v_dual_add_nc_u32 v8, s42, v153 :: v_dual_mov_b32 v14, 0
	v_mov_b32_e32 v9, 0
	;;#ASMSTART
	v_dot2_f32_f16 v40, v37, v69, v40
	;;#ASMEND
	;;#ASMSTART
	v_dot2_f32_f16 v40, v38, v70, v40
	;;#ASMEND
	;; [unrolled: 3-line block ×3, first 2 shown]
	s_wait_dscnt 0x0
	;;#ASMSTART
	v_dot2_f32_f16 v42, v36, v72, v42
	;;#ASMEND
	;;#ASMSTART
	v_dot2_f32_f16 v42, v37, v73, v42
	;;#ASMEND
	;; [unrolled: 3-line block ×4, first 2 shown]
	s_cbranch_vccnz .LBB52_34
; %bb.33:                               ;   in Loop: Header=BB52_24 Depth=1
	v_add_nc_u32_e32 v9, v8, v188
	global_load_u16 v9, v9, s[40:41] scale_offset
	s_wait_loadcnt 0x0
	v_cvt_f32_f16_e32 v9, v9
	s_delay_alu instid0(VALU_DEP_1)
	v_mul_f32_e32 v9, v176, v9
.LBB52_34:                              ;   in Loop: Header=BB52_24 Depth=1
	s_delay_alu instid0(VALU_DEP_1) | instskip(SKIP_1) | instid1(VALU_DEP_2)
	v_dual_add_f32 v23, v12, v9 :: v_dual_bitop2_b32 v10, 16, v183 bitop3:0x14
	v_xor_b32_e32 v12, 8, v183
	v_cmp_gt_i32_e32 vcc_lo, 32, v10
	v_dual_max_num_f32 v11, v16, v16 :: v_dual_cndmask_b32 v9, v183, v10, vcc_lo
	s_delay_alu instid0(VALU_DEP_4) | instskip(NEXT) | instid1(VALU_DEP_4)
	v_add_f32_e32 v10, 0x40051340, v23
	v_cmp_gt_i32_e32 vcc_lo, 32, v12
	s_delay_alu instid0(VALU_DEP_2) | instskip(SKIP_4) | instid1(VALU_DEP_1)
	v_dual_max_num_f32 v10, v11, v10 :: v_dual_lshlrev_b32 v9, 2, v9
	v_cndmask_b32_e32 v12, v183, v12, vcc_lo
	ds_bpermute_b32 v11, v9, v10
	s_wait_dscnt 0x0
	v_dual_max_num_f32 v13, v11, v11 :: v_dual_lshlrev_b32 v11, 2, v12
	v_dual_max_num_f32 v12, v10, v13 :: v_dual_bitop2_b32 v13, 4, v183 bitop3:0x14
	s_delay_alu instid0(VALU_DEP_1) | instskip(SKIP_4) | instid1(VALU_DEP_1)
	v_cmp_gt_i32_e32 vcc_lo, 32, v13
	v_cndmask_b32_e32 v13, v183, v13, vcc_lo
	ds_bpermute_b32 v10, v11, v12
	s_wait_dscnt 0x0
	v_dual_max_num_f32 v15, v10, v10 :: v_dual_lshlrev_b32 v10, 2, v13
	v_max_num_f32_e32 v12, v12, v15
	v_xor_b32_e32 v15, 2, v183
	s_delay_alu instid0(VALU_DEP_1) | instskip(SKIP_4) | instid1(VALU_DEP_1)
	v_cmp_gt_i32_e32 vcc_lo, 32, v15
	v_cndmask_b32_e32 v15, v183, v15, vcc_lo
	ds_bpermute_b32 v13, v10, v12
	s_wait_dscnt 0x0
	v_dual_max_num_f32 v13, v13, v13 :: v_dual_lshlrev_b32 v22, 2, v15
	v_max_num_f32_e32 v12, v12, v13
	ds_bpermute_b32 v13, v22, v12
	s_wait_dscnt 0x0
	v_dual_max_num_f32 v13, v13, v13 :: v_dual_bitop2_b32 v15, 1, v183 bitop3:0x14
	s_delay_alu instid0(VALU_DEP_1) | instskip(NEXT) | instid1(VALU_DEP_2)
	v_cmp_gt_i32_e32 vcc_lo, 32, v15
	v_dual_max_num_f32 v12, v12, v13 :: v_dual_cndmask_b32 v15, v183, v15
	s_and_not1_b32 vcc_lo, exec_lo, s57
	s_delay_alu instid0(VALU_DEP_1)
	v_lshlrev_b32_e32 v15, 2, v15
	ds_bpermute_b32 v13, v15, v12
	s_cbranch_vccnz .LBB52_36
; %bb.35:                               ;   in Loop: Header=BB52_24 Depth=1
	v_add_nc_u32_e32 v14, v8, v187
	global_load_u16 v14, v14, s[40:41] scale_offset
	s_wait_loadcnt 0x0
	v_cvt_f32_f16_e32 v14, v14
	s_delay_alu instid0(VALU_DEP_1)
	v_mul_f32_e32 v14, v176, v14
.LBB52_36:                              ;   in Loop: Header=BB52_24 Depth=1
	s_delay_alu instid0(VALU_DEP_1) | instskip(SKIP_2) | instid1(VALU_DEP_2)
	v_dual_add_f32 v24, v24, v14 :: v_dual_max_num_f32 v25, v17, v17
	s_and_not1_b32 vcc_lo, exec_lo, s57
	v_mov_b32_e32 v26, 0
	v_add_f32_e32 v14, 0x40051340, v24
	s_delay_alu instid0(VALU_DEP_1) | instskip(SKIP_3) | instid1(VALU_DEP_1)
	v_max_num_f32_e32 v14, v25, v14
	ds_bpermute_b32 v25, v9, v14
	s_wait_dscnt 0x0
	v_max_num_f32_e32 v25, v25, v25
	v_max_num_f32_e32 v14, v14, v25
	ds_bpermute_b32 v25, v11, v14
	s_wait_dscnt 0x0
	v_max_num_f32_e32 v25, v25, v25
	s_delay_alu instid0(VALU_DEP_1) | instskip(SKIP_3) | instid1(VALU_DEP_1)
	v_max_num_f32_e32 v14, v14, v25
	ds_bpermute_b32 v25, v10, v14
	s_wait_dscnt 0x0
	v_max_num_f32_e32 v25, v25, v25
	v_max_num_f32_e32 v14, v14, v25
	ds_bpermute_b32 v25, v22, v14
	s_wait_dscnt 0x0
	v_max_num_f32_e32 v25, v25, v25
	s_delay_alu instid0(VALU_DEP_1)
	v_dual_max_num_f32 v14, v14, v25 :: v_dual_mov_b32 v25, 0
	ds_bpermute_b32 v28, v15, v14
	s_cbranch_vccnz .LBB52_38
; %bb.37:                               ;   in Loop: Header=BB52_24 Depth=1
	v_add_nc_u32_e32 v25, v8, v189
	global_load_u16 v25, v25, s[40:41] scale_offset
	s_wait_loadcnt 0x0
	v_cvt_f32_f16_e32 v25, v25
	s_delay_alu instid0(VALU_DEP_1)
	v_mul_f32_e32 v25, v176, v25
.LBB52_38:                              ;   in Loop: Header=BB52_24 Depth=1
	s_delay_alu instid0(VALU_DEP_1) | instskip(SKIP_2) | instid1(VALU_DEP_2)
	v_add_f32_e32 v25, v29, v25
	v_max_num_f32_e32 v31, v21, v21
	s_and_not1_b32 vcc_lo, exec_lo, s57
	v_add_f32_e32 v29, 0x40051340, v25
	s_delay_alu instid0(VALU_DEP_1) | instskip(SKIP_3) | instid1(VALU_DEP_1)
	v_max_num_f32_e32 v29, v31, v29
	ds_bpermute_b32 v31, v9, v29
	s_wait_dscnt 0x0
	v_max_num_f32_e32 v31, v31, v31
	v_max_num_f32_e32 v29, v29, v31
	ds_bpermute_b32 v31, v11, v29
	s_wait_dscnt 0x0
	v_max_num_f32_e32 v31, v31, v31
	s_delay_alu instid0(VALU_DEP_1) | instskip(SKIP_3) | instid1(VALU_DEP_1)
	v_max_num_f32_e32 v29, v29, v31
	ds_bpermute_b32 v31, v10, v29
	s_wait_dscnt 0x0
	v_max_num_f32_e32 v31, v31, v31
	v_max_num_f32_e32 v29, v29, v31
	ds_bpermute_b32 v31, v22, v29
	s_wait_dscnt 0x0
	v_max_num_f32_e32 v31, v31, v31
	s_delay_alu instid0(VALU_DEP_1)
	v_max_num_f32_e32 v31, v29, v31
	ds_bpermute_b32 v32, v15, v31
	s_cbranch_vccnz .LBB52_40
; %bb.39:                               ;   in Loop: Header=BB52_24 Depth=1
	v_add_nc_u32_e32 v26, v8, v190
	global_load_u16 v26, v26, s[40:41] scale_offset
	s_wait_loadcnt 0x0
	v_cvt_f32_f16_e32 v26, v26
	s_delay_alu instid0(VALU_DEP_1)
	v_mul_f32_e32 v26, v176, v26
.LBB52_40:                              ;   in Loop: Header=BB52_24 Depth=1
	s_delay_alu instid0(VALU_DEP_1) | instskip(SKIP_1) | instid1(VALU_DEP_1)
	v_dual_add_f32 v26, v27, v26 :: v_dual_max_num_f32 v29, v20, v20
	s_and_not1_b32 vcc_lo, exec_lo, s57
	v_add_f32_e32 v27, 0x40051340, v26
	s_delay_alu instid0(VALU_DEP_1) | instskip(SKIP_3) | instid1(VALU_DEP_1)
	v_max_num_f32_e32 v27, v29, v27
	ds_bpermute_b32 v29, v9, v27
	s_wait_dscnt 0x0
	v_max_num_f32_e32 v29, v29, v29
	v_max_num_f32_e32 v27, v27, v29
	ds_bpermute_b32 v29, v11, v27
	s_wait_dscnt 0x0
	v_max_num_f32_e32 v29, v29, v29
	s_delay_alu instid0(VALU_DEP_1) | instskip(SKIP_3) | instid1(VALU_DEP_1)
	v_max_num_f32_e32 v27, v27, v29
	ds_bpermute_b32 v29, v10, v27
	s_wait_dscnt 0x0
	v_max_num_f32_e32 v29, v29, v29
	v_max_num_f32_e32 v27, v27, v29
	ds_bpermute_b32 v29, v22, v27
	s_wait_dscnt 0x0
	v_max_num_f32_e32 v29, v29, v29
	s_delay_alu instid0(VALU_DEP_1)
	v_dual_max_num_f32 v33, v27, v29 :: v_dual_mov_b32 v29, 0
	v_mov_b32_e32 v27, 0
	ds_bpermute_b32 v34, v15, v33
	s_cbranch_vccnz .LBB52_42
; %bb.41:                               ;   in Loop: Header=BB52_24 Depth=1
	v_add_nc_u32_e32 v27, v8, v191
	global_load_u16 v27, v27, s[40:41] scale_offset
	s_wait_loadcnt 0x0
	v_cvt_f32_f16_e32 v27, v27
	s_delay_alu instid0(VALU_DEP_1)
	v_mul_f32_e32 v27, v176, v27
.LBB52_42:                              ;   in Loop: Header=BB52_24 Depth=1
	s_delay_alu instid0(VALU_DEP_1) | instskip(SKIP_2) | instid1(VALU_DEP_2)
	v_add_f32_e32 v27, v35, v27
	v_max_num_f32_e32 v36, v19, v19
	s_and_not1_b32 vcc_lo, exec_lo, s57
	v_add_f32_e32 v35, 0x40051340, v27
	s_delay_alu instid0(VALU_DEP_1) | instskip(SKIP_3) | instid1(VALU_DEP_1)
	v_max_num_f32_e32 v35, v36, v35
	ds_bpermute_b32 v36, v9, v35
	s_wait_dscnt 0x0
	v_max_num_f32_e32 v36, v36, v36
	v_max_num_f32_e32 v35, v35, v36
	ds_bpermute_b32 v36, v11, v35
	s_wait_dscnt 0x0
	v_max_num_f32_e32 v36, v36, v36
	s_delay_alu instid0(VALU_DEP_1) | instskip(SKIP_3) | instid1(VALU_DEP_1)
	v_max_num_f32_e32 v35, v35, v36
	ds_bpermute_b32 v36, v10, v35
	s_wait_dscnt 0x0
	v_max_num_f32_e32 v36, v36, v36
	v_max_num_f32_e32 v35, v35, v36
	ds_bpermute_b32 v36, v22, v35
	s_wait_dscnt 0x0
	v_max_num_f32_e32 v36, v36, v36
	s_delay_alu instid0(VALU_DEP_1)
	v_max_num_f32_e32 v35, v35, v36
	ds_bpermute_b32 v36, v15, v35
	s_cbranch_vccnz .LBB52_44
; %bb.43:                               ;   in Loop: Header=BB52_24 Depth=1
	v_add_nc_u32_e32 v29, v8, v192
	global_load_u16 v29, v29, s[40:41] scale_offset
	s_wait_loadcnt 0x0
	v_cvt_f32_f16_e32 v29, v29
	s_delay_alu instid0(VALU_DEP_1)
	v_mul_f32_e32 v29, v176, v29
.LBB52_44:                              ;   in Loop: Header=BB52_24 Depth=1
	v_max_num_f32_e32 v37, v18, v18
	s_delay_alu instid0(VALU_DEP_2) | instskip(SKIP_1) | instid1(VALU_DEP_1)
	v_add_f32_e32 v29, v30, v29
	s_and_not1_b32 vcc_lo, exec_lo, s57
	v_dual_mov_b32 v39, 0 :: v_dual_add_f32 v30, 0x40051340, v29
	s_delay_alu instid0(VALU_DEP_1) | instskip(SKIP_3) | instid1(VALU_DEP_1)
	v_max_num_f32_e32 v30, v37, v30
	ds_bpermute_b32 v37, v9, v30
	s_wait_dscnt 0x0
	v_max_num_f32_e32 v37, v37, v37
	v_max_num_f32_e32 v30, v30, v37
	ds_bpermute_b32 v37, v11, v30
	s_wait_dscnt 0x0
	v_max_num_f32_e32 v37, v37, v37
	s_delay_alu instid0(VALU_DEP_1) | instskip(SKIP_3) | instid1(VALU_DEP_1)
	v_max_num_f32_e32 v30, v30, v37
	ds_bpermute_b32 v37, v10, v30
	s_wait_dscnt 0x0
	v_max_num_f32_e32 v37, v37, v37
	v_max_num_f32_e32 v30, v30, v37
	ds_bpermute_b32 v37, v22, v30
	s_wait_dscnt 0x0
	v_max_num_f32_e32 v37, v37, v37
	s_delay_alu instid0(VALU_DEP_1)
	v_dual_max_num_f32 v37, v30, v37 :: v_dual_mov_b32 v30, 0
	ds_bpermute_b32 v38, v15, v37
	s_cbranch_vccnz .LBB52_46
; %bb.45:                               ;   in Loop: Header=BB52_24 Depth=1
	v_add_nc_u32_e32 v30, v8, v193
	global_load_u16 v30, v30, s[40:41] scale_offset
	s_wait_loadcnt 0x0
	v_cvt_f32_f16_e32 v30, v30
	s_delay_alu instid0(VALU_DEP_1)
	v_mul_f32_e32 v30, v176, v30
.LBB52_46:                              ;   in Loop: Header=BB52_24 Depth=1
	v_max_num_f32_e32 v41, v144, v144
	s_delay_alu instid0(VALU_DEP_2) | instskip(SKIP_1) | instid1(VALU_DEP_1)
	v_add_f32_e32 v30, v40, v30
	s_and_not1_b32 vcc_lo, exec_lo, s57
	v_add_f32_e32 v40, 0x40051340, v30
	s_delay_alu instid0(VALU_DEP_1) | instskip(SKIP_3) | instid1(VALU_DEP_1)
	v_max_num_f32_e32 v40, v41, v40
	ds_bpermute_b32 v41, v9, v40
	s_wait_dscnt 0x0
	v_max_num_f32_e32 v41, v41, v41
	v_max_num_f32_e32 v40, v40, v41
	ds_bpermute_b32 v41, v11, v40
	s_wait_dscnt 0x0
	v_max_num_f32_e32 v41, v41, v41
	s_delay_alu instid0(VALU_DEP_1) | instskip(SKIP_3) | instid1(VALU_DEP_1)
	v_max_num_f32_e32 v40, v40, v41
	ds_bpermute_b32 v41, v10, v40
	s_wait_dscnt 0x0
	v_max_num_f32_e32 v41, v41, v41
	v_max_num_f32_e32 v40, v40, v41
	ds_bpermute_b32 v41, v22, v40
	s_wait_dscnt 0x0
	v_max_num_f32_e32 v41, v41, v41
	s_delay_alu instid0(VALU_DEP_1)
	v_max_num_f32_e32 v40, v40, v41
	ds_bpermute_b32 v41, v15, v40
	s_cbranch_vccnz .LBB52_48
; %bb.47:                               ;   in Loop: Header=BB52_24 Depth=1
	v_add_nc_u32_e32 v8, v8, v194
	global_load_u16 v8, v8, s[40:41] scale_offset
	s_wait_loadcnt 0x0
	v_cvt_f32_f16_e32 v8, v8
	s_delay_alu instid0(VALU_DEP_1)
	v_mul_f32_e32 v39, v176, v8
.LBB52_48:                              ;   in Loop: Header=BB52_24 Depth=1
	s_delay_alu instid0(VALU_DEP_1) | instskip(SKIP_3) | instid1(VALU_DEP_4)
	v_dual_add_f32 v39, v42, v39 :: v_dual_max_num_f32 v8, v145, v145
	v_max_num_f32_e32 v28, v28, v28
	v_dual_max_num_f32 v12, v12, v12 :: v_dual_max_num_f32 v37, v37, v37
	v_max_num_f32_e32 v36, v36, v36
	v_add_f32_e32 v42, 0x40051340, v39
	v_dual_max_num_f32 v34, v34, v34 :: v_dual_max_num_f32 v33, v33, v33
	v_dual_max_num_f32 v32, v32, v32 :: v_dual_max_num_f32 v31, v31, v31
	s_delay_alu instid0(VALU_DEP_3)
	v_max_num_f32_e32 v8, v8, v42
	s_mul_u64 s[8:9], s[42:43], s[22:23]
	s_wait_dscnt 0x0
	s_lshl_b64 s[8:9], s[8:9], 2
	s_barrier_signal -1
	ds_bpermute_b32 v9, v9, v8
	s_add_nc_u64 s[8:9], s[26:27], s[8:9]
	s_barrier_wait -1
	s_wait_dscnt 0x0
	v_max_num_f32_e32 v9, v9, v9
	s_delay_alu instid0(VALU_DEP_1) | instskip(SKIP_4) | instid1(VALU_DEP_1)
	v_max_num_f32_e32 v8, v8, v9
	ds_bpermute_b32 v9, v11, v8
	v_max_num_f32_e32 v11, v41, v41
	s_wait_dscnt 0x0
	v_max_num_f32_e32 v9, v9, v9
	v_dual_max_num_f32 v41, v8, v9 :: v_dual_max_num_f32 v9, v38, v38
	v_dual_max_num_f32 v8, v40, v40 :: v_dual_max_num_f32 v40, v14, v14
	ds_bpermute_b32 v38, v10, v41
	v_dual_max_num_f32 v10, v35, v35 :: v_dual_max_num_f32 v35, v13, v13
	v_dual_max_num_f32 v14, v8, v11 :: v_dual_max_num_f32 v13, v37, v9
	;; [unrolled: 1-line block ×3, first 2 shown]
	s_delay_alu instid0(VALU_DEP_3) | instskip(NEXT) | instid1(VALU_DEP_2)
	v_dual_max_num_f32 v8, v12, v35 :: v_dual_max_num_f32 v12, v10, v36
	v_dual_max_num_f32 v10, v31, v32 :: v_dual_sub_f32 v24, v24, v9
	s_delay_alu instid0(VALU_DEP_2) | instskip(NEXT) | instid1(VALU_DEP_3)
	v_dual_sub_f32 v26, v26, v11 :: v_dual_sub_f32 v23, v23, v8
	v_dual_sub_f32 v27, v27, v12 :: v_dual_sub_f32 v29, v29, v13
	s_delay_alu instid0(VALU_DEP_3) | instskip(NEXT) | instid1(VALU_DEP_3)
	v_sub_f32_e32 v25, v25, v10
	v_mul_f32_e32 v34, 0x3fb8aa3b, v26
	s_delay_alu instid0(VALU_DEP_3) | instskip(NEXT) | instid1(VALU_DEP_4)
	v_dual_mul_f32 v32, 0x3fb8aa3b, v24 :: v_dual_mul_f32 v35, 0x3fb8aa3b, v27
	v_mul_f32_e32 v36, 0x3fb8aa3b, v29
	s_wait_dscnt 0x0
	v_dual_max_num_f32 v28, v38, v38 :: v_dual_mul_f32 v31, 0x3fb8aa3b, v23
	v_mul_f32_e32 v33, 0x3fb8aa3b, v25
	v_rndne_f32_e32 v48, v35
	s_delay_alu instid0(VALU_DEP_3)
	v_dual_sub_f32 v30, v30, v14 :: v_dual_max_num_f32 v28, v41, v28
	v_fma_f32 v41, 0x3fb8aa3b, v24, -v32
	v_rndne_f32_e32 v42, v32
	v_fma_f32 v43, 0x3fb8aa3b, v25, -v33
	v_fma_f32 v38, 0x3fb8aa3b, v23, -v31
	ds_bpermute_b32 v22, v22, v28
	v_rndne_f32_e32 v40, v31
	v_dual_sub_f32 v32, v32, v42 :: v_dual_fmac_f32 v43, 0x32a5705f, v25
	v_fmac_f32_e32 v38, 0x32a5705f, v23
	v_rndne_f32_e32 v44, v33
	s_delay_alu instid0(VALU_DEP_4)
	v_sub_f32_e32 v31, v31, v40
	v_cvt_i32_f32_e32 v40, v40
	v_fma_f32 v49, 0x3fb8aa3b, v29, -v36
	v_rndne_f32_e32 v50, v36
	v_cmp_ngt_f32_e32 vcc_lo, 0xc2ce8ed0, v23
	v_fma_f32 v45, 0x3fb8aa3b, v26, -v34
	v_rndne_f32_e32 v46, v34
	v_fma_f32 v47, 0x3fb8aa3b, v27, -v35
	v_dual_sub_f32 v35, v35, v48 :: v_dual_sub_f32 v36, v36, v50
	v_fmac_f32_e32 v41, 0x32a5705f, v24
	v_mul_f32_e32 v37, 0x3fb8aa3b, v30
	s_delay_alu instid0(VALU_DEP_4) | instskip(SKIP_1) | instid1(VALU_DEP_3)
	v_dual_sub_f32 v34, v34, v46 :: v_dual_fmac_f32 v47, 0x32a5705f, v27
	s_wait_dscnt 0x0
	v_dual_max_num_f32 v22, v22, v22 :: v_dual_add_f32 v32, v32, v41
	s_delay_alu instid0(VALU_DEP_3) | instskip(SKIP_1) | instid1(VALU_DEP_3)
	v_rndne_f32_e32 v52, v37
	v_fma_f32 v51, 0x3fb8aa3b, v30, -v37
	v_dual_sub_f32 v33, v33, v44 :: v_dual_max_num_f32 v22, v28, v22
	v_cvt_i32_f32_e32 v28, v42
	v_cvt_i32_f32_e32 v42, v44
	;; [unrolled: 1-line block ×3, first 2 shown]
	v_dual_sub_f32 v37, v37, v52 :: v_dual_add_f32 v31, v31, v38
	ds_bpermute_b32 v15, v15, v22
	v_exp_f32_e32 v32, v32
	v_cvt_i32_f32_e32 v46, v48
	v_cvt_i32_f32_e32 v48, v50
	v_exp_f32_e32 v31, v31
	v_cvt_i32_f32_e32 v50, v52
	s_delay_alu instid0(TRANS32_DEP_2) | instskip(NEXT) | instid1(TRANS32_DEP_1)
	v_ldexp_f32 v28, v32, v28
	v_ldexp_f32 v31, v31, v40
	s_delay_alu instid0(VALU_DEP_1) | instskip(SKIP_4) | instid1(VALU_DEP_2)
	v_cndmask_b32_e32 v31, 0, v31, vcc_lo
	v_cmp_ngt_f32_e32 vcc_lo, 0xc2ce8ed0, v24
	v_fmac_f32_e32 v49, 0x32a5705f, v29
	s_wait_dscnt 0x0
	v_dual_max_num_f32 v15, v15, v15 :: v_dual_cndmask_b32 v28, 0, v28
	v_dual_fmac_f32 v45, 0x32a5705f, v26 :: v_dual_add_f32 v36, v36, v49
	v_fmac_f32_e32 v51, 0x32a5705f, v30
	s_delay_alu instid0(VALU_DEP_3) | instskip(SKIP_1) | instid1(VALU_DEP_4)
	v_max_num_f32_e32 v15, v22, v15
	v_cmp_ngt_f32_e32 vcc_lo, 0xc2ce8ed0, v25
	v_dual_add_f32 v34, v34, v45 :: v_dual_add_f32 v35, v35, v47
	s_delay_alu instid0(VALU_DEP_4) | instskip(NEXT) | instid1(VALU_DEP_2)
	v_add_f32_e32 v37, v37, v51
	v_exp_f32_e32 v34, v34
	s_delay_alu instid0(VALU_DEP_2) | instskip(SKIP_1) | instid1(VALU_DEP_1)
	v_exp_f32_e32 v22, v35
	v_exp_f32_e32 v35, v36
	;; [unrolled: 1-line block ×3, first 2 shown]
	v_nop
	v_sub_f32_e32 v37, v39, v15
	v_add_f32_e32 v33, v33, v43
	s_delay_alu instid0(TRANS32_DEP_3) | instskip(NEXT) | instid1(TRANS32_DEP_2)
	v_ldexp_f32 v22, v22, v46
	v_ldexp_f32 v35, v35, v48
	s_delay_alu instid0(VALU_DEP_3) | instskip(SKIP_1) | instid1(TRANS32_DEP_1)
	v_exp_f32_e32 v33, v33
	v_ldexp_f32 v36, v36, v50
	v_ldexp_f32 v32, v33, v42
	;; [unrolled: 1-line block ×3, first 2 shown]
	v_mul_f32_e32 v34, 0x3fb8aa3b, v37
	s_delay_alu instid0(VALU_DEP_3) | instskip(SKIP_1) | instid1(VALU_DEP_3)
	v_cndmask_b32_e32 v32, 0, v32, vcc_lo
	v_cmp_ngt_f32_e32 vcc_lo, 0xc2ce8ed0, v26
	v_fma_f32 v38, 0x3fb8aa3b, v37, -v34
	v_rndne_f32_e32 v39, v34
	v_cndmask_b32_e32 v33, 0, v33, vcc_lo
	v_cmp_ngt_f32_e32 vcc_lo, 0xc2ce8ed0, v27
	s_delay_alu instid0(VALU_DEP_4)
	v_fmac_f32_e32 v38, 0x32a5705f, v37
	v_cndmask_b32_e32 v22, 0, v22, vcc_lo
	v_cmp_ngt_f32_e32 vcc_lo, 0xc2ce8ed0, v29
	v_cndmask_b32_e32 v35, 0, v35, vcc_lo
	v_cmp_ngt_f32_e32 vcc_lo, 0xc2ce8ed0, v30
	v_cndmask_b32_e32 v36, 0, v36, vcc_lo
	v_cmp_nlt_f32_e32 vcc_lo, 0x42b17218, v23
	v_cvt_i32_f32_e32 v23, v39
	v_cndmask_b32_e32 v134, 0x7f800000, v31, vcc_lo
	v_cmp_nlt_f32_e32 vcc_lo, 0x42b17218, v24
	v_dual_sub_f32 v34, v34, v39 :: v_dual_cndmask_b32 v135, 0x7f800000, v28
	v_cmp_nlt_f32_e32 vcc_lo, 0x42b17218, v25
	s_delay_alu instid0(VALU_DEP_2) | instskip(SKIP_2) | instid1(VALU_DEP_3)
	v_add_f32_e32 v34, v34, v38
	v_cndmask_b32_e32 v136, 0x7f800000, v32, vcc_lo
	v_cmp_nlt_f32_e32 vcc_lo, 0x42b17218, v26
	v_exp_f32_e32 v34, v34
	v_cndmask_b32_e32 v137, 0x7f800000, v33, vcc_lo
	v_cmp_nlt_f32_e32 vcc_lo, 0x42b17218, v27
	s_delay_alu instid0(TRANS32_DEP_1) | instskip(SKIP_2) | instid1(VALU_DEP_3)
	v_ldexp_f32 v23, v34, v23
	v_cndmask_b32_e32 v138, 0x7f800000, v22, vcc_lo
	v_cmp_ngt_f32_e32 vcc_lo, 0xc2ce8ed0, v37
	v_cndmask_b32_e32 v22, 0, v23, vcc_lo
	v_cmp_nlt_f32_e32 vcc_lo, 0x42b17218, v29
	v_cvt_pk_f16_f32 v23, v136, v137
	v_cndmask_b32_e32 v139, 0x7f800000, v35, vcc_lo
	v_cmp_nlt_f32_e32 vcc_lo, 0x42b17218, v30
	s_delay_alu instid0(VALU_DEP_2) | instskip(SKIP_4) | instid1(VALU_DEP_2)
	v_cvt_pk_f16_f32 v24, v138, v139
	v_cndmask_b32_e32 v140, 0x7f800000, v36, vcc_lo
	v_cmp_nlt_f32_e32 vcc_lo, 0x42b17218, v37
	v_cndmask_b32_e32 v141, 0x7f800000, v22, vcc_lo
	v_cvt_pk_f16_f32 v22, v134, v135
	v_cvt_pk_f16_f32 v25, v140, v141
	ds_store_b128 v182, v[22:25]
	s_and_saveexec_b32 s7, s5
	s_cbranch_execz .LBB52_50
; %bb.49:                               ;   in Loop: Header=BB52_24 Depth=1
	v_lshl_add_u64 v[22:23], v[128:129], 2, s[8:9]
	v_mov_b32_e32 v133, v123
	s_delay_alu instid0(VALU_DEP_1)
	v_add_nc_u64_e32 v[22:23], v[22:23], v[132:133]
	global_load_b128 v[22:25], v[22:23], off offset:128
	s_wait_loadcnt 0x0
	ds_store_b128 v186, v[22:25]
.LBB52_50:                              ;   in Loop: Header=BB52_24 Depth=1
	s_or_b32 exec_lo, exec_lo, s7
	v_lshlrev_b32_e32 v142, 2, v116
	s_and_saveexec_b32 s7, s6
	s_cbranch_execz .LBB52_52
; %bb.51:                               ;   in Loop: Header=BB52_24 Depth=1
	v_lshl_add_u64 v[22:23], v[130:131], 2, s[8:9]
	v_mov_b32_e32 v143, v123
	s_delay_alu instid0(VALU_DEP_1)
	v_add_nc_u64_e32 v[22:23], v[22:23], v[142:143]
	global_load_b128 v[22:25], v[22:23], off
	s_wait_loadcnt 0x0
	ds_store_b128 v185, v[22:25]
.LBB52_52:                              ;   in Loop: Header=BB52_24 Depth=1
	s_or_b32 exec_lo, exec_lo, s7
	v_add_nc_u32_e32 v197, 0x4000, v156
	v_dual_sub_f32 v149, v144, v14 :: v_dual_add_nc_u32 v196, 0x4400, v156
	s_wait_dscnt 0x0
	s_barrier_signal -1
	s_barrier_wait -1
	ds_load_2addr_b64 v[44:47], v197 offset1:24
	ds_load_b128 v[108:111], v158
	ds_load_b128 v[104:107], v158 offset:16
	ds_load_b128 v[100:103], v158 offset:32
	;; [unrolled: 1-line block ×3, first 2 shown]
	ds_load_2addr_b64 v[40:43], v197 offset0:48 offset1:72
	ds_load_2addr_b64 v[36:39], v197 offset0:96 offset1:120
	ds_load_b128 v[92:95], v158 offset:64
	ds_load_b128 v[88:91], v158 offset:80
	ds_load_2addr_b64 v[32:35], v197 offset0:144 offset1:168
	ds_load_b128 v[84:87], v158 offset:96
	ds_load_b128 v[80:83], v158 offset:112
	v_dual_sub_f32 v198, v16, v8 :: v_dual_sub_f32 v199, v17, v9
	v_dual_sub_f32 v200, v21, v10 :: v_dual_sub_f32 v147, v20, v11
	;; [unrolled: 1-line block ×3, first 2 shown]
	ds_load_2addr_b64 v[28:31], v197 offset0:192 offset1:216
	v_add_nc_u32_e32 v195, 0x4800, v156
	ds_load_b128 v[76:79], v158 offset:128
	ds_load_b128 v[72:75], v158 offset:144
	ds_load_2addr_b64 v[24:27], v196 offset0:112 offset1:136
	ds_load_b128 v[68:71], v158 offset:160
	ds_load_b128 v[64:67], v158 offset:176
	ds_load_2addr_b64 v[20:23], v195 offset0:32 offset1:56
	;; [unrolled: 3-line block ×3, first 2 shown]
	ds_load_b128 v[52:55], v158 offset:224
	ds_load_b128 v[48:51], v158 offset:240
	v_sub_f32_e32 v145, v145, v15
	s_or_b32 s54, s42, 16
	v_cmp_ngt_f32_e64 s19, 0xc2ce8ed0, v198
	s_ashr_i32 s55, s54, 31
	v_cmp_nlt_f32_e64 s14, 0x42b17218, v198
	s_mul_u64 s[54:55], s[54:55], s[22:23]
	v_cmp_ngt_f32_e64 s20, 0xc2ce8ed0, v199
	v_cmp_nlt_f32_e64 s16, 0x42b17218, v199
	v_cmp_ngt_f32_e64 s21, 0xc2ce8ed0, v200
	v_cmp_nlt_f32_e64 s18, 0x42b17218, v200
	v_cmp_ngt_f32_e64 s7, 0xc2ce8ed0, v147
	v_cmp_ngt_f32_e64 s10, 0xc2ce8ed0, v148
	v_cmp_nlt_f32_e64 s8, 0x42b17218, v148
	v_cmp_ngt_f32_e64 s12, 0xc2ce8ed0, v146
	v_cmp_nlt_f32_e64 s9, 0x42b17218, v146
	;; [unrolled: 2-line block ×4, first 2 shown]
	s_lshl_b64 s[54:55], s[54:55], 2
	v_cmp_nlt_f32_e32 vcc_lo, 0x42b17218, v147
	s_add_nc_u64 s[54:55], s[26:27], s[54:55]
	s_wait_dscnt 0x0
	s_barrier_signal -1
	s_barrier_wait -1
	s_and_saveexec_b32 s43, s5
	s_cbranch_execz .LBB52_54
; %bb.53:                               ;   in Loop: Header=BB52_24 Depth=1
	v_lshl_add_u64 v[202:203], v[128:129], 2, s[54:55]
	v_mov_b32_e32 v133, v123
	s_delay_alu instid0(VALU_DEP_1)
	v_add_nc_u64_e32 v[202:203], v[202:203], v[132:133]
	global_load_b128 v[202:205], v[202:203], off offset:128
	s_wait_loadcnt 0x0
	ds_store_b128 v186, v[202:205]
.LBB52_54:                              ;   in Loop: Header=BB52_24 Depth=1
	s_or_b32 exec_lo, exec_lo, s43
	s_and_saveexec_b32 s43, s6
	s_cbranch_execz .LBB52_56
; %bb.55:                               ;   in Loop: Header=BB52_24 Depth=1
	v_lshl_add_u64 v[202:203], v[130:131], 2, s[54:55]
	v_mov_b32_e32 v143, v123
	s_delay_alu instid0(VALU_DEP_1)
	v_add_nc_u64_e32 v[142:143], v[202:203], v[142:143]
	global_load_b128 v[202:205], v[142:143], off
	s_wait_loadcnt 0x0
	ds_store_b128 v185, v[202:205]
.LBB52_56:                              ;   in Loop: Header=BB52_24 Depth=1
	s_or_b32 exec_lo, exec_lo, s43
	v_dual_mul_f32 v133, 0x3fb8aa3b, v198 :: v_dual_mul_f32 v142, 0x3fb8aa3b, v199
	v_dual_lshrrev_b32 v210, 16, v105 :: v_dual_lshrrev_b32 v211, 16, v106
	v_dual_lshrrev_b32 v212, 16, v107 :: v_dual_lshrrev_b32 v213, 16, v100
	s_delay_alu instid0(VALU_DEP_3) | instskip(SKIP_4) | instid1(VALU_DEP_4)
	v_fma_f32 v144, 0x3fb8aa3b, v198, -v133
	v_rndne_f32_e32 v201, v133
	v_rndne_f32_e32 v203, v142
	v_mul_f32_e32 v143, 0x3fb8aa3b, v200
	v_fma_f32 v202, 0x3fb8aa3b, v199, -v142
	v_dual_fmac_f32 v144, 0x32a5705f, v198 :: v_dual_sub_f32 v133, v133, v201
	s_delay_alu instid0(VALU_DEP_4) | instskip(NEXT) | instid1(VALU_DEP_4)
	v_sub_f32_e32 v142, v142, v203
	v_rndne_f32_e32 v205, v143
	v_fma_f32 v204, 0x3fb8aa3b, v200, -v143
	v_fmac_f32_e32 v202, 0x32a5705f, v199
	v_cvt_i32_f32_e32 v198, v203
	v_and_b32_e32 v105, 0xffff, v105
	v_dual_sub_f32 v143, v143, v205 :: v_dual_add_f32 v133, v133, v144
	s_delay_alu instid0(VALU_DEP_4)
	v_add_f32_e32 v142, v142, v202
	v_fmac_f32_e32 v204, 0x32a5705f, v200
	v_cvt_i32_f32_e32 v144, v201
	v_mul_f32_e32 v200, 0x3fb8aa3b, v147
	v_exp_f32_e32 v133, v133
	v_exp_f32_e32 v142, v142
	v_add_f32_e32 v143, v143, v204
	v_cvt_i32_f32_e32 v199, v205
	v_mul_f32_e32 v201, 0x3fb8aa3b, v148
	v_rndne_f32_e32 v203, v200
	v_and_b32_e32 v106, 0xffff, v106
	v_ldexp_f32 v133, v133, v144
	v_exp_f32_e32 v143, v143
	v_ldexp_f32 v142, v142, v198
	v_mul_f32_e32 v198, 0x3fb8aa3b, v146
	v_fma_f32 v204, 0x3fb8aa3b, v148, -v201
	v_cndmask_b32_e64 v133, 0, v133, s19
	v_and_b32_e32 v107, 0xffff, v107
	v_cndmask_b32_e64 v144, 0, v142, s20
	v_ldexp_f32 v143, v143, v199
	v_fma_f32 v199, 0x3fb8aa3b, v147, -v200
	v_cndmask_b32_e64 v142, 0x7f800000, v133, s14
	v_rndne_f32_e32 v133, v201
	v_sub_f32_e32 v200, v200, v203
	v_cndmask_b32_e64 v202, 0, v143, s21
	v_fmac_f32_e32 v199, 0x32a5705f, v147
	v_cvt_f16_f32_e64 v147, v142
	v_cndmask_b32_e64 v143, 0x7f800000, v144, s16
	v_sub_f32_e32 v201, v201, v133
	v_cndmask_b32_e64 v144, 0x7f800000, v202, s18
	v_dual_fmac_f32 v204, 0x32a5705f, v148 :: v_dual_add_f32 v199, v200, v199
	v_and_b32_e32 v147, 0xffff, v147
	v_cvt_f16_f32_e64 v202, v143
	s_delay_alu instid0(VALU_DEP_4) | instskip(NEXT) | instid1(VALU_DEP_4)
	v_cvt_f16_f32_e64 v205, v144
	v_dual_add_f32 v201, v201, v204 :: v_dual_mul_f32 v204, 0x3fb8aa3b, v145
	s_delay_alu instid0(VALU_DEP_4)
	v_mul_u32_u24_e32 v200, 0x10001, v147
	v_fma_f32 v147, 0x3fb8aa3b, v146, -v198
	v_and_b32_e32 v148, 0xffff, v202
	v_and_b32_e32 v202, 0xffff, v205
	v_fma_f32 v208, 0x3fb8aa3b, v145, -v204
	v_rndne_f32_e32 v209, v204
	v_fmac_f32_e32 v147, 0x32a5705f, v146
	v_rndne_f32_e32 v146, v198
	v_mul_u32_u24_e32 v205, 0x10001, v148
	v_exp_f32_e32 v148, v199
	v_nop
	v_mul_f32_e32 v199, 0x3fb8aa3b, v149
	v_cvt_i32_f32_e32 v133, v133
	v_sub_f32_e32 v198, v198, v146
	v_fmac_f32_e32 v208, 0x32a5705f, v145
	v_cvt_i32_f32_e32 v146, v146
	v_fma_f32 v206, 0x3fb8aa3b, v149, -v199
	v_rndne_f32_e32 v207, v199
	v_add_f32_e32 v147, v198, v147
	v_exp_f32_e32 v198, v201
	v_mul_u32_u24_e32 v202, 0x10001, v202
	s_delay_alu instid0(VALU_DEP_3) | instskip(SKIP_3) | instid1(TRANS32_DEP_2)
	v_dual_fmac_f32 v206, 0x32a5705f, v149 :: v_dual_sub_f32 v149, v199, v207
	v_sub_f32_e32 v145, v204, v209
	v_exp_f32_e32 v147, v147
	v_cvt_i32_f32_e32 v199, v203
	v_ldexp_f32 v133, v198, v133
	v_add_f32_e32 v149, v149, v206
	v_add_f32_e32 v145, v145, v208
	v_cvt_i32_f32_e32 v201, v207
	v_cvt_i32_f32_e32 v203, v209
	v_cndmask_b32_e64 v133, 0, v133, s10
	v_exp_f32_e32 v149, v149
	v_exp_f32_e32 v145, v145
	v_ldexp_f32 v148, v148, v199
	v_ldexp_f32 v146, v147, v146
	v_dual_lshrrev_b32 v206, 16, v109 :: v_dual_lshrrev_b32 v204, 16, v108
	v_lshrrev_b32_e32 v207, 16, v110
	s_delay_alu instid0(TRANS32_DEP_2) | instskip(NEXT) | instid1(TRANS32_DEP_1)
	v_ldexp_f32 v147, v149, v201
	v_ldexp_f32 v145, v145, v203
	v_dual_cndmask_b32 v148, 0, v148, s7 :: v_dual_cndmask_b32 v149, 0, v146, s12
	v_cndmask_b32_e64 v146, 0x7f800000, v133, s8
	s_delay_alu instid0(VALU_DEP_3) | instskip(NEXT) | instid1(VALU_DEP_3)
	v_dual_cndmask_b32 v198, 0, v147, s13 :: v_dual_cndmask_b32 v199, 0, v145, s15
	v_cndmask_b32_e32 v145, 0x7f800000, v148, vcc_lo
	s_delay_alu instid0(VALU_DEP_4) | instskip(SKIP_1) | instid1(VALU_DEP_4)
	v_cndmask_b32_e64 v147, 0x7f800000, v149, s9
	v_and_b32_e32 v108, 0xffff, v108
	v_cndmask_b32_e64 v148, 0x7f800000, v198, s11
	v_cndmask_b32_e64 v149, 0x7f800000, v199, s17
	v_cvt_f16_f32_e64 v133, v145
	v_cvt_f16_f32_e64 v198, v146
	;; [unrolled: 1-line block ×5, first 2 shown]
	v_and_b32_e32 v133, 0xffff, v133
	v_and_b32_e32 v198, 0xffff, v198
	;; [unrolled: 1-line block ×5, first 2 shown]
	v_mul_u32_u24_e32 v133, 0x10001, v133
	v_mul_u32_u24_e32 v198, 0x10001, v198
	;; [unrolled: 1-line block ×5, first 2 shown]
	v_dual_lshrrev_b32 v208, 16, v111 :: v_dual_lshrrev_b32 v209, 16, v104
	v_and_b32_e32 v109, 0xffff, v109
	v_mul_u32_u24_e32 v108, 0x10001, v108
	v_and_b32_e32 v110, 0xffff, v110
	v_and_b32_e32 v111, 0xffff, v111
	v_and_b32_e32 v104, 0xffff, v104
	v_pk_mul_f16 v174, v174, v200
	v_mul_u32_u24_e32 v204, 0x10001, v204
	v_mul_u32_u24_e32 v109, 0x10001, v109
	v_mul_u32_u24_e32 v206, 0x10001, v206
	v_mul_u32_u24_e32 v110, 0x10001, v110
	v_mul_u32_u24_e32 v207, 0x10001, v207
	v_mul_u32_u24_e32 v111, 0x10001, v111
	v_mul_u32_u24_e32 v208, 0x10001, v208
	v_mul_u32_u24_e32 v104, 0x10001, v104
	v_and_b32_e32 v100, 0xffff, v100
	v_pk_mul_f16 v175, v175, v200
	v_pk_mul_f16 v172, v172, v205
	;; [unrolled: 1-line block ×15, first 2 shown]
	v_pk_fma_f16 v168, v44, v108, v174
	v_mul_u32_u24_e32 v209, 0x10001, v209
	v_mul_u32_u24_e32 v105, 0x10001, v105
	v_mul_u32_u24_e32 v210, 0x10001, v210
	v_mul_u32_u24_e32 v106, 0x10001, v106
	v_mul_u32_u24_e32 v211, 0x10001, v211
	v_mul_u32_u24_e32 v107, 0x10001, v107
	v_mul_u32_u24_e32 v212, 0x10001, v212
	v_dual_lshrrev_b32 v214, 16, v101 :: v_dual_lshrrev_b32 v215, 16, v102
	v_dual_lshrrev_b32 v216, 16, v103 :: v_dual_lshrrev_b32 v217, 16, v96
	v_and_b32_e32 v101, 0xffff, v101
	v_mul_u32_u24_e32 v100, 0x10001, v100
	v_and_b32_e32 v102, 0xffff, v102
	v_and_b32_e32 v103, 0xffff, v103
	v_and_b32_e32 v96, 0xffff, v96
	v_pk_fma_f16 v172, v44, v204, v172
	v_pk_fma_f16 v170, v44, v109, v170
	v_pk_fma_f16 v167, v44, v206, v167
	v_pk_fma_f16 v165, v44, v110, v165
	v_pk_fma_f16 v163, v44, v207, v163
	v_pk_fma_f16 v161, v44, v111, v161
	v_pk_fma_f16 v44, v44, v208, v159
	v_pk_fma_f16 v108, v45, v108, v175
	v_pk_fma_f16 v159, v45, v204, v173
	v_pk_fma_f16 v109, v45, v109, v171
	v_pk_fma_f16 v133, v45, v206, v133
	v_pk_fma_f16 v110, v45, v110, v166
	v_pk_fma_f16 v164, v45, v207, v164
	v_pk_fma_f16 v111, v45, v111, v162
	v_pk_fma_f16 v45, v45, v208, v160
	v_pk_fma_f16 v160, v46, v104, v168
	v_mul_u32_u24_e32 v213, 0x10001, v213
	v_mul_u32_u24_e32 v101, 0x10001, v101
	v_mul_u32_u24_e32 v214, 0x10001, v214
	v_mul_u32_u24_e32 v102, 0x10001, v102
	v_mul_u32_u24_e32 v215, 0x10001, v215
	v_mul_u32_u24_e32 v103, 0x10001, v103
	v_mul_u32_u24_e32 v216, 0x10001, v216
	v_dual_lshrrev_b32 v218, 16, v97 :: v_dual_lshrrev_b32 v219, 16, v98
	v_dual_lshrrev_b32 v220, 16, v99 :: v_dual_lshrrev_b32 v221, 16, v92
	v_and_b32_e32 v97, 0xffff, v97
	v_mul_u32_u24_e32 v96, 0x10001, v96
	v_and_b32_e32 v98, 0xffff, v98
	v_and_b32_e32 v99, 0xffff, v99
	v_and_b32_e32 v92, 0xffff, v92
	v_pk_fma_f16 v162, v46, v209, v172
	v_pk_fma_f16 v166, v46, v105, v170
	v_pk_fma_f16 v167, v46, v210, v167
	v_pk_fma_f16 v165, v46, v106, v165
	v_pk_fma_f16 v163, v46, v211, v163
	v_pk_fma_f16 v161, v46, v107, v161
	v_pk_fma_f16 v44, v46, v212, v44
	v_pk_fma_f16 v46, v47, v104, v108
	v_pk_fma_f16 v104, v47, v209, v159
	v_pk_fma_f16 v105, v47, v105, v109
	v_pk_fma_f16 v108, v47, v210, v133
	v_pk_fma_f16 v106, v47, v106, v110
	v_pk_fma_f16 v109, v47, v211, v164
	v_pk_fma_f16 v107, v47, v107, v111
	v_pk_fma_f16 v45, v47, v212, v45
	;; [unrolled: 30-line block ×10, first 2 shown]
	v_pk_fma_f16 v31, v24, v68, v33
	v_mul_u32_u24_e32 v249, 0x10001, v249
	v_mul_u32_u24_e32 v65, 0x10001, v65
	;; [unrolled: 1-line block ×7, first 2 shown]
	v_dual_lshrrev_b32 v254, 16, v61 :: v_dual_lshrrev_b32 v255, 16, v62
	s_set_vgpr_msb 64                       ;  msbs: dst=1 src0=0 src1=0 src2=0
	v_dual_lshrrev_b32 v0 /*v256*/, 16, v63 :: v_dual_lshrrev_b32 v1 /*v257*/, 16, v56
	s_set_vgpr_msb 0                        ;  msbs: dst=0 src0=0 src1=0 src2=0
	v_and_b32_e32 v61, 0xffff, v61
	v_mul_u32_u24_e32 v60, 0x10001, v60
	v_and_b32_e32 v62, 0xffff, v62
	v_and_b32_e32 v63, 0xffff, v63
	;; [unrolled: 1-line block ×3, first 2 shown]
	v_pk_fma_f16 v33, v24, v245, v35
	v_pk_fma_f16 v35, v24, v69, v37
	;; [unrolled: 1-line block ×16, first 2 shown]
	v_mul_u32_u24_e32 v253, 0x10001, v253
	v_mul_u32_u24_e32 v61, 0x10001, v61
	v_mul_u32_u24_e32 v254, 0x10001, v254
	v_mul_u32_u24_e32 v62, 0x10001, v62
	v_mul_u32_u24_e32 v255, 0x10001, v255
	v_mul_u32_u24_e32 v63, 0x10001, v63
	s_set_vgpr_msb 0x44                     ;  msbs: dst=1 src0=0 src1=1 src2=0
	v_mul_u32_u24_e32 v0 /*v256*/, 0x10001, v0 /*v256*/
	s_set_vgpr_msb 64                       ;  msbs: dst=1 src0=0 src1=0 src2=0
	v_dual_lshrrev_b32 v2 /*v258*/, 16, v57 :: v_dual_lshrrev_b32 v3 /*v259*/, 16, v58
	v_dual_lshrrev_b32 v4 /*v260*/, 16, v59 :: v_dual_lshrrev_b32 v5 /*v261*/, 16, v52
	s_set_vgpr_msb 0                        ;  msbs: dst=0 src0=0 src1=0 src2=0
	v_and_b32_e32 v57, 0xffff, v57
	v_mul_u32_u24_e32 v56, 0x10001, v56
	v_and_b32_e32 v58, 0xffff, v58
	v_and_b32_e32 v59, 0xffff, v59
	;; [unrolled: 1-line block ×3, first 2 shown]
	v_pk_fma_f16 v31, v26, v249, v33
	v_pk_fma_f16 v33, v26, v65, v35
	v_pk_fma_f16 v35, v26, v250, v37
	v_pk_fma_f16 v37, v26, v66, v39
	v_pk_fma_f16 v39, v26, v251, v41
	v_pk_fma_f16 v41, v26, v67, v43
	v_pk_fma_f16 v24, v26, v252, v24
	v_pk_fma_f16 v26, v27, v64, v28
	v_pk_fma_f16 v28, v27, v249, v30
	v_pk_fma_f16 v30, v27, v65, v32
	v_pk_fma_f16 v32, v27, v250, v34
	v_pk_fma_f16 v34, v27, v66, v36
	v_pk_fma_f16 v36, v27, v251, v38
	v_pk_fma_f16 v38, v27, v67, v40
	v_pk_fma_f16 v25, v27, v252, v25
	v_pk_fma_f16 v27, v20, v60, v29
	s_set_vgpr_msb 0x44                     ;  msbs: dst=1 src0=0 src1=1 src2=0
	v_mul_u32_u24_e32 v1 /*v257*/, 0x10001, v1 /*v257*/
	s_set_vgpr_msb 0                        ;  msbs: dst=0 src0=0 src1=0 src2=0
	v_mul_u32_u24_e32 v57, 0x10001, v57
	s_set_vgpr_msb 0x44                     ;  msbs: dst=1 src0=0 src1=1 src2=0
	v_mul_u32_u24_e32 v2 /*v258*/, 0x10001, v2 /*v258*/
	s_set_vgpr_msb 0                        ;  msbs: dst=0 src0=0 src1=0 src2=0
	v_mul_u32_u24_e32 v58, 0x10001, v58
	;; [unrolled: 4-line block ×3, first 2 shown]
	s_set_vgpr_msb 0x44                     ;  msbs: dst=1 src0=0 src1=1 src2=0
	v_mul_u32_u24_e32 v4 /*v260*/, 0x10001, v4 /*v260*/
	s_set_vgpr_msb 64                       ;  msbs: dst=1 src0=0 src1=0 src2=0
	v_dual_lshrrev_b32 v6 /*v262*/, 16, v53 :: v_dual_lshrrev_b32 v7 /*v263*/, 16, v54
	v_dual_lshrrev_b32 v8 /*v264*/, 16, v55 :: v_dual_lshrrev_b32 v9 /*v265*/, 16, v48
	s_set_vgpr_msb 0                        ;  msbs: dst=0 src0=0 src1=0 src2=0
	v_and_b32_e32 v53, 0xffff, v53
	v_mul_u32_u24_e32 v52, 0x10001, v52
	v_and_b32_e32 v54, 0xffff, v54
	v_and_b32_e32 v55, 0xffff, v55
	;; [unrolled: 1-line block ×3, first 2 shown]
	v_pk_fma_f16 v29, v20, v253, v31
	v_pk_fma_f16 v31, v20, v61, v33
	;; [unrolled: 1-line block ×6, first 2 shown]
	s_set_vgpr_msb 4                        ;  msbs: dst=0 src0=0 src1=1 src2=0
	v_pk_fma_f16 v20, v20, v0 /*v256*/, v24
	s_set_vgpr_msb 0                        ;  msbs: dst=0 src0=0 src1=0 src2=0
	v_pk_fma_f16 v24, v21, v60, v26
	v_pk_fma_f16 v26, v21, v253, v28
	;; [unrolled: 1-line block ×7, first 2 shown]
	s_set_vgpr_msb 4                        ;  msbs: dst=0 src0=0 src1=1 src2=0
	v_pk_fma_f16 v21, v21, v0 /*v256*/, v25
	s_set_vgpr_msb 0                        ;  msbs: dst=0 src0=0 src1=0 src2=0
	v_pk_fma_f16 v25, v22, v56, v27
	s_set_vgpr_msb 0x44                     ;  msbs: dst=1 src0=0 src1=1 src2=0
	v_mul_u32_u24_e32 v5 /*v261*/, 0x10001, v5 /*v261*/
	s_set_vgpr_msb 0                        ;  msbs: dst=0 src0=0 src1=0 src2=0
	v_mul_u32_u24_e32 v53, 0x10001, v53
	s_set_vgpr_msb 0x44                     ;  msbs: dst=1 src0=0 src1=1 src2=0
	v_mul_u32_u24_e32 v6 /*v262*/, 0x10001, v6 /*v262*/
	s_set_vgpr_msb 0                        ;  msbs: dst=0 src0=0 src1=0 src2=0
	v_mul_u32_u24_e32 v54, 0x10001, v54
	;; [unrolled: 4-line block ×4, first 2 shown]
	s_set_vgpr_msb 4                        ;  msbs: dst=0 src0=0 src1=1 src2=0
	v_pk_fma_f16 v27, v22, v1 /*v257*/, v29
	s_set_vgpr_msb 0                        ;  msbs: dst=0 src0=0 src1=0 src2=0
	v_pk_fma_f16 v29, v22, v57, v31
	s_set_vgpr_msb 4                        ;  msbs: dst=0 src0=0 src1=1 src2=0
	v_pk_fma_f16 v31, v22, v2 /*v258*/, v33
	s_set_vgpr_msb 0                        ;  msbs: dst=0 src0=0 src1=0 src2=0
	v_pk_fma_f16 v33, v22, v58, v35
	;; [unrolled: 4-line block ×16, first 2 shown]
	s_wait_dscnt 0x0
	s_barrier_signal -1
	s_barrier_wait -1
	ds_load_b128 v[20:23], v158 offset:256
	s_set_vgpr_msb 64                       ;  msbs: dst=1 src0=0 src1=0 src2=0
	v_dual_lshrrev_b32 v10 /*v266*/, 16, v49 :: v_dual_lshrrev_b32 v11 /*v267*/, 16, v50
	v_lshrrev_b32_e32 v12 /*v268*/, 16, v51
	s_set_vgpr_msb 0                        ;  msbs: dst=0 src0=0 src1=0 src2=0
	v_and_b32_e32 v49, 0xffff, v49
	v_and_b32_e32 v50, 0xffff, v50
	v_and_b32_e32 v51, 0xffff, v51
	s_set_vgpr_msb 0x44                     ;  msbs: dst=1 src0=0 src1=1 src2=0
	v_mul_u32_u24_e32 v9 /*v265*/, 0x10001, v9 /*v265*/
	v_mul_u32_u24_e32 v10 /*v266*/, 0x10001, v10 /*v266*/
	s_set_vgpr_msb 0                        ;  msbs: dst=0 src0=0 src1=0 src2=0
	v_mul_u32_u24_e32 v49, 0x10001, v49
	v_mul_u32_u24_e32 v50, 0x10001, v50
	s_set_vgpr_msb 0x44                     ;  msbs: dst=1 src0=0 src1=1 src2=0
	v_mul_u32_u24_e32 v11 /*v267*/, 0x10001, v11 /*v267*/
	s_set_vgpr_msb 0                        ;  msbs: dst=0 src0=0 src1=0 src2=0
	v_mul_u32_u24_e32 v51, 0x10001, v51
	s_set_vgpr_msb 0x44                     ;  msbs: dst=1 src0=0 src1=1 src2=0
	v_mul_u32_u24_e32 v12 /*v268*/, 0x10001, v12 /*v268*/
	s_set_vgpr_msb 4                        ;  msbs: dst=0 src0=0 src1=1 src2=0
	v_pk_fma_f16 v38, v18, v9 /*v265*/, v25
	s_set_vgpr_msb 0                        ;  msbs: dst=0 src0=0 src1=0 src2=0
	v_pk_fma_f16 v39, v18, v49, v27
	s_set_vgpr_msb 4                        ;  msbs: dst=0 src0=0 src1=1 src2=0
	v_pk_fma_f16 v40, v18, v10 /*v266*/, v29
	s_set_vgpr_msb 0                        ;  msbs: dst=0 src0=0 src1=0 src2=0
	v_pk_fma_f16 v41, v18, v50, v31
	;; [unrolled: 4-line block ×7, first 2 shown]
	s_set_vgpr_msb 4                        ;  msbs: dst=0 src0=0 src1=1 src2=0
	v_pk_fma_f16 v51, v19, v12 /*v268*/, v17
	ds_load_2addr_b64 v[16:19], v197 offset1:24
	ds_load_b128 v[24:27], v158 offset:272
	ds_load_b128 v[28:31], v158 offset:288
	ds_load_b128 v[32:35], v158 offset:304
	s_wait_dscnt 0x4
	s_set_vgpr_msb 0                        ;  msbs: dst=0 src0=0 src1=0 src2=0
	v_dual_lshrrev_b32 v52, 16, v20 :: v_dual_lshrrev_b32 v53, 16, v21
	v_and_b32_e32 v20, 0xffff, v20
	v_dual_lshrrev_b32 v54, 16, v22 :: v_dual_lshrrev_b32 v55, 16, v23
	v_and_b32_e32 v21, 0xffff, v21
	v_and_b32_e32 v22, 0xffff, v22
	;; [unrolled: 1-line block ×3, first 2 shown]
	v_mul_u32_u24_e32 v20, 0x10001, v20
	v_mul_u32_u24_e32 v52, 0x10001, v52
	;; [unrolled: 1-line block ×8, first 2 shown]
	s_wait_dscnt 0x3
	v_pk_fma_f16 v37, v16, v20, v37
	v_pk_fma_f16 v38, v16, v52, v38
	;; [unrolled: 1-line block ×15, first 2 shown]
	s_wait_dscnt 0x2
	v_dual_lshrrev_b32 v23, 16, v24 :: v_dual_lshrrev_b32 v47, 16, v25
	v_and_b32_e32 v24, 0xffff, v24
	v_dual_lshrrev_b32 v48, 16, v26 :: v_dual_lshrrev_b32 v49, 16, v27
	v_and_b32_e32 v25, 0xffff, v25
	v_and_b32_e32 v26, 0xffff, v26
	;; [unrolled: 1-line block ×3, first 2 shown]
	v_mul_u32_u24_e32 v24, 0x10001, v24
	v_mul_u32_u24_e32 v23, 0x10001, v23
	;; [unrolled: 1-line block ×8, first 2 shown]
	v_pk_fma_f16 v37, v18, v24, v37
	v_pk_fma_f16 v38, v18, v23, v38
	;; [unrolled: 1-line block ×12, first 2 shown]
	ds_load_2addr_b64 v[20:23], v197 offset0:48 offset1:72
	v_pk_fma_f16 v17, v17, v55, v51
	v_pk_fma_f16 v36, v19, v47, v44
	;; [unrolled: 1-line block ×4, first 2 shown]
	s_wait_dscnt 0x2
	v_lshrrev_b32_e32 v45, 16, v29
	v_pk_fma_f16 v17, v19, v49, v17
	v_lshrrev_b32_e32 v19, 16, v28
	v_and_b32_e32 v28, 0xffff, v28
	v_dual_lshrrev_b32 v46, 16, v30 :: v_dual_lshrrev_b32 v47, 16, v31
	v_and_b32_e32 v29, 0xffff, v29
	v_and_b32_e32 v30, 0xffff, v30
	;; [unrolled: 1-line block ×3, first 2 shown]
	v_mul_u32_u24_e32 v28, 0x10001, v28
	v_mul_u32_u24_e32 v19, 0x10001, v19
	;; [unrolled: 1-line block ×8, first 2 shown]
	s_wait_dscnt 0x0
	v_pk_fma_f16 v37, v20, v28, v37
	v_pk_fma_f16 v38, v20, v19, v38
	;; [unrolled: 1-line block ×16, first 2 shown]
	v_dual_lshrrev_b32 v16, 16, v32 :: v_dual_lshrrev_b32 v18, 16, v33
	v_and_b32_e32 v17, 0xffff, v32
	v_dual_lshrrev_b32 v19, 16, v34 :: v_dual_lshrrev_b32 v27, 16, v35
	v_and_b32_e32 v32, 0xffff, v33
	v_pk_fma_f32 v[6:7], v[6:7], v[148:149], v[140:141]
	s_delay_alu instid0(VALU_DEP_4)
	v_mul_u32_u24_e32 v33, 0x10001, v17
	v_and_b32_e32 v17, 0xffff, v34
	v_mul_u32_u24_e32 v34, 0x10001, v16
	v_and_b32_e32 v16, 0xffff, v35
	v_mul_u32_u24_e32 v35, 0x10001, v18
	v_mul_u32_u24_e32 v44, 0x10001, v19
	;; [unrolled: 1-line block ×5, first 2 shown]
	ds_load_b128 v[16:19], v158 offset:320
	v_mul_u32_u24_e32 v46, 0x10001, v27
	v_pk_fma_f16 v37, v22, v33, v37
	v_pk_fma_f16 v38, v22, v34, v38
	v_pk_fma_f16 v39, v22, v32, v39
	v_pk_fma_f16 v40, v22, v35, v40
	v_pk_fma_f16 v41, v22, v36, v41
	v_pk_fma_f16 v42, v22, v44, v42
	v_pk_fma_f16 v43, v22, v45, v43
	v_pk_fma_f16 v47, v22, v46, v20
	v_pk_fma_f16 v28, v23, v33, v28
	v_pk_fma_f16 v33, v23, v34, v24
	v_pk_fma_f16 v32, v23, v32, v25
	v_pk_fma_f16 v29, v23, v35, v29
	v_pk_fma_f16 v34, v23, v36, v26
	v_pk_fma_f16 v30, v23, v44, v30
	ds_load_2addr_b64 v[24:27], v197 offset0:96 offset1:120
	v_pk_fma_f16 v31, v23, v45, v31
	v_pk_fma_f16 v35, v23, v46, v21
	ds_load_b128 v[20:23], v158 offset:336
	s_wait_dscnt 0x2
	v_dual_lshrrev_b32 v36, 16, v16 :: v_dual_lshrrev_b32 v44, 16, v17
	v_and_b32_e32 v16, 0xffff, v16
	v_and_b32_e32 v17, 0xffff, v17
	v_dual_lshrrev_b32 v45, 16, v18 :: v_dual_lshrrev_b32 v46, 16, v19
	v_and_b32_e32 v18, 0xffff, v18
	s_delay_alu instid0(VALU_DEP_4)
	v_mul_u32_u24_e32 v16, 0x10001, v16
	v_and_b32_e32 v19, 0xffff, v19
	v_mul_u32_u24_e32 v17, 0x10001, v17
	v_mul_u32_u24_e32 v36, 0x10001, v36
	;; [unrolled: 1-line block ×7, first 2 shown]
	s_wait_dscnt 0x1
	v_pk_fma_f16 v37, v24, v16, v37
	v_pk_fma_f16 v39, v24, v17, v39
	;; [unrolled: 1-line block ×4, first 2 shown]
	s_wait_dscnt 0x0
	v_lshrrev_b32_e32 v16, 16, v20
	v_and_b32_e32 v17, 0xffff, v20
	v_pk_fma_f16 v41, v24, v18, v41
	v_pk_fma_f16 v43, v24, v19, v43
	;; [unrolled: 1-line block ×8, first 2 shown]
	v_dual_lshrrev_b32 v18, 16, v21 :: v_dual_lshrrev_b32 v19, 16, v22
	v_lshrrev_b32_e32 v20, 16, v23
	v_mul_u32_u24_e32 v35, 0x10001, v17
	v_and_b32_e32 v17, 0xffff, v22
	v_mul_u32_u24_e32 v22, 0x10001, v16
	v_and_b32_e32 v16, 0xffff, v23
	v_pk_fma_f16 v38, v24, v36, v38
	v_pk_fma_f16 v40, v24, v44, v40
	;; [unrolled: 1-line block ×3, first 2 shown]
	v_and_b32_e32 v21, 0xffff, v21
	v_mul_u32_u24_e32 v23, 0x10001, v18
	v_mul_u32_u24_e32 v36, 0x10001, v17
	;; [unrolled: 1-line block ×4, first 2 shown]
	ds_load_b128 v[16:19], v158 offset:352
	v_pk_fma_f16 v24, v24, v46, v47
	v_mul_u32_u24_e32 v21, 0x10001, v21
	v_mul_u32_u24_e32 v46, 0x10001, v20
	v_pk_fma_f16 v37, v26, v35, v37
	v_pk_fma_f16 v38, v26, v22, v38
	;; [unrolled: 1-line block ×14, first 2 shown]
	ds_load_2addr_b64 v[20:23], v197 offset0:144 offset1:168
	v_pk_fma_f16 v31, v27, v45, v31
	v_pk_fma_f16 v35, v27, v46, v25
	ds_load_b128 v[24:27], v158 offset:368
	s_wait_dscnt 0x2
	v_dual_lshrrev_b32 v36, 16, v16 :: v_dual_lshrrev_b32 v44, 16, v17
	v_and_b32_e32 v16, 0xffff, v16
	v_and_b32_e32 v17, 0xffff, v17
	v_dual_lshrrev_b32 v45, 16, v18 :: v_dual_lshrrev_b32 v46, 16, v19
	v_and_b32_e32 v18, 0xffff, v18
	s_delay_alu instid0(VALU_DEP_4)
	v_mul_u32_u24_e32 v16, 0x10001, v16
	v_and_b32_e32 v19, 0xffff, v19
	v_mul_u32_u24_e32 v17, 0x10001, v17
	v_mul_u32_u24_e32 v36, 0x10001, v36
	;; [unrolled: 1-line block ×7, first 2 shown]
	s_wait_dscnt 0x1
	v_pk_fma_f16 v37, v20, v16, v37
	v_pk_fma_f16 v39, v20, v17, v39
	;; [unrolled: 1-line block ×4, first 2 shown]
	s_wait_dscnt 0x0
	v_lshrrev_b32_e32 v16, 16, v24
	v_and_b32_e32 v17, 0xffff, v24
	v_pk_fma_f16 v41, v20, v18, v41
	v_pk_fma_f16 v43, v20, v19, v43
	;; [unrolled: 1-line block ×8, first 2 shown]
	v_dual_lshrrev_b32 v18, 16, v25 :: v_dual_lshrrev_b32 v19, 16, v26
	v_lshrrev_b32_e32 v24, 16, v27
	v_mul_u32_u24_e32 v35, 0x10001, v17
	v_and_b32_e32 v17, 0xffff, v26
	v_mul_u32_u24_e32 v26, 0x10001, v16
	v_and_b32_e32 v16, 0xffff, v27
	v_pk_fma_f16 v38, v20, v36, v38
	v_pk_fma_f16 v40, v20, v44, v40
	;; [unrolled: 1-line block ×3, first 2 shown]
	v_and_b32_e32 v25, 0xffff, v25
	v_mul_u32_u24_e32 v27, 0x10001, v18
	v_mul_u32_u24_e32 v36, 0x10001, v17
	v_mul_u32_u24_e32 v44, 0x10001, v19
	v_mul_u32_u24_e32 v45, 0x10001, v16
	ds_load_b128 v[16:19], v158 offset:384
	v_pk_fma_f16 v20, v20, v46, v47
	v_mul_u32_u24_e32 v25, 0x10001, v25
	v_mul_u32_u24_e32 v46, 0x10001, v24
	v_pk_fma_f16 v37, v22, v35, v37
	v_pk_fma_f16 v38, v22, v26, v38
	;; [unrolled: 1-line block ×14, first 2 shown]
	ds_load_2addr_b64 v[24:27], v197 offset0:192 offset1:216
	v_pk_fma_f16 v31, v23, v45, v31
	v_pk_fma_f16 v35, v23, v46, v21
	ds_load_b128 v[20:23], v158 offset:400
	s_wait_dscnt 0x2
	v_dual_lshrrev_b32 v36, 16, v16 :: v_dual_lshrrev_b32 v44, 16, v17
	v_and_b32_e32 v16, 0xffff, v16
	v_and_b32_e32 v17, 0xffff, v17
	v_dual_lshrrev_b32 v45, 16, v18 :: v_dual_lshrrev_b32 v46, 16, v19
	v_and_b32_e32 v18, 0xffff, v18
	s_delay_alu instid0(VALU_DEP_4)
	v_mul_u32_u24_e32 v16, 0x10001, v16
	v_and_b32_e32 v19, 0xffff, v19
	v_mul_u32_u24_e32 v17, 0x10001, v17
	v_mul_u32_u24_e32 v36, 0x10001, v36
	;; [unrolled: 1-line block ×7, first 2 shown]
	s_wait_dscnt 0x1
	v_pk_fma_f16 v37, v24, v16, v37
	v_pk_fma_f16 v39, v24, v17, v39
	;; [unrolled: 1-line block ×4, first 2 shown]
	s_wait_dscnt 0x0
	v_lshrrev_b32_e32 v16, 16, v20
	v_and_b32_e32 v17, 0xffff, v20
	v_pk_fma_f16 v41, v24, v18, v41
	v_pk_fma_f16 v43, v24, v19, v43
	;; [unrolled: 1-line block ×8, first 2 shown]
	v_dual_lshrrev_b32 v18, 16, v21 :: v_dual_lshrrev_b32 v19, 16, v22
	v_lshrrev_b32_e32 v20, 16, v23
	v_mul_u32_u24_e32 v35, 0x10001, v17
	v_and_b32_e32 v17, 0xffff, v22
	v_mul_u32_u24_e32 v22, 0x10001, v16
	v_and_b32_e32 v16, 0xffff, v23
	v_pk_fma_f16 v38, v24, v36, v38
	v_pk_fma_f16 v40, v24, v44, v40
	;; [unrolled: 1-line block ×3, first 2 shown]
	v_and_b32_e32 v21, 0xffff, v21
	v_mul_u32_u24_e32 v23, 0x10001, v18
	v_mul_u32_u24_e32 v36, 0x10001, v17
	;; [unrolled: 1-line block ×4, first 2 shown]
	ds_load_b128 v[16:19], v158 offset:416
	v_pk_fma_f16 v24, v24, v46, v47
	v_mul_u32_u24_e32 v21, 0x10001, v21
	v_mul_u32_u24_e32 v46, 0x10001, v20
	v_pk_fma_f16 v37, v26, v35, v37
	v_pk_fma_f16 v38, v26, v22, v38
	;; [unrolled: 1-line block ×14, first 2 shown]
	ds_load_2addr_b64 v[20:23], v196 offset0:112 offset1:136
	v_pk_fma_f16 v31, v27, v45, v31
	v_pk_fma_f16 v35, v27, v46, v25
	ds_load_b128 v[24:27], v158 offset:432
	s_wait_dscnt 0x2
	v_dual_lshrrev_b32 v36, 16, v16 :: v_dual_lshrrev_b32 v44, 16, v17
	v_and_b32_e32 v16, 0xffff, v16
	v_and_b32_e32 v17, 0xffff, v17
	v_dual_lshrrev_b32 v45, 16, v18 :: v_dual_lshrrev_b32 v46, 16, v19
	v_and_b32_e32 v18, 0xffff, v18
	s_delay_alu instid0(VALU_DEP_4)
	v_mul_u32_u24_e32 v16, 0x10001, v16
	v_and_b32_e32 v19, 0xffff, v19
	v_mul_u32_u24_e32 v17, 0x10001, v17
	v_mul_u32_u24_e32 v36, 0x10001, v36
	;; [unrolled: 1-line block ×7, first 2 shown]
	s_wait_dscnt 0x1
	v_pk_fma_f16 v37, v20, v16, v37
	v_pk_fma_f16 v39, v20, v17, v39
	;; [unrolled: 1-line block ×4, first 2 shown]
	s_wait_dscnt 0x0
	v_lshrrev_b32_e32 v16, 16, v24
	v_and_b32_e32 v17, 0xffff, v24
	v_pk_fma_f16 v41, v20, v18, v41
	v_pk_fma_f16 v43, v20, v19, v43
	;; [unrolled: 1-line block ×8, first 2 shown]
	v_dual_lshrrev_b32 v18, 16, v25 :: v_dual_lshrrev_b32 v19, 16, v26
	v_lshrrev_b32_e32 v24, 16, v27
	v_mul_u32_u24_e32 v35, 0x10001, v17
	v_and_b32_e32 v17, 0xffff, v26
	v_mul_u32_u24_e32 v26, 0x10001, v16
	v_and_b32_e32 v16, 0xffff, v27
	v_pk_fma_f16 v38, v20, v36, v38
	v_pk_fma_f16 v40, v20, v44, v40
	v_pk_fma_f16 v42, v20, v45, v42
	v_and_b32_e32 v25, 0xffff, v25
	v_mul_u32_u24_e32 v27, 0x10001, v18
	v_mul_u32_u24_e32 v36, 0x10001, v17
	;; [unrolled: 1-line block ×4, first 2 shown]
	ds_load_b128 v[16:19], v158 offset:448
	v_pk_fma_f16 v20, v20, v46, v47
	v_mul_u32_u24_e32 v25, 0x10001, v25
	v_mul_u32_u24_e32 v46, 0x10001, v24
	v_pk_fma_f16 v37, v22, v35, v37
	v_pk_fma_f16 v38, v22, v26, v38
	;; [unrolled: 1-line block ×14, first 2 shown]
	ds_load_2addr_b64 v[24:27], v195 offset0:32 offset1:56
	v_pk_fma_f16 v31, v23, v45, v31
	v_pk_fma_f16 v35, v23, v46, v21
	ds_load_b128 v[20:23], v158 offset:464
	s_wait_dscnt 0x2
	v_dual_lshrrev_b32 v36, 16, v16 :: v_dual_lshrrev_b32 v44, 16, v17
	v_and_b32_e32 v16, 0xffff, v16
	v_and_b32_e32 v17, 0xffff, v17
	v_dual_lshrrev_b32 v45, 16, v18 :: v_dual_lshrrev_b32 v46, 16, v19
	v_and_b32_e32 v18, 0xffff, v18
	s_delay_alu instid0(VALU_DEP_4)
	v_mul_u32_u24_e32 v16, 0x10001, v16
	v_and_b32_e32 v19, 0xffff, v19
	v_mul_u32_u24_e32 v17, 0x10001, v17
	v_mul_u32_u24_e32 v36, 0x10001, v36
	;; [unrolled: 1-line block ×7, first 2 shown]
	s_wait_dscnt 0x1
	v_pk_fma_f16 v37, v24, v16, v37
	v_pk_fma_f16 v39, v24, v17, v39
	;; [unrolled: 1-line block ×4, first 2 shown]
	s_wait_dscnt 0x0
	v_lshrrev_b32_e32 v16, 16, v20
	v_and_b32_e32 v17, 0xffff, v20
	v_pk_fma_f16 v41, v24, v18, v41
	v_pk_fma_f16 v43, v24, v19, v43
	;; [unrolled: 1-line block ×8, first 2 shown]
	v_dual_lshrrev_b32 v18, 16, v21 :: v_dual_lshrrev_b32 v19, 16, v22
	v_lshrrev_b32_e32 v20, 16, v23
	v_mul_u32_u24_e32 v35, 0x10001, v17
	v_and_b32_e32 v17, 0xffff, v22
	v_mul_u32_u24_e32 v22, 0x10001, v16
	v_and_b32_e32 v16, 0xffff, v23
	v_pk_fma_f16 v38, v24, v36, v38
	v_pk_fma_f16 v40, v24, v44, v40
	;; [unrolled: 1-line block ×3, first 2 shown]
	v_and_b32_e32 v21, 0xffff, v21
	v_mul_u32_u24_e32 v23, 0x10001, v18
	v_mul_u32_u24_e32 v36, 0x10001, v17
	;; [unrolled: 1-line block ×4, first 2 shown]
	ds_load_b128 v[16:19], v158 offset:480
	v_pk_fma_f16 v24, v24, v46, v47
	v_mul_u32_u24_e32 v21, 0x10001, v21
	v_mul_u32_u24_e32 v46, 0x10001, v20
	v_pk_fma_f16 v37, v26, v35, v37
	v_pk_fma_f16 v38, v26, v22, v38
	;; [unrolled: 1-line block ×14, first 2 shown]
	ds_load_2addr_b64 v[20:23], v195 offset0:80 offset1:104
	v_pk_fma_f16 v31, v27, v45, v31
	v_pk_fma_f16 v35, v27, v46, v25
	ds_load_b128 v[24:27], v158 offset:496
	s_wait_dscnt 0x0
	s_barrier_signal -1
	s_barrier_wait -1
	s_load_b32 s7, s[52:53], 0x4
	v_dual_lshrrev_b32 v36, 16, v16 :: v_dual_lshrrev_b32 v44, 16, v17
	v_and_b32_e32 v16, 0xffff, v16
	v_dual_lshrrev_b32 v45, 16, v18 :: v_dual_lshrrev_b32 v46, 16, v19
	v_and_b32_e32 v17, 0xffff, v17
	v_and_b32_e32 v18, 0xffff, v18
	;; [unrolled: 1-line block ×3, first 2 shown]
	v_mul_u32_u24_e32 v16, 0x10001, v16
	v_mul_u32_u24_e32 v36, 0x10001, v36
	v_mul_u32_u24_e32 v17, 0x10001, v17
	v_mul_u32_u24_e32 v18, 0x10001, v18
	v_mul_u32_u24_e32 v19, 0x10001, v19
	v_mul_u32_u24_e32 v44, 0x10001, v44
	v_mul_u32_u24_e32 v45, 0x10001, v45
	v_mul_u32_u24_e32 v46, 0x10001, v46
	v_pk_fma_f16 v37, v20, v16, v37
	v_pk_fma_f16 v39, v20, v17, v39
	;; [unrolled: 1-line block ×9, first 2 shown]
	v_dual_lshrrev_b32 v31, 16, v24 :: v_dual_lshrrev_b32 v32, 16, v25
	v_and_b32_e32 v24, 0xffff, v24
	v_and_b32_e32 v25, 0xffff, v25
	v_dual_lshrrev_b32 v33, 16, v26 :: v_dual_lshrrev_b32 v34, 16, v27
	v_and_b32_e32 v26, 0xffff, v26
	v_and_b32_e32 v27, 0xffff, v27
	v_pk_fma_f16 v38, v20, v36, v38
	v_pk_fma_f16 v40, v20, v44, v40
	;; [unrolled: 1-line block ×7, first 2 shown]
	v_mul_u32_u24_e32 v24, 0x10001, v24
	v_mul_u32_u24_e32 v31, 0x10001, v31
	;; [unrolled: 1-line block ×8, first 2 shown]
	s_wait_kmcnt 0x0
	s_lshl_b32 s7, s7, 5
	v_pk_fma_f32 v[4:5], v[4:5], v[146:147], v[138:139]
	v_pk_fma_f32 v[2:3], v[2:3], v[144:145], v[136:137]
	;; [unrolled: 1-line block ×3, first 2 shown]
	v_pk_fma_f16 v174, v22, v24, v37
	v_pk_fma_f16 v172, v22, v31, v38
	;; [unrolled: 1-line block ×16, first 2 shown]
	s_add_co_i32 s42, s7, s42
	s_delay_alu instid0(SALU_CYCLE_1)
	s_cmp_lt_i32 s42, s56
	s_cbranch_scc0 .LBB52_59
; %bb.57:                               ;   in Loop: Header=BB52_24 Depth=1
	v_dual_mov_b32 v16, v8 :: v_dual_mov_b32 v17, v9
	v_dual_mov_b32 v21, v10 :: v_dual_mov_b32 v20, v11
	;; [unrolled: 1-line block ×4, first 2 shown]
	s_branch .LBB52_24
.LBB52_58:
	v_dual_mov_b32 v8, 0xfeffffff :: v_dual_mov_b32 v7, 0
	v_dual_mov_b32 v172, 0 :: v_dual_mov_b32 v173, 0
	;; [unrolled: 1-line block ×3, first 2 shown]
	s_delay_alu instid0(VALU_DEP_3)
	v_dual_mov_b32 v9, v8 :: v_dual_mov_b32 v10, v8
	v_dual_mov_b32 v11, v8 :: v_dual_mov_b32 v12, v8
	;; [unrolled: 1-line block ×13, first 2 shown]
.LBB52_59:
	s_cmp_gt_i32 s46, s42
	s_cbranch_scc1 .LBB52_62
; %bb.60:
	v_mbcnt_lo_u32_b32 v16, -1, 0
	v_mov_b64_e32 v[30:31], v[6:7]
	v_mov_b64_e32 v[28:29], v[4:5]
	;; [unrolled: 1-line block ×4, first 2 shown]
	v_dual_mov_b32 v67, 32 :: v_dual_bitop2_b32 v72, 16, v16 bitop3:0x14
	v_xor_b32_e32 v71, 8, v16
	v_xor_b32_e32 v70, 4, v16
	v_xor_b32_e32 v69, 2, v16
	v_xor_b32_e32 v68, 1, v16
	s_cbranch_execz .LBB52_63
; %bb.61:
	v_mov_b32_e32 v157, v16
	s_branch .LBB52_120
.LBB52_62:
                                        ; implicit-def: $vgpr16
                                        ; implicit-def: $vgpr67
                                        ; implicit-def: $vgpr72
                                        ; implicit-def: $vgpr71
                                        ; implicit-def: $vgpr70
                                        ; implicit-def: $vgpr69
                                        ; implicit-def: $vgpr68
                                        ; implicit-def: $vgpr24_vgpr25_vgpr26_vgpr27_vgpr28_vgpr29_vgpr30_vgpr31
.LBB52_63:
	v_lshl_add_u32 v22, v169, 4, v181
	s_ashr_i32 s43, s42, 31
	s_ashr_i32 s49, s48, 31
	v_dual_mov_b32 v18, 0 :: v_dual_lshlrev_b32 v19, 20, v157
	s_delay_alu instid0(VALU_DEP_2)
	v_mul_lo_u32 v16, s48, v22
	s_mul_u64 s[4:5], s[42:43], s[48:49]
	v_mul_u32_u24_e32 v23, 0x70, v22
	v_lshlrev_b32_e32 v32, 2, v120
	s_lshl_b64 s[4:5], s[4:5], 2
	v_add_nc_u64_e32 v[20:21], src_flat_scratch_base_lo, v[18:19]
	s_add_nc_u64 s[6:7], s[50:51], s[4:5]
	v_cmp_gt_u32_e64 s4, 32, v22
	v_add3_u32 v19, v23, v32, 0x4040
	s_sub_co_i32 s8, s46, s42
	s_delay_alu instid0(SALU_CYCLE_1) | instskip(SKIP_1) | instid1(VALU_DEP_1)
	v_cmp_gt_i32_e32 vcc_lo, s8, v22
	v_ashrrev_i32_e32 v17, 31, v16
	v_lshl_add_u64 v[34:35], v[16:17], 2, s[6:7]
	s_and_saveexec_b32 s3, s4
	s_cbranch_execz .LBB52_65
; %bb.64:
	v_mov_b32_e32 v16, 0
	s_delay_alu instid0(VALU_DEP_1) | instskip(NEXT) | instid1(VALU_DEP_1)
	v_mov_b32_e32 v33, v16
	v_add_nc_u64_e32 v[22:23], v[34:35], v[32:33]
	s_delay_alu instid0(VALU_DEP_1) | instskip(NEXT) | instid1(VALU_DEP_1)
	v_add_nc_u64_e32 v[22:23], 64, v[22:23]
	v_dual_cndmask_b32 v23, v21, v23, vcc_lo :: v_dual_mov_b32 v17, v16
	v_mov_b32_e32 v18, v16
	s_delay_alu instid0(VALU_DEP_3)
	v_cndmask_b32_e32 v22, v20, v22, vcc_lo
	s_clause 0x1
	scratch_store_b32 off, v16, off
	scratch_store_b96 off, v[16:18], off offset:4
	flat_load_b128 v[22:25], v[22:23]
	s_wait_loadcnt_dscnt 0x0
	ds_store_b128 v19, v[22:25]
.LBB52_65:
	s_wait_xcnt 0x0
	s_or_b32 exec_lo, exec_lo, s3
	v_dual_add_nc_u32 v66, v180, v155 :: v_dual_lshlrev_b32 v56, 2, v118
	v_mov_b32_e32 v16, 0
	s_delay_alu instid0(VALU_DEP_2) | instskip(SKIP_3) | instid1(VALU_DEP_3)
	v_mul_lo_u32 v24, s48, v66
	v_mul_u32_u24_e32 v17, 0x70, v66
	v_cmp_gt_u32_e64 s5, 32, v66
	v_cmp_gt_i32_e64 s3, s8, v66
	v_add3_u32 v22, v17, v56, 0x4000
	v_ashrrev_i32_e32 v25, 31, v24
	s_delay_alu instid0(VALU_DEP_1)
	v_lshl_add_u64 v[36:37], v[24:25], 2, s[6:7]
	s_and_saveexec_b32 s6, s5
	s_cbranch_execz .LBB52_67
; %bb.66:
	v_dual_mov_b32 v57, v16 :: v_dual_mov_b32 v17, v16
	s_delay_alu instid0(VALU_DEP_1) | instskip(NEXT) | instid1(VALU_DEP_1)
	v_add_nc_u64_e32 v[24:25], v[36:37], v[56:57]
	v_dual_mov_b32 v18, v16 :: v_dual_cndmask_b32 v25, v21, v25, s3
	s_delay_alu instid0(VALU_DEP_2)
	v_cndmask_b32_e64 v24, v20, v24, s3
	s_clause 0x1
	scratch_store_b32 off, v16, off
	scratch_store_b96 off, v[16:18], off offset:4
	flat_load_b128 v[24:27], v[24:25]
	s_wait_loadcnt_dscnt 0x0
	ds_store_b128 v22, v[24:27]
.LBB52_67:
	s_wait_xcnt 0x0
	s_or_b32 exec_lo, exec_lo, s6
	s_wait_storecnt_dscnt 0x0
	s_barrier_signal -1
	s_barrier_wait -1
	ds_load_b128 v[38:41], v179 offset:16384
	ds_load_b128 v[42:45], v178
	ds_load_b128 v[46:49], v178 offset:192
	ds_load_b128 v[50:53], v178 offset:384
	ds_load_b128 v[58:61], v178 offset:576
	ds_load_b128 v[62:65], v178 offset:768
	ds_load_b128 v[68:71], v178 offset:960
	ds_load_b128 v[72:75], v178 offset:1152
	v_dual_mov_b32 v30, 0 :: v_dual_mov_b32 v29, 0
	ds_load_b128 v[76:79], v178 offset:1344
	v_dual_mov_b32 v24, 0 :: v_dual_mov_b32 v23, 0
	v_dual_mov_b32 v28, 0 :: v_dual_mov_b32 v27, 0
	;; [unrolled: 1-line block ×3, first 2 shown]
	s_wait_dscnt 0x7
	;;#ASMSTART
	v_dot2_f32_f16 v30, v38, v42, v30
	;;#ASMEND
	;;#ASMSTART
	v_dot2_f32_f16 v30, v39, v43, v30
	;;#ASMEND
	;;#ASMSTART
	v_dot2_f32_f16 v30, v40, v44, v30
	;;#ASMEND
	;;#ASMSTART
	v_dot2_f32_f16 v30, v41, v45, v30
	;;#ASMEND
	s_wait_dscnt 0x6
	;;#ASMSTART
	v_dot2_f32_f16 v29, v38, v46, v29
	;;#ASMEND
	;;#ASMSTART
	v_dot2_f32_f16 v29, v39, v47, v29
	;;#ASMEND
	;;#ASMSTART
	v_dot2_f32_f16 v29, v40, v48, v29
	;;#ASMEND
	;;#ASMSTART
	v_dot2_f32_f16 v29, v41, v49, v29
	;;#ASMEND
	;; [unrolled: 13-line block ×8, first 2 shown]
	ds_load_b128 v[38:41], v179 offset:16400
	ds_load_b128 v[42:45], v178 offset:16
	;; [unrolled: 1-line block ×9, first 2 shown]
	s_wait_dscnt 0x7
	;;#ASMSTART
	v_dot2_f32_f16 v30, v38, v42, v30
	;;#ASMEND
	;;#ASMSTART
	v_dot2_f32_f16 v30, v39, v43, v30
	;;#ASMEND
	;;#ASMSTART
	v_dot2_f32_f16 v30, v40, v44, v30
	;;#ASMEND
	;;#ASMSTART
	v_dot2_f32_f16 v30, v41, v45, v30
	;;#ASMEND
	s_wait_dscnt 0x6
	;;#ASMSTART
	v_dot2_f32_f16 v29, v38, v46, v29
	;;#ASMEND
	;;#ASMSTART
	v_dot2_f32_f16 v29, v39, v47, v29
	;;#ASMEND
	;;#ASMSTART
	v_dot2_f32_f16 v29, v40, v48, v29
	;;#ASMEND
	;;#ASMSTART
	v_dot2_f32_f16 v29, v41, v49, v29
	;;#ASMEND
	;; [unrolled: 13-line block ×8, first 2 shown]
	ds_load_b128 v[38:41], v179 offset:16416
	ds_load_b128 v[42:45], v178 offset:32
	;; [unrolled: 1-line block ×9, first 2 shown]
	s_wait_dscnt 0x7
	;;#ASMSTART
	v_dot2_f32_f16 v30, v38, v42, v30
	;;#ASMEND
	;;#ASMSTART
	v_dot2_f32_f16 v30, v39, v43, v30
	;;#ASMEND
	;;#ASMSTART
	v_dot2_f32_f16 v30, v40, v44, v30
	;;#ASMEND
	;;#ASMSTART
	v_dot2_f32_f16 v30, v41, v45, v30
	;;#ASMEND
	s_wait_dscnt 0x6
	;;#ASMSTART
	v_dot2_f32_f16 v29, v38, v46, v29
	;;#ASMEND
	;;#ASMSTART
	v_dot2_f32_f16 v29, v39, v47, v29
	;;#ASMEND
	;;#ASMSTART
	v_dot2_f32_f16 v29, v40, v48, v29
	;;#ASMEND
	;;#ASMSTART
	v_dot2_f32_f16 v29, v41, v49, v29
	;;#ASMEND
	;; [unrolled: 13-line block ×8, first 2 shown]
	ds_load_b128 v[38:41], v179 offset:16432
	ds_load_b128 v[42:45], v178 offset:48
	;; [unrolled: 1-line block ×9, first 2 shown]
	s_wait_dscnt 0x7
	;;#ASMSTART
	v_dot2_f32_f16 v30, v38, v42, v30
	;;#ASMEND
	;;#ASMSTART
	v_dot2_f32_f16 v30, v39, v43, v30
	;;#ASMEND
	;;#ASMSTART
	v_dot2_f32_f16 v30, v40, v44, v30
	;;#ASMEND
	;;#ASMSTART
	v_dot2_f32_f16 v30, v41, v45, v30
	;;#ASMEND
	s_wait_dscnt 0x6
	;;#ASMSTART
	v_dot2_f32_f16 v29, v38, v46, v29
	;;#ASMEND
	;;#ASMSTART
	v_dot2_f32_f16 v29, v39, v47, v29
	;;#ASMEND
	;;#ASMSTART
	v_dot2_f32_f16 v29, v40, v48, v29
	;;#ASMEND
	;;#ASMSTART
	v_dot2_f32_f16 v29, v41, v49, v29
	;;#ASMEND
	;; [unrolled: 13-line block ×8, first 2 shown]
	ds_load_b128 v[38:41], v179 offset:16448
	ds_load_b128 v[42:45], v178 offset:64
	;; [unrolled: 1-line block ×9, first 2 shown]
	s_wait_dscnt 0x7
	;;#ASMSTART
	v_dot2_f32_f16 v30, v38, v42, v30
	;;#ASMEND
	;;#ASMSTART
	v_dot2_f32_f16 v30, v39, v43, v30
	;;#ASMEND
	;;#ASMSTART
	v_dot2_f32_f16 v30, v40, v44, v30
	;;#ASMEND
	;;#ASMSTART
	v_dot2_f32_f16 v30, v41, v45, v30
	;;#ASMEND
	s_wait_dscnt 0x6
	;;#ASMSTART
	v_dot2_f32_f16 v29, v38, v46, v29
	;;#ASMEND
	;;#ASMSTART
	v_dot2_f32_f16 v29, v39, v47, v29
	;;#ASMEND
	;;#ASMSTART
	v_dot2_f32_f16 v29, v40, v48, v29
	;;#ASMEND
	;;#ASMSTART
	v_dot2_f32_f16 v29, v41, v49, v29
	;;#ASMEND
	;; [unrolled: 13-line block ×8, first 2 shown]
	ds_load_b128 v[38:41], v179 offset:16464
	ds_load_b128 v[42:45], v178 offset:80
	;; [unrolled: 1-line block ×9, first 2 shown]
	s_wait_dscnt 0x7
	;;#ASMSTART
	v_dot2_f32_f16 v30, v38, v42, v30
	;;#ASMEND
	;;#ASMSTART
	v_dot2_f32_f16 v30, v39, v43, v30
	;;#ASMEND
	;;#ASMSTART
	v_dot2_f32_f16 v30, v40, v44, v30
	;;#ASMEND
	;;#ASMSTART
	v_dot2_f32_f16 v30, v41, v45, v30
	;;#ASMEND
	s_wait_dscnt 0x6
	;;#ASMSTART
	v_dot2_f32_f16 v29, v38, v46, v29
	;;#ASMEND
	;;#ASMSTART
	v_dot2_f32_f16 v29, v39, v47, v29
	;;#ASMEND
	;;#ASMSTART
	v_dot2_f32_f16 v29, v40, v48, v29
	;;#ASMEND
	;;#ASMSTART
	v_dot2_f32_f16 v29, v41, v49, v29
	;;#ASMEND
	;; [unrolled: 13-line block ×8, first 2 shown]
	s_barrier_signal -1
	s_barrier_wait -1
	s_and_saveexec_b32 s6, s4
	s_cbranch_execz .LBB52_69
; %bb.68:
	v_mov_b32_e32 v33, v16
	s_delay_alu instid0(VALU_DEP_1) | instskip(NEXT) | instid1(VALU_DEP_1)
	v_add_nc_u64_e32 v[16:17], v[34:35], v[32:33]
	v_add_nc_u64_e32 v[32:33], 0xa0, v[16:17]
	v_mov_b32_e32 v16, 0
	s_delay_alu instid0(VALU_DEP_1) | instskip(NEXT) | instid1(VALU_DEP_3)
	v_dual_mov_b32 v17, v16 :: v_dual_mov_b32 v18, v16
	v_dual_cndmask_b32 v33, v21, v33 :: v_dual_cndmask_b32 v32, v20, v32
	s_clause 0x1
	scratch_store_b32 off, v16, off
	scratch_store_b96 off, v[16:18], off offset:4
	flat_load_b128 v[32:35], v[32:33]
	s_wait_loadcnt_dscnt 0x0
	ds_store_b128 v19, v[32:35]
.LBB52_69:
	s_wait_xcnt 0x0
	s_or_b32 exec_lo, exec_lo, s6
	s_and_saveexec_b32 s4, s5
	s_cbranch_execz .LBB52_71
; %bb.70:
	v_mov_b32_e32 v16, 0
	s_delay_alu instid0(VALU_DEP_1) | instskip(NEXT) | instid1(VALU_DEP_1)
	v_mov_b32_e32 v57, v16
	v_add_nc_u64_e32 v[18:19], v[36:37], v[56:57]
	s_delay_alu instid0(VALU_DEP_1) | instskip(NEXT) | instid1(VALU_DEP_1)
	v_add_nc_u64_e32 v[32:33], 0x60, v[18:19]
	v_dual_cndmask_b32 v21, v21, v33, s3 :: v_dual_mov_b32 v17, v16
	v_mov_b32_e32 v18, v16
	s_delay_alu instid0(VALU_DEP_3)
	v_cndmask_b32_e64 v20, v20, v32, s3
	s_clause 0x1
	scratch_store_b32 off, v16, off
	scratch_store_b96 off, v[16:18], off offset:4
	flat_load_b128 v[16:19], v[20:21]
	s_wait_loadcnt_dscnt 0x0
	ds_store_b128 v22, v[16:19]
.LBB52_71:
	s_wait_xcnt 0x0
	s_or_b32 exec_lo, exec_lo, s4
	s_wait_storecnt_dscnt 0x0
	s_barrier_signal -1
	s_barrier_wait -1
	ds_load_b128 v[16:19], v179 offset:16384
	ds_load_b128 v[32:35], v178 offset:96
	;; [unrolled: 1-line block ×9, first 2 shown]
	s_cmp_lg_u64 s[40:41], 0
	v_cmp_gt_i32_e64 s4, s8, v153
	s_cselect_b32 s6, -1, 0
	s_wait_dscnt 0x7
	;;#ASMSTART
	v_dot2_f32_f16 v30, v16, v32, v30
	;;#ASMEND
	;;#ASMSTART
	v_dot2_f32_f16 v30, v17, v33, v30
	;;#ASMEND
	;;#ASMSTART
	v_dot2_f32_f16 v30, v18, v34, v30
	;;#ASMEND
	;;#ASMSTART
	v_dot2_f32_f16 v30, v19, v35, v30
	;;#ASMEND
	s_wait_dscnt 0x6
	;;#ASMSTART
	v_dot2_f32_f16 v29, v16, v36, v29
	;;#ASMEND
	;;#ASMSTART
	v_dot2_f32_f16 v29, v17, v37, v29
	;;#ASMEND
	;;#ASMSTART
	v_dot2_f32_f16 v29, v18, v38, v29
	;;#ASMEND
	;;#ASMSTART
	v_dot2_f32_f16 v29, v19, v39, v29
	;;#ASMEND
	;; [unrolled: 13-line block ×8, first 2 shown]
	ds_load_b128 v[16:19], v179 offset:16400
	ds_load_b128 v[32:35], v178 offset:112
	;; [unrolled: 1-line block ×9, first 2 shown]
	s_wait_dscnt 0x7
	;;#ASMSTART
	v_dot2_f32_f16 v30, v16, v32, v30
	;;#ASMEND
	;;#ASMSTART
	v_dot2_f32_f16 v30, v17, v33, v30
	;;#ASMEND
	;;#ASMSTART
	v_dot2_f32_f16 v30, v18, v34, v30
	;;#ASMEND
	;;#ASMSTART
	v_dot2_f32_f16 v30, v19, v35, v30
	;;#ASMEND
	s_wait_dscnt 0x6
	;;#ASMSTART
	v_dot2_f32_f16 v29, v16, v36, v29
	;;#ASMEND
	;;#ASMSTART
	v_dot2_f32_f16 v29, v17, v37, v29
	;;#ASMEND
	;;#ASMSTART
	v_dot2_f32_f16 v29, v18, v38, v29
	;;#ASMEND
	;;#ASMSTART
	v_dot2_f32_f16 v29, v19, v39, v29
	;;#ASMEND
	;; [unrolled: 13-line block ×8, first 2 shown]
	ds_load_b128 v[16:19], v179 offset:16416
	ds_load_b128 v[32:35], v178 offset:128
	;; [unrolled: 1-line block ×9, first 2 shown]
	s_wait_dscnt 0x7
	;;#ASMSTART
	v_dot2_f32_f16 v30, v16, v32, v30
	;;#ASMEND
	;;#ASMSTART
	v_dot2_f32_f16 v30, v17, v33, v30
	;;#ASMEND
	;;#ASMSTART
	v_dot2_f32_f16 v30, v18, v34, v30
	;;#ASMEND
	;;#ASMSTART
	v_dot2_f32_f16 v30, v19, v35, v30
	;;#ASMEND
	s_wait_dscnt 0x6
	;;#ASMSTART
	v_dot2_f32_f16 v29, v16, v36, v29
	;;#ASMEND
	;;#ASMSTART
	v_dot2_f32_f16 v29, v17, v37, v29
	;;#ASMEND
	;;#ASMSTART
	v_dot2_f32_f16 v29, v18, v38, v29
	;;#ASMEND
	;;#ASMSTART
	v_dot2_f32_f16 v29, v19, v39, v29
	;;#ASMEND
	;; [unrolled: 13-line block ×8, first 2 shown]
	ds_load_b128 v[16:19], v179 offset:16432
	ds_load_b128 v[32:35], v178 offset:144
	;; [unrolled: 1-line block ×9, first 2 shown]
	s_wait_dscnt 0x7
	;;#ASMSTART
	v_dot2_f32_f16 v30, v16, v32, v30
	;;#ASMEND
	;;#ASMSTART
	v_dot2_f32_f16 v30, v17, v33, v30
	;;#ASMEND
	;;#ASMSTART
	v_dot2_f32_f16 v30, v18, v34, v30
	;;#ASMEND
	;;#ASMSTART
	v_dot2_f32_f16 v30, v19, v35, v30
	;;#ASMEND
	s_wait_dscnt 0x6
	;;#ASMSTART
	v_dot2_f32_f16 v29, v16, v36, v29
	;;#ASMEND
	;;#ASMSTART
	v_dot2_f32_f16 v29, v17, v37, v29
	;;#ASMEND
	;;#ASMSTART
	v_dot2_f32_f16 v29, v18, v38, v29
	;;#ASMEND
	;;#ASMSTART
	v_dot2_f32_f16 v29, v19, v39, v29
	;;#ASMEND
	;; [unrolled: 13-line block ×8, first 2 shown]
	ds_load_b128 v[16:19], v179 offset:16448
	ds_load_b128 v[32:35], v178 offset:160
	;; [unrolled: 1-line block ×9, first 2 shown]
	s_wait_dscnt 0x7
	;;#ASMSTART
	v_dot2_f32_f16 v30, v16, v32, v30
	;;#ASMEND
	;;#ASMSTART
	v_dot2_f32_f16 v30, v17, v33, v30
	;;#ASMEND
	;;#ASMSTART
	v_dot2_f32_f16 v30, v18, v34, v30
	;;#ASMEND
	;;#ASMSTART
	v_dot2_f32_f16 v30, v19, v35, v30
	;;#ASMEND
	s_wait_dscnt 0x6
	;;#ASMSTART
	v_dot2_f32_f16 v29, v16, v36, v29
	;;#ASMEND
	;;#ASMSTART
	v_dot2_f32_f16 v29, v17, v37, v29
	;;#ASMEND
	;;#ASMSTART
	v_dot2_f32_f16 v29, v18, v38, v29
	;;#ASMEND
	;;#ASMSTART
	v_dot2_f32_f16 v29, v19, v39, v29
	;;#ASMEND
	;; [unrolled: 13-line block ×8, first 2 shown]
	ds_load_b128 v[18:21], v179 offset:16464
	ds_load_b128 v[42:45], v178 offset:176
	;; [unrolled: 1-line block ×9, first 2 shown]
	s_wait_dscnt 0x7
	;;#ASMSTART
	v_dot2_f32_f16 v30, v18, v42, v30
	;;#ASMEND
	;;#ASMSTART
	v_dot2_f32_f16 v30, v19, v43, v30
	;;#ASMEND
	;;#ASMSTART
	v_dot2_f32_f16 v30, v20, v44, v30
	;;#ASMEND
	;;#ASMSTART
	v_dot2_f32_f16 v30, v21, v45, v30
	;;#ASMEND
	s_wait_dscnt 0x6
	;;#ASMSTART
	v_dot2_f32_f16 v29, v18, v46, v29
	;;#ASMEND
	;;#ASMSTART
	v_dot2_f32_f16 v29, v19, v47, v29
	;;#ASMEND
	;;#ASMSTART
	v_dot2_f32_f16 v29, v20, v48, v29
	;;#ASMEND
	;;#ASMSTART
	v_dot2_f32_f16 v29, v21, v49, v29
	;;#ASMEND
	;; [unrolled: 13-line block ×5, first 2 shown]
	s_wait_dscnt 0x2
	;;#ASMSTART
	v_dot2_f32_f16 v27, v18, v68, v27
	;;#ASMEND
	v_mov_b64_e32 v[38:39], v[14:15]
	;;#ASMSTART
	v_dot2_f32_f16 v27, v19, v69, v27
	;;#ASMEND
	v_mov_b64_e32 v[36:37], v[12:13]
	v_mov_b64_e32 v[34:35], v[10:11]
	;; [unrolled: 1-line block ×3, first 2 shown]
	;;#ASMSTART
	v_dot2_f32_f16 v27, v20, v70, v27
	;;#ASMEND
	;;#ASMSTART
	v_dot2_f32_f16 v27, v21, v71, v27
	;;#ASMEND
	s_wait_dscnt 0x1
	;;#ASMSTART
	v_dot2_f32_f16 v26, v18, v72, v26
	;;#ASMEND
	v_dual_add_nc_u32 v40, s42, v153 :: v_dual_mov_b32 v16, v8
	v_cndmask_b32_e64 v41, 0, 1, s6
	;;#ASMSTART
	v_dot2_f32_f16 v26, v19, v73, v26
	;;#ASMEND
	;;#ASMSTART
	v_dot2_f32_f16 v26, v20, v74, v26
	;;#ASMEND
	;; [unrolled: 3-line block ×3, first 2 shown]
	s_wait_dscnt 0x0
	;;#ASMSTART
	v_dot2_f32_f16 v25, v18, v76, v25
	;;#ASMEND
	;;#ASMSTART
	v_dot2_f32_f16 v25, v19, v77, v25
	;;#ASMEND
	;;#ASMSTART
	v_dot2_f32_f16 v25, v20, v78, v25
	;;#ASMEND
	;;#ASMSTART
	v_dot2_f32_f16 v25, v21, v79, v25
	;;#ASMEND
	s_and_saveexec_b32 s5, s4
	s_cbranch_execz .LBB52_76
; %bb.72:
	s_and_not1_b32 vcc_lo, exec_lo, s6
	s_cbranch_vccnz .LBB52_74
; %bb.73:
	v_mov_b32_e32 v115, 0
	s_delay_alu instid0(VALU_DEP_1) | instskip(NEXT) | instid1(VALU_DEP_1)
	v_mul_u64_e32 v[16:17], s[44:45], v[114:115]
	v_add_nc_u32_e32 v16, v114, v17
	s_delay_alu instid0(VALU_DEP_1) | instskip(NEXT) | instid1(VALU_DEP_1)
	v_lshrrev_b32_e32 v16, s37, v16
	v_mul_lo_u32 v16, v16, s38
	s_delay_alu instid0(VALU_DEP_1) | instskip(NEXT) | instid1(VALU_DEP_1)
	v_sub_nc_u32_e32 v16, v114, v16
	v_mad_u32 v16, v16, s36, v40
	global_load_u16 v16, v16, s[40:41] scale_offset
	s_wait_loadcnt 0x0
	v_cvt_f32_f16_e32 v16, v16
	s_delay_alu instid0(VALU_DEP_1)
	v_mul_f32_e32 v16, v176, v16
	s_branch .LBB52_75
.LBB52_74:
	v_mov_b32_e32 v16, 0
.LBB52_75:
	s_delay_alu instid0(VALU_DEP_1)
	v_add_f32_e32 v30, v30, v16
	v_max_num_f32_e32 v16, v8, v8
	v_mov_b64_e32 v[38:39], v[14:15]
	v_mov_b64_e32 v[36:37], v[12:13]
	;; [unrolled: 1-line block ×3, first 2 shown]
	v_add_f32_e32 v17, 0x40051340, v30
	v_mov_b64_e32 v[32:33], v[8:9]
	s_delay_alu instid0(VALU_DEP_2)
	v_max_num_f32_e32 v16, v16, v17
.LBB52_76:
	s_or_b32 exec_lo, exec_lo, s5
	v_xor_b32_e32 v71, 8, v157
	v_xor_b32_e32 v72, 16, v157
	v_xor_b32_e32 v70, 4, v157
	v_xor_b32_e32 v68, 1, v157
	v_dual_mov_b32 v67, 32 :: v_dual_bitop2_b32 v69, 2, v157 bitop3:0x14
	s_delay_alu instid0(VALU_DEP_4) | instskip(SKIP_4) | instid1(VALU_DEP_2)
	v_cmp_gt_i32_e32 vcc_lo, 32, v72
	v_cndmask_b32_e32 v17, v157, v72, vcc_lo
	v_cmp_gt_i32_e32 vcc_lo, 32, v71
	v_cndmask_b32_e32 v18, v157, v71, vcc_lo
	v_cmp_gt_i32_e32 vcc_lo, 32, v70
	v_dual_lshlrev_b32 v43, 2, v18 :: v_dual_lshlrev_b32 v42, 2, v17
	v_cndmask_b32_e32 v18, v157, v70, vcc_lo
	v_cmp_gt_i32_e32 vcc_lo, 32, v69
	ds_bpermute_b32 v17, v42, v16
	v_dual_max_num_f32 v16, v16, v16 :: v_dual_lshlrev_b32 v44, 2, v18
	v_cndmask_b32_e32 v18, v157, v69, vcc_lo
	v_cmp_gt_i32_e32 vcc_lo, 32, v68
	s_delay_alu instid0(VALU_DEP_2) | instskip(SKIP_1) | instid1(VALU_DEP_1)
	v_dual_lshlrev_b32 v32, 2, v18 :: v_dual_cndmask_b32 v18, v157, v68, vcc_lo
	s_wait_dscnt 0x0
	v_dual_lshlrev_b32 v31, 2, v18 :: v_dual_max_num_f32 v17, v17, v17
	s_delay_alu instid0(VALU_DEP_1) | instskip(SKIP_3) | instid1(VALU_DEP_1)
	v_max_num_f32_e32 v16, v16, v17
	ds_bpermute_b32 v17, v43, v16
	s_wait_dscnt 0x0
	v_max_num_f32_e32 v17, v17, v17
	v_max_num_f32_e32 v16, v16, v17
	ds_bpermute_b32 v17, v44, v16
	s_wait_dscnt 0x0
	v_max_num_f32_e32 v17, v17, v17
	s_delay_alu instid0(VALU_DEP_1) | instskip(SKIP_3) | instid1(VALU_DEP_1)
	v_max_num_f32_e32 v16, v16, v17
	ds_bpermute_b32 v17, v32, v16
	s_wait_dscnt 0x0
	v_max_num_f32_e32 v17, v17, v17
	v_max_num_f32_e32 v16, v16, v17
	ds_bpermute_b32 v17, v31, v16
	s_wait_dscnt 0x0
	v_max_num_f32_e32 v17, v17, v17
	s_delay_alu instid0(VALU_DEP_1)
	v_max_num_f32_e32 v16, v16, v17
	s_and_saveexec_b32 s5, s4
	s_cbranch_execz .LBB52_81
; %bb.77:
	v_cmp_ne_u32_e32 vcc_lo, 1, v41
	s_cbranch_vccnz .LBB52_79
; %bb.78:
	v_dual_mov_b32 v19, 0 :: v_dual_bitop2_b32 v18, 1, v114 bitop3:0x54
	s_delay_alu instid0(VALU_DEP_1) | instskip(NEXT) | instid1(VALU_DEP_1)
	v_mul_u64_e32 v[20:21], s[44:45], v[18:19]
	v_add_nc_u32_e32 v17, v18, v21
	s_delay_alu instid0(VALU_DEP_1) | instskip(NEXT) | instid1(VALU_DEP_1)
	v_lshrrev_b32_e32 v17, s37, v17
	v_mul_lo_u32 v17, v17, s38
	s_delay_alu instid0(VALU_DEP_1) | instskip(NEXT) | instid1(VALU_DEP_1)
	v_sub_nc_u32_e32 v17, v18, v17
	v_mad_u32 v17, v17, s36, v40
	global_load_u16 v17, v17, s[40:41] scale_offset
	s_wait_loadcnt 0x0
	v_cvt_f32_f16_e32 v17, v17
	s_delay_alu instid0(VALU_DEP_1)
	v_mul_f32_e32 v17, v176, v17
	s_branch .LBB52_80
.LBB52_79:
	v_mov_b32_e32 v17, 0
.LBB52_80:
	v_max_num_f32_e32 v18, v33, v33
	s_delay_alu instid0(VALU_DEP_2) | instskip(NEXT) | instid1(VALU_DEP_1)
	v_add_f32_e32 v29, v29, v17
	v_add_f32_e32 v17, 0x40051340, v29
	s_delay_alu instid0(VALU_DEP_1)
	v_max_num_f32_e32 v33, v18, v17
.LBB52_81:
	s_or_b32 exec_lo, exec_lo, s5
	ds_bpermute_b32 v17, v42, v33
	v_max_num_f32_e32 v18, v33, v33
	s_wait_dscnt 0x0
	v_max_num_f32_e32 v17, v17, v17
	s_delay_alu instid0(VALU_DEP_1) | instskip(SKIP_3) | instid1(VALU_DEP_1)
	v_max_num_f32_e32 v17, v18, v17
	ds_bpermute_b32 v18, v43, v17
	s_wait_dscnt 0x0
	v_max_num_f32_e32 v18, v18, v18
	v_max_num_f32_e32 v17, v17, v18
	ds_bpermute_b32 v18, v44, v17
	s_wait_dscnt 0x0
	v_max_num_f32_e32 v18, v18, v18
	s_delay_alu instid0(VALU_DEP_1) | instskip(SKIP_3) | instid1(VALU_DEP_1)
	v_max_num_f32_e32 v17, v17, v18
	ds_bpermute_b32 v18, v32, v17
	s_wait_dscnt 0x0
	v_max_num_f32_e32 v18, v18, v18
	v_max_num_f32_e32 v17, v17, v18
	ds_bpermute_b32 v18, v31, v17
	s_wait_dscnt 0x0
	v_max_num_f32_e32 v18, v18, v18
	s_delay_alu instid0(VALU_DEP_1)
	v_max_num_f32_e32 v17, v17, v18
	s_and_saveexec_b32 s5, s4
	s_cbranch_execz .LBB52_86
; %bb.82:
	v_cmp_ne_u32_e32 vcc_lo, 1, v41
	s_cbranch_vccnz .LBB52_84
; %bb.83:
	v_dual_mov_b32 v19, 0 :: v_dual_bitop2_b32 v18, 2, v114 bitop3:0x54
	s_delay_alu instid0(VALU_DEP_1) | instskip(NEXT) | instid1(VALU_DEP_1)
	v_mul_u64_e32 v[20:21], s[44:45], v[18:19]
	v_add_nc_u32_e32 v19, v18, v21
	s_delay_alu instid0(VALU_DEP_1) | instskip(NEXT) | instid1(VALU_DEP_1)
	v_lshrrev_b32_e32 v19, s37, v19
	v_mul_lo_u32 v19, v19, s38
	s_delay_alu instid0(VALU_DEP_1) | instskip(NEXT) | instid1(VALU_DEP_1)
	v_sub_nc_u32_e32 v18, v18, v19
	v_mad_u32 v18, v18, s36, v40
	global_load_u16 v18, v18, s[40:41] scale_offset
	s_wait_loadcnt 0x0
	v_cvt_f32_f16_e32 v18, v18
	s_delay_alu instid0(VALU_DEP_1)
	v_mul_f32_e32 v18, v176, v18
	s_branch .LBB52_85
.LBB52_84:
	v_mov_b32_e32 v18, 0
.LBB52_85:
	v_max_num_f32_e32 v19, v34, v34
	s_delay_alu instid0(VALU_DEP_2) | instskip(NEXT) | instid1(VALU_DEP_1)
	v_add_f32_e32 v24, v24, v18
	v_add_f32_e32 v18, 0x40051340, v24
	s_delay_alu instid0(VALU_DEP_1)
	v_max_num_f32_e32 v34, v19, v18
.LBB52_86:
	s_or_b32 exec_lo, exec_lo, s5
	ds_bpermute_b32 v18, v42, v34
	v_max_num_f32_e32 v19, v34, v34
	s_wait_dscnt 0x0
	v_max_num_f32_e32 v18, v18, v18
	;; [unrolled: 57-line block ×6, first 2 shown]
	s_delay_alu instid0(VALU_DEP_1) | instskip(SKIP_3) | instid1(VALU_DEP_1)
	v_max_num_f32_e32 v22, v33, v22
	ds_bpermute_b32 v33, v43, v22
	s_wait_dscnt 0x0
	v_max_num_f32_e32 v33, v33, v33
	v_max_num_f32_e32 v22, v22, v33
	ds_bpermute_b32 v33, v44, v22
	s_wait_dscnt 0x0
	v_max_num_f32_e32 v33, v33, v33
	s_delay_alu instid0(VALU_DEP_1) | instskip(SKIP_3) | instid1(VALU_DEP_1)
	v_max_num_f32_e32 v22, v22, v33
	ds_bpermute_b32 v33, v32, v22
	s_wait_dscnt 0x0
	v_max_num_f32_e32 v33, v33, v33
	v_max_num_f32_e32 v22, v22, v33
	ds_bpermute_b32 v33, v31, v22
	s_wait_dscnt 0x0
	v_max_num_f32_e32 v33, v33, v33
	s_delay_alu instid0(VALU_DEP_1)
	v_max_num_f32_e32 v22, v22, v33
	s_and_saveexec_b32 s5, s4
	s_cbranch_execz .LBB52_111
; %bb.107:
	v_cmp_ne_u32_e32 vcc_lo, 1, v41
	s_cbranch_vccnz .LBB52_109
; %bb.108:
	v_dual_mov_b32 v35, 0 :: v_dual_bitop2_b32 v34, 7, v114 bitop3:0x54
	s_delay_alu instid0(VALU_DEP_1) | instskip(NEXT) | instid1(VALU_DEP_1)
	v_mul_u64_e32 v[36:37], s[44:45], v[34:35]
	v_add_nc_u32_e32 v33, v34, v37
	s_delay_alu instid0(VALU_DEP_1) | instskip(NEXT) | instid1(VALU_DEP_1)
	v_lshrrev_b32_e32 v33, s37, v33
	v_mul_lo_u32 v33, v33, s38
	s_delay_alu instid0(VALU_DEP_1) | instskip(NEXT) | instid1(VALU_DEP_1)
	v_sub_nc_u32_e32 v33, v34, v33
	v_mad_u32 v33, v33, s36, v40
	global_load_u16 v33, v33, s[40:41] scale_offset
	s_wait_loadcnt 0x0
	v_cvt_f32_f16_e32 v33, v33
	s_delay_alu instid0(VALU_DEP_1)
	v_mul_f32_e32 v33, v176, v33
	s_branch .LBB52_110
.LBB52_109:
	v_mov_b32_e32 v33, 0
.LBB52_110:
	s_delay_alu instid0(VALU_DEP_1) | instskip(NEXT) | instid1(VALU_DEP_1)
	v_dual_add_f32 v25, v25, v33 :: v_dual_max_num_f32 v34, v39, v39
	v_add_f32_e32 v33, 0x40051340, v25
	s_delay_alu instid0(VALU_DEP_1)
	v_max_num_f32_e32 v39, v34, v33
.LBB52_111:
	s_or_b32 exec_lo, exec_lo, s5
	ds_bpermute_b32 v33, v42, v39
	v_dual_max_num_f32 v34, v39, v39 :: v_dual_sub_f32 v29, v29, v17
	v_dual_sub_f32 v24, v24, v18 :: v_dual_sub_f32 v36, v27, v21
	v_dual_sub_f32 v37, v26, v22 :: v_dual_mov_b32 v26, 0
	s_delay_alu instid0(VALU_DEP_3) | instskip(SKIP_2) | instid1(VALU_DEP_4)
	v_mul_f32_e32 v41, 0x3fb8aa3b, v29
	v_dual_sub_f32 v35, v23, v19 :: v_dual_sub_f32 v28, v28, v20
	v_mbcnt_lo_u32_b32 v23, -1, 0
	v_mul_f32_e32 v45, 0x3fb8aa3b, v37
	s_delay_alu instid0(VALU_DEP_4) | instskip(NEXT) | instid1(VALU_DEP_4)
	v_fma_f32 v47, 0x3fb8aa3b, v29, -v41
	v_mul_f32_e32 v42, 0x3fb8aa3b, v35
	v_rndne_f32_e32 v48, v41
	v_cmp_nlt_f32_e64 s5, 0x42b17218, v29
	v_rndne_f32_e32 v62, v45
	v_fma_f32 v61, 0x3fb8aa3b, v37, -v45
	v_fma_f32 v51, 0x3fb8aa3b, v35, -v42
	v_rndne_f32_e32 v52, v42
	s_wait_dscnt 0x0
	v_max_num_f32_e32 v33, v33, v33
	v_mul_lo_u32 v60, s22, v66
	v_mul_u32_u24_e32 v39, 0xc0, v66
	s_ashr_i32 s23, s22, 31
	v_lshl_add_u32 v38, v153, 4, v158
	v_max_num_f32_e32 v33, v34, v33
	v_cmp_gt_u32_e32 vcc_lo, 16, v66
	v_lshl_or_b32 v39, v118, 2, v39
	s_barrier_signal -1
	ds_bpermute_b32 v34, v43, v33
	s_barrier_wait -1
	v_add_nc_u32_e32 v83, 0x4080, v39
	s_wait_dscnt 0x0
	v_sub_f32_e32 v30, v30, v16
	v_mul_f32_e32 v43, 0x3fb8aa3b, v28
	v_fmac_f32_e32 v51, 0x32a5705f, v35
	s_delay_alu instid0(VALU_DEP_3) | instskip(NEXT) | instid1(VALU_DEP_3)
	v_mul_f32_e32 v40, 0x3fb8aa3b, v30
	v_rndne_f32_e32 v54, v43
	v_fma_f32 v53, 0x3fb8aa3b, v28, -v43
	v_cmp_ngt_f32_e64 s4, 0xc2ce8ed0, v30
	s_delay_alu instid0(VALU_DEP_4) | instskip(NEXT) | instid1(VALU_DEP_4)
	v_rndne_f32_e32 v46, v40
	v_sub_f32_e32 v43, v43, v54
	v_max_num_f32_e32 v34, v34, v34
	s_delay_alu instid0(VALU_DEP_1) | instskip(SKIP_3) | instid1(VALU_DEP_1)
	v_max_num_f32_e32 v33, v33, v34
	ds_bpermute_b32 v34, v44, v33
	s_wait_dscnt 0x0
	v_dual_max_num_f32 v27, v34, v34 :: v_dual_mul_f32 v34, 0x3fb8aa3b, v24
	v_dual_mul_f32 v44, 0x3fb8aa3b, v36 :: v_dual_max_num_f32 v33, v33, v27
	v_lshlrev_b32_e32 v27, 20, v23
	v_fma_f32 v23, 0x3fb8aa3b, v30, -v40
	s_delay_alu instid0(VALU_DEP_3)
	v_fma_f32 v55, 0x3fb8aa3b, v36, -v44
	v_fma_f32 v49, 0x3fb8aa3b, v24, -v34
	ds_bpermute_b32 v32, v32, v33
	v_fmac_f32_e32 v47, 0x32a5705f, v29
	v_add_nc_u64_e32 v[58:59], src_flat_scratch_base_lo, v[26:27]
	v_fmac_f32_e32 v23, 0x32a5705f, v30
	v_dual_sub_f32 v26, v40, v46 :: v_dual_sub_f32 v40, v41, v48
	v_rndne_f32_e32 v50, v34
	v_sub_f32_e32 v45, v45, v62
	v_fmac_f32_e32 v49, 0x32a5705f, v24
	s_delay_alu instid0(VALU_DEP_4)
	v_add_f32_e32 v23, v26, v23
	v_cvt_i32_f32_e32 v41, v48
	v_sub_f32_e32 v34, v34, v50
	v_rndne_f32_e32 v57, v44
	v_cvt_i32_f32_e32 v27, v46
	v_exp_f32_e32 v23, v23
	v_cvt_i32_f32_e32 v46, v50
	s_delay_alu instid0(VALU_DEP_3)
	v_dual_fmac_f32 v53, 0x32a5705f, v28 :: v_dual_sub_f32 v44, v44, v57
	v_cvt_i32_f32_e32 v48, v54
	v_cvt_i32_f32_e32 v50, v57
	s_wait_dscnt 0x0
	v_max_num_f32_e32 v32, v32, v32
	v_dual_fmac_f32 v55, 0x32a5705f, v36 :: v_dual_add_f32 v26, v40, v47
	v_ldexp_f32 v27, v23, v27
	s_delay_alu instid0(VALU_DEP_3) | instskip(SKIP_1) | instid1(VALU_DEP_4)
	v_dual_add_f32 v40, v43, v53 :: v_dual_max_num_f32 v32, v33, v32
	v_sub_f32_e32 v33, v42, v52
	v_exp_f32_e32 v26, v26
	v_dual_add_f32 v34, v34, v49 :: v_dual_add_f32 v43, v44, v55
	ds_bpermute_b32 v31, v31, v32
	v_add_f32_e32 v33, v33, v51
	v_cvt_i32_f32_e32 v42, v52
	v_exp_f32_e32 v34, v34
	v_ldexp_f32 v26, v26, v41
	v_exp_f32_e32 v40, v40
	v_exp_f32_e32 v33, v33
	;; [unrolled: 1-line block ×3, first 2 shown]
	v_cvt_i32_f32_e32 v52, v62
	v_cndmask_b32_e64 v27, 0, v27, s4
	v_cmp_ngt_f32_e64 s4, 0xc2ce8ed0, v29
	s_delay_alu instid0(VALU_DEP_1) | instskip(SKIP_3) | instid1(VALU_DEP_3)
	v_cndmask_b32_e64 v26, 0, v26, s4
	v_cmp_ngt_f32_e64 s4, 0xc2ce8ed0, v24
	s_wait_dscnt 0x0
	v_max_num_f32_e32 v31, v31, v31
	v_cndmask_b32_e64 v26, 0x7f800000, v26, s5
	v_cmp_nlt_f32_e64 s5, 0x42b17218, v24
	s_delay_alu instid0(VALU_DEP_3)
	v_max_num_f32_e32 v23, v32, v31
	v_fmac_f32_e32 v61, 0x32a5705f, v37
	v_ldexp_f32 v31, v34, v46
	v_ldexp_f32 v32, v33, v42
	;; [unrolled: 1-line block ×3, first 2 shown]
	v_sub_f32_e32 v34, v25, v23
	s_delay_alu instid0(VALU_DEP_4) | instskip(SKIP_2) | instid1(VALU_DEP_4)
	v_dual_add_f32 v44, v45, v61 :: v_dual_cndmask_b32 v31, 0, v31, s4
	v_cmp_ngt_f32_e64 s4, 0xc2ce8ed0, v35
	v_ldexp_f32 v25, v43, v50
	v_mul_f32_e32 v41, 0x3fb8aa3b, v34
	s_delay_alu instid0(VALU_DEP_4)
	v_exp_f32_e32 v44, v44
	v_ashrrev_i32_e32 v61, 31, v60
	v_cndmask_b32_e64 v32, 0, v32, s4
	v_cmp_ngt_f32_e64 s4, 0xc2ce8ed0, v28
	v_fma_f32 v42, 0x3fb8aa3b, v34, -v41
	v_rndne_f32_e32 v43, v41
	s_delay_alu instid0(TRANS32_DEP_1) | instskip(NEXT) | instid1(VALU_DEP_4)
	v_ldexp_f32 v40, v44, v52
	v_cndmask_b32_e64 v33, 0, v33, s4
	v_cmp_ngt_f32_e64 s4, 0xc2ce8ed0, v36
	s_delay_alu instid0(VALU_DEP_4) | instskip(SKIP_1) | instid1(VALU_DEP_3)
	v_dual_fmac_f32 v42, 0x32a5705f, v34 :: v_dual_sub_f32 v41, v41, v43
	v_cvt_i32_f32_e32 v24, v43
	v_cndmask_b32_e64 v25, 0, v25, s4
	v_cmp_ngt_f32_e64 s4, 0xc2ce8ed0, v37
	s_delay_alu instid0(VALU_DEP_1) | instskip(SKIP_3) | instid1(VALU_DEP_4)
	v_dual_add_f32 v41, v41, v42 :: v_dual_cndmask_b32 v40, 0, v40, s4
	v_cmp_nlt_f32_e64 s4, 0x42b17218, v30
	v_cndmask_b32_e64 v30, 0x7f800000, v31, s5
	v_cmp_nlt_f32_e64 s5, 0x42b17218, v35
	v_exp_f32_e32 v29, v41
	s_delay_alu instid0(VALU_DEP_3) | instskip(SKIP_1) | instid1(VALU_DEP_3)
	v_cndmask_b32_e64 v27, 0x7f800000, v27, s4
	v_cmp_gt_u32_e64 s4, s8, v153
	v_cndmask_b32_e64 v31, 0x7f800000, v32, s5
	v_cmp_nlt_f32_e64 s5, 0x42b17218, v28
	s_delay_alu instid0(TRANS32_DEP_1) | instskip(NEXT) | instid1(VALU_DEP_2)
	v_ldexp_f32 v24, v29, v24
	v_cndmask_b32_e64 v28, 0x7f800000, v33, s5
	v_cmp_nlt_f32_e64 s5, 0x42b17218, v36
	s_delay_alu instid0(VALU_DEP_2) | instskip(NEXT) | instid1(VALU_DEP_2)
	v_cndmask_b32_e64 v28, 0, v28, s4
	v_cndmask_b32_e64 v29, 0x7f800000, v25, s5
	v_cmp_nlt_f32_e64 s5, 0x42b17218, v37
	v_cndmask_b32_e64 v25, 0, v26, s4
	s_delay_alu instid0(VALU_DEP_3) | instskip(NEXT) | instid1(VALU_DEP_3)
	v_dual_cndmask_b32 v26, 0, v30, s4 :: v_dual_cndmask_b32 v29, 0, v29, s4
	v_cndmask_b32_e64 v32, 0x7f800000, v40, s5
	v_cmp_ngt_f32_e64 s5, 0xc2ce8ed0, v34
	s_delay_alu instid0(VALU_DEP_1) | instskip(SKIP_4) | instid1(VALU_DEP_4)
	v_cndmask_b32_e64 v33, 0, v24, s5
	v_cmp_nlt_f32_e64 s5, 0x42b17218, v34
	v_cndmask_b32_e64 v24, 0, v27, s4
	v_cndmask_b32_e64 v27, 0, v31, s4
	v_cvt_pk_f16_f32 v34, v28, v29
	v_cndmask_b32_e64 v33, 0x7f800000, v33, s5
	v_cndmask_b32_e64 v30, 0, v32, s4
	v_cvt_pk_f16_f32 v32, v24, v25
	s_delay_alu instid0(VALU_DEP_3) | instskip(SKIP_3) | instid1(VALU_DEP_2)
	v_cndmask_b32_e64 v31, 0, v33, s4
	s_mul_u64 s[4:5], s[42:43], s[22:23]
	v_cvt_pk_f16_f32 v33, v26, v27
	s_lshl_b64 s[4:5], s[4:5], 2
	v_cvt_pk_f16_f32 v35, v30, v31
	s_add_nc_u64 s[4:5], s[26:27], s[4:5]
	ds_store_b128 v38, v[32:35]
	s_and_saveexec_b32 s6, vcc_lo
	s_cbranch_execz .LBB52_113
; %bb.112:
	v_mov_b32_e32 v32, 0
	v_lshl_add_u64 v[34:35], v[60:61], 2, s[4:5]
	s_delay_alu instid0(VALU_DEP_2) | instskip(NEXT) | instid1(VALU_DEP_1)
	v_mov_b32_e32 v57, v32
	v_add_nc_u64_e32 v[34:35], v[34:35], v[56:57]
	s_delay_alu instid0(VALU_DEP_1) | instskip(NEXT) | instid1(VALU_DEP_1)
	v_add_nc_u64_e32 v[36:37], 0x80, v[34:35]
	v_dual_cndmask_b32 v37, v59, v37, s3 :: v_dual_mov_b32 v33, v32
	s_delay_alu instid0(VALU_DEP_2)
	v_dual_mov_b32 v34, v32 :: v_dual_cndmask_b32 v36, v58, v36, s3
	s_clause 0x1
	scratch_store_b32 off, v32, off
	scratch_store_b96 off, v[32:34], off offset:4
	flat_load_b128 v[32:35], v[36:37]
	s_wait_loadcnt_dscnt 0x0
	ds_store_b128 v83, v[32:35]
.LBB52_113:
	s_wait_xcnt 0x0
	s_or_b32 exec_lo, exec_lo, s6
	v_lshl_add_u32 v81, v169, 2, v177
	v_dual_lshlrev_b32 v62, 2, v116 :: v_dual_mov_b32 v32, 0
	s_delay_alu instid0(VALU_DEP_2) | instskip(SKIP_2) | instid1(VALU_DEP_2)
	v_mul_lo_u32 v64, s22, v81
	v_mul_u32_u24_e32 v33, 0xc0, v81
	v_cmp_gt_u32_e64 s3, 16, v81
	v_add3_u32 v82, v33, v62, 0x4000
	s_delay_alu instid0(VALU_DEP_4)
	v_ashrrev_i32_e32 v65, 31, v64
	s_and_saveexec_b32 s6, s3
	s_cbranch_execz .LBB52_115
; %bb.114:
	s_delay_alu instid0(VALU_DEP_1) | instskip(SKIP_2) | instid1(VALU_DEP_2)
	v_lshl_add_u64 v[34:35], v[64:65], 2, s[4:5]
	v_dual_mov_b32 v63, v32 :: v_dual_mov_b32 v33, v32
	v_cmp_gt_i32_e64 s4, s8, v81
	v_add_nc_u64_e32 v[36:37], v[34:35], v[62:63]
	s_delay_alu instid0(VALU_DEP_1) | instskip(NEXT) | instid1(VALU_DEP_2)
	v_dual_mov_b32 v34, v32 :: v_dual_cndmask_b32 v37, v59, v37, s4
	v_cndmask_b32_e64 v36, v58, v36, s4
	s_clause 0x1
	scratch_store_b32 off, v32, off
	scratch_store_b96 off, v[32:34], off offset:4
	flat_load_b128 v[32:35], v[36:37]
	s_wait_loadcnt_dscnt 0x0
	ds_store_b128 v82, v[32:35]
.LBB52_115:
	s_wait_xcnt 0x0
	s_or_b32 exec_lo, exec_lo, s6
	v_dual_sub_f32 v8, v8, v16 :: v_dual_sub_f32 v9, v9, v17
	v_dual_sub_f32 v10, v10, v18 :: v_dual_sub_f32 v11, v11, v19
	v_sub_f32_e32 v12, v12, v20
	s_delay_alu instid0(VALU_DEP_3) | instskip(SKIP_1) | instid1(VALU_DEP_4)
	v_dual_mul_f32 v32, 0x3fb8aa3b, v8 :: v_dual_mul_f32 v33, 0x3fb8aa3b, v9
	v_cmp_ngt_f32_e64 s4, 0xc2ce8ed0, v8
	v_mul_f32_e32 v37, 0x3fb8aa3b, v11
	s_wait_storecnt_dscnt 0x0
	s_delay_alu instid0(VALU_DEP_3)
	v_fma_f32 v35, 0x3fb8aa3b, v8, -v32
	v_rndne_f32_e32 v36, v32
	v_rndne_f32_e32 v40, v33
	v_mul_f32_e32 v34, 0x3fb8aa3b, v10
	v_fma_f32 v39, 0x3fb8aa3b, v9, -v33
	v_fma_f32 v43, 0x3fb8aa3b, v11, -v37
	v_sub_f32_e32 v32, v32, v36
	v_sub_f32_e32 v33, v33, v40
	v_rndne_f32_e32 v42, v34
	v_fmac_f32_e32 v35, 0x32a5705f, v8
	v_fma_f32 v41, 0x3fb8aa3b, v10, -v34
	v_fmac_f32_e32 v39, 0x32a5705f, v9
	v_cvt_i32_f32_e32 v36, v36
	s_delay_alu instid0(VALU_DEP_4) | instskip(NEXT) | instid1(VALU_DEP_4)
	v_dual_sub_f32 v34, v34, v42 :: v_dual_add_f32 v32, v32, v35
	v_fmac_f32_e32 v41, 0x32a5705f, v10
	s_delay_alu instid0(VALU_DEP_4) | instskip(SKIP_1) | instid1(VALU_DEP_4)
	v_dual_mul_f32 v38, 0x3fb8aa3b, v12 :: v_dual_add_f32 v33, v33, v39
	v_rndne_f32_e32 v35, v37
	v_exp_f32_e32 v32, v32
	s_delay_alu instid0(VALU_DEP_3) | instskip(NEXT) | instid1(VALU_DEP_3)
	v_dual_fmac_f32 v43, 0x32a5705f, v11 :: v_dual_add_f32 v34, v34, v41
	v_exp_f32_e32 v33, v33
	v_cvt_i32_f32_e32 v39, v42
	s_barrier_signal -1
	s_barrier_wait -1
	s_delay_alu instid0(TRANS32_DEP_2) | instskip(SKIP_3) | instid1(VALU_DEP_3)
	v_ldexp_f32 v32, v32, v36
	v_sub_f32_e32 v37, v37, v35
	v_cvt_i32_f32_e32 v36, v40
	v_exp_f32_e32 v34, v34
	v_cndmask_b32_e64 v32, 0, v32, s4
	v_cmp_nlt_f32_e64 s4, 0x42b17218, v8
	s_delay_alu instid0(VALU_DEP_3)
	v_ldexp_f32 v33, v33, v36
	v_add_nc_u32_e32 v57, 0x4000, v156
	s_add_co_i32 s8, s8, -16
	v_sub_f32_e32 v13, v13, v21
	v_cndmask_b32_e64 v73, 0x7f800000, v32, s4
	v_cmp_ngt_f32_e64 s4, 0xc2ce8ed0, v9
	v_add_f32_e32 v37, v37, v43
	v_ldexp_f32 v32, v34, v39
	v_sub_f32_e32 v14, v14, v22
	v_cvt_f16_f32_e32 v34, v73
	v_cndmask_b32_e64 v33, 0, v33, s4
	v_cmp_ngt_f32_e64 s4, 0xc2ce8ed0, v10
	v_exp_f32_e32 v8, v37
	v_sub_f32_e32 v15, v15, v23
	v_and_b32_e32 v63, 0xffff, v34
	s_delay_alu instid0(VALU_DEP_3) | instskip(SKIP_3) | instid1(VALU_DEP_3)
	v_cndmask_b32_e64 v32, 0, v32, s4
	v_cmp_nlt_f32_e64 s4, 0x42b17218, v9
	v_cvt_i32_f32_e32 v9, v35
	v_mul_f32_e32 v35, 0x3fb8aa3b, v15
	v_cndmask_b32_e64 v74, 0x7f800000, v33, s4
	v_cmp_nlt_f32_e64 s4, 0x42b17218, v10
	s_delay_alu instid0(VALU_DEP_4)
	v_ldexp_f32 v8, v8, v9
	v_fma_f32 v9, 0x3fb8aa3b, v12, -v38
	v_rndne_f32_e32 v39, v35
	v_cvt_f16_f32_e32 v10, v74
	v_cndmask_b32_e64 v75, 0x7f800000, v32, s4
	v_rndne_f32_e32 v32, v38
	v_cmp_ngt_f32_e64 s4, 0xc2ce8ed0, v11
	v_fmac_f32_e32 v9, 0x32a5705f, v12
	v_and_b32_e32 v84, 0xffff, v10
	v_cvt_f16_f32_e32 v33, v75
	v_sub_f32_e32 v34, v38, v32
	v_cndmask_b32_e64 v8, 0, v8, s4
	v_cmp_nlt_f32_e64 s4, 0x42b17218, v11
	v_fma_f32 v38, 0x3fb8aa3b, v15, -v35
	v_and_b32_e32 v85, 0xffff, v33
	v_cvt_i32_f32_e32 v32, v32
	s_delay_alu instid0(VALU_DEP_4) | instskip(SKIP_3) | instid1(VALU_DEP_4)
	v_cndmask_b32_e64 v76, 0x7f800000, v8, s4
	v_add_f32_e32 v8, v34, v9
	v_dual_mul_f32 v9, 0x3fb8aa3b, v13 :: v_dual_mul_f32 v34, 0x3fb8aa3b, v14
	v_fmac_f32_e32 v38, 0x32a5705f, v15
	v_cvt_f16_f32_e32 v10, v76
	s_delay_alu instid0(VALU_DEP_4) | instskip(NEXT) | instid1(VALU_DEP_3)
	v_exp_f32_e32 v8, v8
	v_fma_f32 v11, 0x3fb8aa3b, v13, -v9
	v_rndne_f32_e32 v33, v9
	v_fma_f32 v36, 0x3fb8aa3b, v14, -v34
	v_rndne_f32_e32 v37, v34
	v_cmp_ngt_f32_e64 s4, 0xc2ce8ed0, v12
	v_fmac_f32_e32 v11, 0x32a5705f, v13
	s_delay_alu instid0(VALU_DEP_4) | instskip(SKIP_3) | instid1(VALU_DEP_4)
	v_dual_sub_f32 v9, v9, v33 :: v_dual_fmac_f32 v36, 0x32a5705f, v14
	v_ldexp_f32 v8, v8, v32
	v_cvt_i32_f32_e32 v32, v33
	v_and_b32_e32 v86, 0xffff, v10
	v_dual_add_f32 v9, v9, v11 :: v_dual_sub_f32 v11, v34, v37
	v_sub_f32_e32 v34, v35, v39
	v_cvt_i32_f32_e32 v33, v37
	s_delay_alu instid0(VALU_DEP_3) | instskip(NEXT) | instid1(VALU_DEP_2)
	v_exp_f32_e32 v9, v9
	v_dual_add_f32 v10, v11, v36 :: v_dual_add_f32 v11, v34, v38
	v_cvt_i32_f32_e32 v34, v39
	s_delay_alu instid0(VALU_DEP_2) | instskip(NEXT) | instid1(TRANS32_DEP_2)
	v_exp_f32_e32 v10, v10
	v_ldexp_f32 v9, v9, v32
	v_cndmask_b32_e64 v8, 0, v8, s4
	v_cmp_nlt_f32_e64 s4, 0x42b17218, v12
	v_exp_f32_e32 v11, v11
	s_delay_alu instid0(VALU_DEP_1) | instskip(SKIP_2) | instid1(TRANS32_DEP_1)
	v_cndmask_b32_e64 v77, 0x7f800000, v8, s4
	v_cmp_ngt_f32_e64 s4, 0xc2ce8ed0, v13
	v_ldexp_f32 v8, v10, v33
	v_ldexp_f32 v10, v11, v34
	s_delay_alu instid0(VALU_DEP_3) | instskip(SKIP_1) | instid1(VALU_DEP_1)
	v_cndmask_b32_e64 v12, 0, v9, s4
	v_cmp_ngt_f32_e64 s4, 0xc2ce8ed0, v14
	v_cndmask_b32_e64 v32, 0, v8, s4
	v_cmp_ngt_f32_e64 s4, 0xc2ce8ed0, v15
	s_delay_alu instid0(VALU_DEP_1) | instskip(SKIP_4) | instid1(VALU_DEP_1)
	v_cndmask_b32_e64 v33, 0, v10, s4
	v_cmp_nlt_f32_e64 s4, 0x42b17218, v13
	ds_load_b128 v[8:11], v158
	v_cndmask_b32_e64 v78, 0x7f800000, v12, s4
	v_cmp_nlt_f32_e64 s4, 0x42b17218, v14
	v_cndmask_b32_e64 v79, 0x7f800000, v32, s4
	v_cmp_nlt_f32_e64 s4, 0x42b17218, v15
	ds_load_b128 v[12:15], v158 offset:16
	v_cvt_f16_f32_e32 v32, v77
	v_cvt_f16_f32_e32 v34, v79
	v_cndmask_b32_e64 v80, 0x7f800000, v33, s4
	v_cvt_f16_f32_e32 v33, v78
	s_delay_alu instid0(VALU_DEP_4)
	v_and_b32_e32 v89, 0xffff, v32
	s_or_b32 s4, s42, 16
	v_and_b32_e32 v91, 0xffff, v34
	v_cvt_f16_f32_e32 v35, v80
	v_and_b32_e32 v90, 0xffff, v33
	s_wait_dscnt 0x1
	v_dual_lshrrev_b32 v97, 16, v8 :: v_dual_lshrrev_b32 v95, 16, v9
	v_dual_lshrrev_b32 v93, 16, v10 :: v_dual_lshrrev_b32 v87, 16, v11
	v_and_b32_e32 v92, 0xffff, v35
	ds_load_2addr_b64 v[32:35], v57 offset1:24
	ds_load_b128 v[36:39], v158 offset:32
	ds_load_b128 v[40:43], v158 offset:48
	v_and_b32_e32 v105, 0xffff, v8
	v_and_b32_e32 v103, 0xffff, v9
	;; [unrolled: 1-line block ×4, first 2 shown]
	s_wait_dscnt 0x3
	v_dual_lshrrev_b32 v98, 16, v12 :: v_dual_lshrrev_b32 v96, 16, v13
	v_dual_lshrrev_b32 v94, 16, v14 :: v_dual_lshrrev_b32 v88, 16, v15
	v_and_b32_e32 v106, 0xffff, v12
	v_and_b32_e32 v104, 0xffff, v13
	;; [unrolled: 1-line block ×4, first 2 shown]
	ds_load_2addr_b64 v[8:11], v57 offset0:48 offset1:72
	ds_load_b128 v[12:15], v158 offset:64
	ds_load_b128 v[44:47], v158 offset:80
	s_ashr_i32 s5, s4, 31
	s_delay_alu instid0(SALU_CYCLE_1)
	s_mul_u64 s[4:5], s[4:5], s[22:23]
	s_wait_dscnt 0x4
	v_dual_lshrrev_b32 v110, 16, v36 :: v_dual_lshrrev_b32 v109, 16, v37
	v_dual_lshrrev_b32 v108, 16, v38 :: v_dual_lshrrev_b32 v107, 16, v39
	v_and_b32_e32 v118, 0xffff, v36
	v_and_b32_e32 v116, 0xffff, v37
	;; [unrolled: 1-line block ×4, first 2 shown]
	ds_load_2addr_b64 v[36:39], v57 offset0:96 offset1:120
	ds_load_b128 v[48:51], v158 offset:96
	s_wait_dscnt 0x5
	v_dual_lshrrev_b32 v124, 16, v40 :: v_dual_lshrrev_b32 v123, 16, v41
	v_dual_lshrrev_b32 v122, 16, v42 :: v_dual_lshrrev_b32 v120, 16, v43
	v_and_b32_e32 v128, 0xffff, v40
	s_wait_dscnt 0x3
	v_dual_lshrrev_b32 v132, 16, v12 :: v_dual_lshrrev_b32 v131, 16, v13
	v_dual_lshrrev_b32 v130, 16, v14 :: v_dual_lshrrev_b32 v129, 16, v15
	v_and_b32_e32 v136, 0xffff, v12
	v_and_b32_e32 v135, 0xffff, v13
	;; [unrolled: 1-line block ×4, first 2 shown]
	ds_load_b128 v[12:15], v158 offset:112
	v_and_b32_e32 v127, 0xffff, v41
	v_and_b32_e32 v126, 0xffff, v42
	;; [unrolled: 1-line block ×3, first 2 shown]
	ds_load_2addr_b64 v[40:43], v57 offset0:144 offset1:168
	ds_load_b128 v[52:55], v158 offset:128
	s_wait_dscnt 0x5
	v_dual_lshrrev_b32 v140, 16, v44 :: v_dual_lshrrev_b32 v139, 16, v45
	v_dual_lshrrev_b32 v138, 16, v46 :: v_dual_lshrrev_b32 v137, 16, v47
	v_and_b32_e32 v144, 0xffff, v44
	v_and_b32_e32 v143, 0xffff, v45
	;; [unrolled: 1-line block ×4, first 2 shown]
	s_wait_dscnt 0x3
	v_dual_lshrrev_b32 v148, 16, v48 :: v_dual_lshrrev_b32 v147, 16, v49
	v_dual_lshrrev_b32 v146, 16, v50 :: v_dual_lshrrev_b32 v145, 16, v51
	v_and_b32_e32 v177, 0xffff, v48
	v_and_b32_e32 v176, 0xffff, v49
	;; [unrolled: 1-line block ×4, first 2 shown]
	ds_load_b128 v[48:51], v158 offset:144
	s_wait_dscnt 0x3
	v_dual_lshrrev_b32 v181, 16, v12 :: v_dual_lshrrev_b32 v180, 16, v13
	v_dual_lshrrev_b32 v179, 16, v14 :: v_dual_lshrrev_b32 v178, 16, v15
	v_and_b32_e32 v185, 0xffff, v12
	v_and_b32_e32 v184, 0xffff, v13
	;; [unrolled: 1-line block ×4, first 2 shown]
	ds_load_2addr_b64 v[44:47], v57 offset0:192 offset1:216
	ds_load_b128 v[12:15], v158 offset:160
	s_wait_dscnt 0x3
	v_dual_lshrrev_b32 v189, 16, v52 :: v_dual_lshrrev_b32 v188, 16, v53
	v_dual_lshrrev_b32 v187, 16, v54 :: v_dual_lshrrev_b32 v186, 16, v55
	v_and_b32_e32 v193, 0xffff, v52
	v_and_b32_e32 v192, 0xffff, v53
	;; [unrolled: 1-line block ×4, first 2 shown]
	ds_load_b128 v[52:55], v158 offset:176
	ds_load_b128 v[200:203], v158 offset:192
	v_add_nc_u32_e32 v57, 0x4400, v156
	s_wait_dscnt 0x4
	v_dual_lshrrev_b32 v197, 16, v48 :: v_dual_lshrrev_b32 v196, 16, v49
	v_dual_lshrrev_b32 v195, 16, v50 :: v_dual_lshrrev_b32 v194, 16, v51
	v_and_b32_e32 v210, 0xffff, v48
	v_and_b32_e32 v209, 0xffff, v49
	;; [unrolled: 1-line block ×4, first 2 shown]
	s_wait_dscnt 0x2
	v_dual_lshrrev_b32 v198, 16, v12 :: v_dual_lshrrev_b32 v221, 16, v13
	v_dual_lshrrev_b32 v220, 16, v14 :: v_dual_lshrrev_b32 v219, 16, v15
	v_and_b32_e32 v234, 0xffff, v12
	v_and_b32_e32 v233, 0xffff, v13
	;; [unrolled: 1-line block ×4, first 2 shown]
	ds_load_b128 v[12:15], v158 offset:208
	ds_load_2addr_b64 v[48:51], v57 offset0:112 offset1:136
	v_add_nc_u32_e32 v57, 0x4800, v156
	s_wait_dscnt 0x3
	v_dual_lshrrev_b32 v222, 16, v52 :: v_dual_lshrrev_b32 v237, 16, v53
	v_dual_lshrrev_b32 v236, 16, v54 :: v_dual_lshrrev_b32 v235, 16, v55
	v_and_b32_e32 v248, 0xffff, v52
	v_and_b32_e32 v249, 0xffff, v53
	;; [unrolled: 1-line block ×4, first 2 shown]
	ds_load_b128 v[212:215], v158 offset:224
	ds_load_2addr_b64 v[52:55], v57 offset0:32 offset1:56
	ds_load_b128 v[226:229], v158 offset:240
	s_wait_dscnt 0x5
	s_set_vgpr_msb 64                       ;  msbs: dst=1 src0=0 src1=0 src2=0
	v_dual_lshrrev_b32 v5 /*v261*/, 16, v200 :: v_dual_lshrrev_b32 v4 /*v260*/, 16, v201
	v_dual_lshrrev_b32 v3 /*v259*/, 16, v202 :: v_dual_lshrrev_b32 v2 /*v258*/, 16, v203
	v_and_b32_e32 v15 /*v271*/, 0xffff, v200
	v_and_b32_e32 v6 /*v262*/, 0xffff, v201
	;; [unrolled: 1-line block ×3, first 2 shown]
	s_wait_dscnt 0x4
	v_dual_lshrrev_b32 v23 /*v279*/, 16, v12 :: v_dual_lshrrev_b32 v20 /*v276*/, 16, v13
	v_dual_lshrrev_b32 v17 /*v273*/, 16, v14 :: v_dual_lshrrev_b32 v16 /*v272*/, 16, v15
	v_and_b32_e32 v44 /*v300*/, 0xffff, v12
	v_and_b32_e32 v41 /*v297*/, 0xffff, v13
	v_and_b32_e32 v31 /*v287*/, 0xffff, v14
	v_and_b32_e32 v29 /*v285*/, 0xffff, v15
	s_set_vgpr_msb 0                        ;  msbs: dst=0 src0=0 src1=0 src2=0
	ds_load_2addr_b64 v[12:15], v57 offset0:80 offset1:104
	s_set_vgpr_msb 64                       ;  msbs: dst=1 src0=0 src1=0 src2=0
	v_and_b32_e32 v28 /*v284*/, 0xffff, v203
	s_wait_dscnt 0x3
	v_dual_lshrrev_b32 v26 /*v282*/, 16, v212 :: v_dual_lshrrev_b32 v24 /*v280*/, 16, v213
	v_dual_lshrrev_b32 v21 /*v277*/, 16, v214 :: v_dual_lshrrev_b32 v18 /*v274*/, 16, v215
	v_and_b32_e32 v47 /*v303*/, 0xffff, v212
	v_and_b32_e32 v45 /*v301*/, 0xffff, v213
	;; [unrolled: 1-line block ×4, first 2 shown]
	s_wait_dscnt 0x1
	v_dual_lshrrev_b32 v27 /*v283*/, 16, v226 :: v_dual_lshrrev_b32 v25 /*v281*/, 16, v227
	v_dual_lshrrev_b32 v22 /*v278*/, 16, v228 :: v_dual_lshrrev_b32 v19 /*v275*/, 16, v229
	v_and_b32_e32 v48 /*v304*/, 0xffff, v226
	v_and_b32_e32 v46 /*v302*/, 0xffff, v227
	;; [unrolled: 1-line block ×4, first 2 shown]
	s_lshl_b64 s[4:5], s[4:5], 2
	s_wait_dscnt 0x0
	s_add_nc_u64 s[4:5], s[26:27], s[4:5]
	s_barrier_signal -1
	s_barrier_wait -1
	s_and_saveexec_b32 s6, vcc_lo
	s_set_vgpr_msb 0                        ;  msbs: dst=0 src0=0 src1=0 src2=0
	s_cbranch_execz .LBB52_117
; %bb.116:
	v_cmp_gt_i32_e32 vcc_lo, s8, v66
	v_mov_b32_e32 v200, 0
	v_lshl_add_u64 v[60:61], v[60:61], 2, s[4:5]
	s_delay_alu instid0(VALU_DEP_2) | instskip(NEXT) | instid1(VALU_DEP_1)
	v_mov_b32_e32 v57, v200
	v_add_nc_u64_e32 v[56:57], v[60:61], v[56:57]
	s_delay_alu instid0(VALU_DEP_1) | instskip(NEXT) | instid1(VALU_DEP_1)
	v_add_nc_u64_e32 v[56:57], 0x80, v[56:57]
	v_dual_cndmask_b32 v57, v59, v57, vcc_lo :: v_dual_mov_b32 v201, v200
	s_delay_alu instid0(VALU_DEP_2)
	v_dual_mov_b32 v202, v200 :: v_dual_cndmask_b32 v56, v58, v56, vcc_lo
	s_clause 0x1
	scratch_store_b32 off, v200, off
	scratch_store_b96 off, v[200:202], off offset:4
	flat_load_b128 v[200:203], v[56:57]
	s_wait_loadcnt_dscnt 0x0
	ds_store_b128 v83, v[200:203]
.LBB52_117:
	s_wait_xcnt 0x0
	s_or_b32 exec_lo, exec_lo, s6
	s_set_vgpr_msb 64                       ;  msbs: dst=1 src0=0 src1=0 src2=0
	v_mul_u32_u24_e32 v57 /*v313*/, 0x10001, v63
	v_mul_u32_u24_e32 v56 /*v312*/, 0x10001, v84
	;; [unrolled: 1-line block ×24, first 2 shown]
	s_set_vgpr_msb 0                        ;  msbs: dst=0 src0=0 src1=0 src2=0
	v_mul_u32_u24_e32 v250, 0x10001, v118
	v_mul_u32_u24_e32 v251, 0x10001, v110
	;; [unrolled: 1-line block ×6, first 2 shown]
	s_set_vgpr_msb 64                       ;  msbs: dst=1 src0=0 src1=0 src2=0
	v_mul_u32_u24_e32 v0 /*v256*/, 0x10001, v111
	v_mul_u32_u24_e32 v1 /*v257*/, 0x10001, v107
	s_set_vgpr_msb 0                        ;  msbs: dst=0 src0=0 src1=0 src2=0
	v_mul_u32_u24_e32 v238, 0x10001, v128
	v_mul_u32_u24_e32 v239, 0x10001, v124
	;; [unrolled: 1-line block ×72, first 2 shown]
	s_set_vgpr_msb 4                        ;  msbs: dst=0 src0=0 src1=1 src2=0
	v_mul_u32_u24_e32 v102, 0x10001, v15 /*v271*/
	v_mul_u32_u24_e32 v103, 0x10001, v5 /*v261*/
	v_mul_u32_u24_e32 v104, 0x10001, v6 /*v262*/
	v_mul_u32_u24_e32 v105, 0x10001, v4 /*v260*/
	v_mul_u32_u24_e32 v106, 0x10001, v30 /*v286*/
	v_mul_u32_u24_e32 v107, 0x10001, v3 /*v259*/
	v_mul_u32_u24_e32 v108, 0x10001, v28 /*v284*/
	v_mul_u32_u24_e32 v109, 0x10001, v2 /*v258*/
	v_mul_u32_u24_e32 v94, 0x10001, v44 /*v300*/
	v_mul_u32_u24_e32 v95, 0x10001, v23 /*v279*/
	v_mul_u32_u24_e32 v96, 0x10001, v41 /*v297*/
	v_mul_u32_u24_e32 v97, 0x10001, v20 /*v276*/
	v_mul_u32_u24_e32 v98, 0x10001, v31 /*v287*/
	v_mul_u32_u24_e32 v99, 0x10001, v17 /*v273*/
	v_mul_u32_u24_e32 v100, 0x10001, v29 /*v285*/
	v_mul_u32_u24_e32 v101, 0x10001, v16 /*v272*/
	v_mul_u32_u24_e32 v86, 0x10001, v47 /*v303*/
	v_mul_u32_u24_e32 v87, 0x10001, v26 /*v282*/
	v_mul_u32_u24_e32 v88, 0x10001, v45 /*v301*/
	v_mul_u32_u24_e32 v89, 0x10001, v24 /*v280*/
	v_mul_u32_u24_e32 v90, 0x10001, v42 /*v298*/
	v_mul_u32_u24_e32 v91, 0x10001, v21 /*v277*/
	v_mul_u32_u24_e32 v92, 0x10001, v32 /*v288*/
	v_mul_u32_u24_e32 v93, 0x10001, v18 /*v274*/
	v_mul_u32_u24_e32 v84, 0x10001, v48 /*v304*/
	v_mul_u32_u24_e32 v85, 0x10001, v27 /*v283*/
	v_mul_u32_u24_e32 v56, 0x10001, v46 /*v302*/
	v_mul_u32_u24_e32 v57, 0x10001, v25 /*v281*/
	v_mul_u32_u24_e32 v60, 0x10001, v43 /*v299*/
	v_mul_u32_u24_e32 v61, 0x10001, v22 /*v278*/
	v_mul_u32_u24_e32 v66, 0x10001, v49 /*v305*/
	v_mul_u32_u24_e32 v83, 0x10001, v19 /*v275*/
	s_and_saveexec_b32 s6, s3
	s_set_vgpr_msb 0                        ;  msbs: dst=0 src0=0 src1=0 src2=0
	s_cbranch_execz .LBB52_119
; %bb.118:
	v_cmp_gt_i32_e32 vcc_lo, s8, v81
	v_mov_b32_e32 v182, 0
	v_lshl_add_u64 v[64:65], v[64:65], 2, s[4:5]
	s_delay_alu instid0(VALU_DEP_2) | instskip(NEXT) | instid1(VALU_DEP_1)
	v_mov_b32_e32 v63, v182
	v_add_nc_u64_e32 v[62:63], v[64:65], v[62:63]
	s_delay_alu instid0(VALU_DEP_1) | instskip(SKIP_1) | instid1(VALU_DEP_3)
	v_dual_cndmask_b32 v59, v59, v63, vcc_lo :: v_dual_mov_b32 v183, v182
	v_mov_b32_e32 v184, v182
	v_cndmask_b32_e32 v58, v58, v62, vcc_lo
	s_clause 0x1
	scratch_store_b32 off, v182, off
	scratch_store_b96 off, v[182:184], off offset:4
	flat_load_b128 v[62:65], v[58:59]
	s_wait_loadcnt_dscnt 0x0
	ds_store_b128 v82, v[62:65]
.LBB52_119:
	s_wait_xcnt 0x0
	s_or_b32 exec_lo, exec_lo, s6
	s_set_vgpr_msb 4                        ;  msbs: dst=0 src0=0 src1=1 src2=0
	v_pk_mul_f16 v58, v174, v57 /*v313*/
	v_pk_mul_f16 v59, v175, v57 /*v313*/
	;; [unrolled: 1-line block ×16, first 2 shown]
	v_pk_fma_f16 v58, v32, v33 /*v289*/, v58
	v_pk_fma_f16 v62, v32, v34 /*v290*/, v62
	;; [unrolled: 1-line block ×32, first 2 shown]
	s_set_vgpr_msb 0                        ;  msbs: dst=0 src0=0 src1=0 src2=0
	v_pk_fma_f16 v35, v8, v250, v58
	v_pk_fma_f16 v58, v8, v251, v62
	;; [unrolled: 1-line block ×6, first 2 shown]
	s_set_vgpr_msb 4                        ;  msbs: dst=0 src0=0 src1=1 src2=0
	v_pk_fma_f16 v161, v8, v0 /*v256*/, v161
	v_pk_fma_f16 v8, v8, v1 /*v257*/, v32
	s_set_vgpr_msb 0                        ;  msbs: dst=0 src0=0 src1=0 src2=0
	v_pk_fma_f16 v32, v9, v250, v34
	v_pk_fma_f16 v34, v9, v251, v59
	;; [unrolled: 1-line block ×6, first 2 shown]
	s_set_vgpr_msb 4                        ;  msbs: dst=0 src0=0 src1=1 src2=0
	v_pk_fma_f16 v159, v9, v0 /*v256*/, v162
	v_pk_fma_f16 v9, v9, v1 /*v257*/, v33
	s_set_vgpr_msb 0                        ;  msbs: dst=0 src0=0 src1=0 src2=0
	v_pk_fma_f16 v33, v10, v238, v35
	v_pk_fma_f16 v35, v10, v239, v58
	;; [unrolled: 1-line block ×195, first 2 shown]
	s_wait_storecnt_dscnt 0x0
	s_barrier_signal -1
	s_barrier_wait -1
	ds_load_b128 v[8:11], v158 offset:256
	v_dual_fmac_f32 v29, v5, v78 :: v_dual_add_nc_u32 v52, 0x4000, v156
	v_pk_fma_f16 v44, v14, v85, v33
	v_pk_fma_f16 v45, v14, v56, v35
	;; [unrolled: 1-line block ×13, first 2 shown]
	v_dual_fmac_f32 v24, v0, v73 :: v_dual_fmac_f32 v25, v1, v74
	v_dual_fmac_f32 v26, v2, v75 :: v_dual_fmac_f32 v27, v3, v76
	;; [unrolled: 1-line block ×3, first 2 shown]
	s_wait_dscnt 0x0
	v_dual_fmac_f32 v31, v7, v80 :: v_dual_lshrrev_b32 v54, 16, v9
	ds_load_2addr_b64 v[0:3], v52 offset1:24
	ds_load_b128 v[4:7], v158 offset:272
	ds_load_b128 v[12:15], v158 offset:288
	ds_load_b128 v[32:35], v158 offset:304
	v_dual_lshrrev_b32 v53, 16, v8 :: v_dual_lshrrev_b32 v55, 16, v10
	v_and_b32_e32 v10, 0xffff, v10
	v_and_b32_e32 v8, 0xffff, v8
	v_lshrrev_b32_e32 v56, 16, v11
	v_and_b32_e32 v9, 0xffff, v9
	v_and_b32_e32 v11, 0xffff, v11
	v_mul_u32_u24_e32 v10, 0x10001, v10
	v_mul_u32_u24_e32 v55, 0x10001, v55
	v_mul_u32_u24_e32 v8, 0x10001, v8
	v_mul_u32_u24_e32 v53, 0x10001, v53
	v_mul_u32_u24_e32 v9, 0x10001, v9
	v_mul_u32_u24_e32 v54, 0x10001, v54
	v_mul_u32_u24_e32 v11, 0x10001, v11
	s_wait_dscnt 0x3
	v_pk_fma_f16 v39, v0, v10, v39
	v_pk_fma_f16 v10, v1, v10, v36
	;; [unrolled: 1-line block ×3, first 2 shown]
	s_wait_dscnt 0x2
	v_lshrrev_b32_e32 v38, 16, v4
	v_mul_u32_u24_e32 v56, 0x10001, v56
	v_pk_fma_f16 v42, v0, v8, v42
	v_pk_fma_f16 v44, v0, v53, v44
	;; [unrolled: 1-line block ×10, first 2 shown]
	v_and_b32_e32 v4, 0xffff, v4
	v_dual_lshrrev_b32 v40, 16, v5 :: v_dual_lshrrev_b32 v48, 16, v6
	v_lshrrev_b32_e32 v49, 16, v7
	v_and_b32_e32 v5, 0xffff, v5
	v_and_b32_e32 v6, 0xffff, v6
	;; [unrolled: 1-line block ×3, first 2 shown]
	v_pk_fma_f16 v8, v1, v8, v47
	v_pk_fma_f16 v47, v1, v54, v50
	v_mul_u32_u24_e32 v4, 0x10001, v4
	v_mul_u32_u24_e32 v38, 0x10001, v38
	v_mul_u32_u24_e32 v5, 0x10001, v5
	v_mul_u32_u24_e32 v40, 0x10001, v40
	v_mul_u32_u24_e32 v6, 0x10001, v6
	v_mul_u32_u24_e32 v48, 0x10001, v48
	v_mul_u32_u24_e32 v50, 0x10001, v7
	v_mul_u32_u24_e32 v49, 0x10001, v49
	v_pk_fma_f16 v42, v2, v4, v42
	v_pk_fma_f16 v44, v2, v38, v44
	;; [unrolled: 1-line block ×11, first 2 shown]
	ds_load_2addr_b64 v[4:7], v52 offset0:48 offset1:72
	v_pk_fma_f16 v1, v1, v56, v51
	v_pk_fma_f16 v8, v3, v38, v46
	;; [unrolled: 1-line block ×6, first 2 shown]
	s_wait_dscnt 0x2
	v_lshrrev_b32_e32 v3, 16, v12
	v_and_b32_e32 v12, 0xffff, v12
	v_dual_lshrrev_b32 v40, 16, v13 :: v_dual_lshrrev_b32 v46, 16, v14
	v_lshrrev_b32_e32 v47, 16, v15
	v_and_b32_e32 v13, 0xffff, v13
	v_and_b32_e32 v14, 0xffff, v14
	;; [unrolled: 1-line block ×3, first 2 shown]
	v_mul_u32_u24_e32 v12, 0x10001, v12
	v_mul_u32_u24_e32 v3, 0x10001, v3
	;; [unrolled: 1-line block ×8, first 2 shown]
	s_wait_dscnt 0x0
	v_pk_fma_f16 v42, v4, v12, v42
	v_pk_fma_f16 v44, v4, v3, v44
	;; [unrolled: 1-line block ×16, first 2 shown]
	v_lshrrev_b32_e32 v0, 16, v32
	v_and_b32_e32 v1, 0xffff, v32
	v_dual_lshrrev_b32 v2, 16, v33 :: v_dual_lshrrev_b32 v3, 16, v34
	v_and_b32_e32 v32, 0xffff, v33
	v_lshrrev_b32_e32 v11, 16, v35
	s_delay_alu instid0(VALU_DEP_4)
	v_mul_u32_u24_e32 v33, 0x10001, v1
	v_and_b32_e32 v1, 0xffff, v34
	v_mul_u32_u24_e32 v34, 0x10001, v0
	v_and_b32_e32 v0, 0xffff, v35
	v_mul_u32_u24_e32 v35, 0x10001, v2
	v_mul_u32_u24_e32 v38, 0x10001, v3
	;; [unrolled: 1-line block ×5, first 2 shown]
	ds_load_b128 v[0:3], v158 offset:320
	v_mul_u32_u24_e32 v46, 0x10001, v11
	v_pk_fma_f16 v42, v6, v33, v42
	v_pk_fma_f16 v44, v6, v34, v44
	;; [unrolled: 1-line block ×14, first 2 shown]
	ds_load_2addr_b64 v[8:11], v52 offset0:96 offset1:120
	v_pk_fma_f16 v15, v7, v40, v15
	v_pk_fma_f16 v35, v7, v46, v5
	ds_load_b128 v[4:7], v158 offset:336
	s_wait_dscnt 0x2
	v_lshrrev_b32_e32 v36, 16, v0
	v_and_b32_e32 v0, 0xffff, v0
	v_dual_lshrrev_b32 v38, 16, v1 :: v_dual_lshrrev_b32 v40, 16, v2
	v_and_b32_e32 v1, 0xffff, v1
	v_lshrrev_b32_e32 v46, 16, v3
	s_delay_alu instid0(VALU_DEP_4)
	v_mul_u32_u24_e32 v0, 0x10001, v0
	v_and_b32_e32 v2, 0xffff, v2
	v_and_b32_e32 v3, 0xffff, v3
	v_mul_u32_u24_e32 v1, 0x10001, v1
	v_mul_u32_u24_e32 v36, 0x10001, v36
	;; [unrolled: 1-line block ×6, first 2 shown]
	s_wait_dscnt 0x1
	v_pk_fma_f16 v42, v8, v0, v42
	v_pk_fma_f16 v45, v8, v1, v45
	;; [unrolled: 1-line block ×4, first 2 shown]
	s_wait_dscnt 0x0
	v_lshrrev_b32_e32 v0, 16, v4
	v_mul_u32_u24_e32 v46, 0x10001, v46
	v_and_b32_e32 v1, 0xffff, v4
	v_pk_fma_f16 v39, v8, v2, v39
	v_pk_fma_f16 v43, v8, v3, v43
	;; [unrolled: 1-line block ×8, first 2 shown]
	v_dual_lshrrev_b32 v2, 16, v5 :: v_dual_lshrrev_b32 v3, 16, v6
	v_mul_u32_u24_e32 v35, 0x10001, v1
	v_and_b32_e32 v1, 0xffff, v6
	v_mul_u32_u24_e32 v6, 0x10001, v0
	v_and_b32_e32 v0, 0xffff, v7
	v_pk_fma_f16 v44, v8, v36, v44
	v_pk_fma_f16 v37, v8, v38, v37
	;; [unrolled: 1-line block ×3, first 2 shown]
	v_lshrrev_b32_e32 v4, 16, v7
	v_and_b32_e32 v5, 0xffff, v5
	v_mul_u32_u24_e32 v7, 0x10001, v2
	v_mul_u32_u24_e32 v36, 0x10001, v1
	;; [unrolled: 1-line block ×4, first 2 shown]
	ds_load_b128 v[0:3], v158 offset:352
	v_pk_fma_f16 v8, v8, v46, v47
	v_mul_u32_u24_e32 v5, 0x10001, v5
	v_mul_u32_u24_e32 v46, 0x10001, v4
	v_pk_fma_f16 v42, v10, v35, v42
	v_pk_fma_f16 v44, v10, v6, v44
	;; [unrolled: 1-line block ×14, first 2 shown]
	ds_load_2addr_b64 v[4:7], v52 offset0:144 offset1:168
	v_pk_fma_f16 v15, v11, v40, v15
	v_pk_fma_f16 v35, v11, v46, v9
	ds_load_b128 v[8:11], v158 offset:368
	s_wait_dscnt 0x2
	v_lshrrev_b32_e32 v36, 16, v0
	v_and_b32_e32 v0, 0xffff, v0
	v_dual_lshrrev_b32 v38, 16, v1 :: v_dual_lshrrev_b32 v40, 16, v2
	v_and_b32_e32 v1, 0xffff, v1
	v_lshrrev_b32_e32 v46, 16, v3
	s_delay_alu instid0(VALU_DEP_4)
	v_mul_u32_u24_e32 v0, 0x10001, v0
	v_and_b32_e32 v2, 0xffff, v2
	v_and_b32_e32 v3, 0xffff, v3
	v_mul_u32_u24_e32 v1, 0x10001, v1
	v_mul_u32_u24_e32 v36, 0x10001, v36
	;; [unrolled: 1-line block ×6, first 2 shown]
	s_wait_dscnt 0x1
	v_pk_fma_f16 v42, v4, v0, v42
	v_pk_fma_f16 v45, v4, v1, v45
	;; [unrolled: 1-line block ×4, first 2 shown]
	s_wait_dscnt 0x0
	v_lshrrev_b32_e32 v0, 16, v8
	v_mul_u32_u24_e32 v46, 0x10001, v46
	v_and_b32_e32 v1, 0xffff, v8
	v_pk_fma_f16 v39, v4, v2, v39
	v_pk_fma_f16 v43, v4, v3, v43
	;; [unrolled: 1-line block ×8, first 2 shown]
	v_dual_lshrrev_b32 v2, 16, v9 :: v_dual_lshrrev_b32 v3, 16, v10
	v_mul_u32_u24_e32 v35, 0x10001, v1
	v_and_b32_e32 v1, 0xffff, v10
	v_mul_u32_u24_e32 v10, 0x10001, v0
	v_and_b32_e32 v0, 0xffff, v11
	v_pk_fma_f16 v44, v4, v36, v44
	v_pk_fma_f16 v37, v4, v38, v37
	;; [unrolled: 1-line block ×3, first 2 shown]
	v_lshrrev_b32_e32 v8, 16, v11
	v_and_b32_e32 v9, 0xffff, v9
	v_mul_u32_u24_e32 v11, 0x10001, v2
	v_mul_u32_u24_e32 v36, 0x10001, v1
	;; [unrolled: 1-line block ×4, first 2 shown]
	ds_load_b128 v[0:3], v158 offset:384
	v_pk_fma_f16 v4, v4, v46, v47
	v_mul_u32_u24_e32 v9, 0x10001, v9
	v_mul_u32_u24_e32 v46, 0x10001, v8
	v_pk_fma_f16 v42, v6, v35, v42
	v_pk_fma_f16 v44, v6, v10, v44
	;; [unrolled: 1-line block ×14, first 2 shown]
	ds_load_2addr_b64 v[8:11], v52 offset0:192 offset1:216
	v_pk_fma_f16 v15, v7, v40, v15
	v_pk_fma_f16 v35, v7, v46, v5
	ds_load_b128 v[4:7], v158 offset:400
	s_wait_dscnt 0x2
	v_lshrrev_b32_e32 v36, 16, v0
	v_and_b32_e32 v0, 0xffff, v0
	v_dual_lshrrev_b32 v38, 16, v1 :: v_dual_lshrrev_b32 v40, 16, v2
	v_and_b32_e32 v1, 0xffff, v1
	v_lshrrev_b32_e32 v46, 16, v3
	s_delay_alu instid0(VALU_DEP_4)
	v_mul_u32_u24_e32 v0, 0x10001, v0
	v_and_b32_e32 v2, 0xffff, v2
	v_and_b32_e32 v3, 0xffff, v3
	v_mul_u32_u24_e32 v1, 0x10001, v1
	v_mul_u32_u24_e32 v36, 0x10001, v36
	;; [unrolled: 1-line block ×6, first 2 shown]
	s_wait_dscnt 0x1
	v_pk_fma_f16 v42, v8, v0, v42
	v_pk_fma_f16 v45, v8, v1, v45
	;; [unrolled: 1-line block ×4, first 2 shown]
	s_wait_dscnt 0x0
	v_lshrrev_b32_e32 v0, 16, v4
	v_mul_u32_u24_e32 v46, 0x10001, v46
	v_and_b32_e32 v1, 0xffff, v4
	v_pk_fma_f16 v39, v8, v2, v39
	v_pk_fma_f16 v43, v8, v3, v43
	;; [unrolled: 1-line block ×8, first 2 shown]
	v_dual_lshrrev_b32 v2, 16, v5 :: v_dual_lshrrev_b32 v3, 16, v6
	v_mul_u32_u24_e32 v35, 0x10001, v1
	v_and_b32_e32 v1, 0xffff, v6
	v_mul_u32_u24_e32 v6, 0x10001, v0
	v_and_b32_e32 v0, 0xffff, v7
	v_pk_fma_f16 v44, v8, v36, v44
	v_pk_fma_f16 v37, v8, v38, v37
	;; [unrolled: 1-line block ×3, first 2 shown]
	v_lshrrev_b32_e32 v4, 16, v7
	v_and_b32_e32 v5, 0xffff, v5
	v_mul_u32_u24_e32 v7, 0x10001, v2
	v_mul_u32_u24_e32 v36, 0x10001, v1
	;; [unrolled: 1-line block ×4, first 2 shown]
	ds_load_b128 v[0:3], v158 offset:416
	v_pk_fma_f16 v8, v8, v46, v47
	v_mul_u32_u24_e32 v5, 0x10001, v5
	v_mul_u32_u24_e32 v46, 0x10001, v4
	v_add_nc_u32_e32 v4, 0x4400, v156
	v_pk_fma_f16 v42, v10, v35, v42
	v_pk_fma_f16 v44, v10, v6, v44
	;; [unrolled: 1-line block ×14, first 2 shown]
	ds_load_2addr_b64 v[4:7], v4 offset0:112 offset1:136
	v_pk_fma_f16 v15, v11, v40, v15
	v_pk_fma_f16 v35, v11, v46, v9
	ds_load_b128 v[8:11], v158 offset:432
	s_wait_dscnt 0x2
	v_lshrrev_b32_e32 v36, 16, v0
	v_and_b32_e32 v0, 0xffff, v0
	v_dual_lshrrev_b32 v38, 16, v1 :: v_dual_lshrrev_b32 v40, 16, v2
	v_and_b32_e32 v1, 0xffff, v1
	v_lshrrev_b32_e32 v46, 16, v3
	s_delay_alu instid0(VALU_DEP_4)
	v_mul_u32_u24_e32 v0, 0x10001, v0
	v_and_b32_e32 v2, 0xffff, v2
	v_and_b32_e32 v3, 0xffff, v3
	v_mul_u32_u24_e32 v1, 0x10001, v1
	v_mul_u32_u24_e32 v36, 0x10001, v36
	;; [unrolled: 1-line block ×6, first 2 shown]
	s_wait_dscnt 0x1
	v_pk_fma_f16 v42, v4, v0, v42
	v_pk_fma_f16 v45, v4, v1, v45
	v_pk_fma_f16 v12, v5, v0, v12
	v_pk_fma_f16 v32, v5, v1, v32
	s_wait_dscnt 0x0
	v_lshrrev_b32_e32 v0, 16, v8
	v_mul_u32_u24_e32 v46, 0x10001, v46
	v_and_b32_e32 v1, 0xffff, v8
	v_pk_fma_f16 v39, v4, v2, v39
	v_pk_fma_f16 v43, v4, v3, v43
	;; [unrolled: 1-line block ×8, first 2 shown]
	v_dual_lshrrev_b32 v2, 16, v9 :: v_dual_lshrrev_b32 v3, 16, v10
	v_mul_u32_u24_e32 v35, 0x10001, v1
	v_and_b32_e32 v1, 0xffff, v10
	v_mul_u32_u24_e32 v10, 0x10001, v0
	v_and_b32_e32 v0, 0xffff, v11
	v_pk_fma_f16 v44, v4, v36, v44
	v_pk_fma_f16 v37, v4, v38, v37
	;; [unrolled: 1-line block ×3, first 2 shown]
	v_lshrrev_b32_e32 v8, 16, v11
	v_and_b32_e32 v9, 0xffff, v9
	v_mul_u32_u24_e32 v11, 0x10001, v2
	v_mul_u32_u24_e32 v36, 0x10001, v1
	;; [unrolled: 1-line block ×4, first 2 shown]
	ds_load_b128 v[0:3], v158 offset:448
	v_pk_fma_f16 v4, v4, v46, v47
	v_mul_u32_u24_e32 v9, 0x10001, v9
	v_mul_u32_u24_e32 v46, 0x10001, v8
	v_pk_fma_f16 v42, v6, v35, v42
	v_pk_fma_f16 v12, v7, v35, v12
	v_add_nc_u32_e32 v35, 0x4800, v156
	v_pk_fma_f16 v44, v6, v10, v44
	v_pk_fma_f16 v45, v6, v9, v45
	;; [unrolled: 1-line block ×12, first 2 shown]
	ds_load_2addr_b64 v[8:11], v35 offset0:32 offset1:56
	v_pk_fma_f16 v15, v7, v40, v15
	v_pk_fma_f16 v36, v7, v46, v5
	ds_load_b128 v[4:7], v158 offset:464
	s_wait_dscnt 0x2
	v_lshrrev_b32_e32 v38, 16, v0
	v_and_b32_e32 v0, 0xffff, v0
	v_dual_lshrrev_b32 v40, 16, v1 :: v_dual_lshrrev_b32 v46, 16, v2
	v_and_b32_e32 v1, 0xffff, v1
	v_lshrrev_b32_e32 v48, 16, v3
	s_delay_alu instid0(VALU_DEP_4)
	v_mul_u32_u24_e32 v0, 0x10001, v0
	v_and_b32_e32 v2, 0xffff, v2
	v_and_b32_e32 v3, 0xffff, v3
	v_mul_u32_u24_e32 v1, 0x10001, v1
	v_mul_u32_u24_e32 v38, 0x10001, v38
	;; [unrolled: 1-line block ×6, first 2 shown]
	s_wait_dscnt 0x1
	v_pk_fma_f16 v42, v8, v0, v42
	v_pk_fma_f16 v45, v8, v1, v45
	;; [unrolled: 1-line block ×4, first 2 shown]
	s_wait_dscnt 0x0
	v_lshrrev_b32_e32 v0, 16, v4
	v_mul_u32_u24_e32 v48, 0x10001, v48
	v_and_b32_e32 v1, 0xffff, v4
	v_pk_fma_f16 v39, v8, v2, v39
	v_pk_fma_f16 v43, v8, v3, v43
	;; [unrolled: 1-line block ×8, first 2 shown]
	v_dual_lshrrev_b32 v2, 16, v5 :: v_dual_lshrrev_b32 v3, 16, v6
	v_mul_u32_u24_e32 v36, 0x10001, v1
	v_and_b32_e32 v1, 0xffff, v6
	v_mul_u32_u24_e32 v6, 0x10001, v0
	v_and_b32_e32 v0, 0xffff, v7
	v_pk_fma_f16 v44, v8, v38, v44
	v_pk_fma_f16 v37, v8, v40, v37
	;; [unrolled: 1-line block ×3, first 2 shown]
	v_lshrrev_b32_e32 v4, 16, v7
	v_and_b32_e32 v5, 0xffff, v5
	v_mul_u32_u24_e32 v7, 0x10001, v2
	v_mul_u32_u24_e32 v38, 0x10001, v1
	;; [unrolled: 1-line block ×4, first 2 shown]
	ds_load_b128 v[0:3], v158 offset:480
	v_pk_fma_f16 v8, v8, v48, v47
	v_mul_u32_u24_e32 v5, 0x10001, v5
	v_mul_u32_u24_e32 v47, 0x10001, v4
	v_pk_fma_f16 v42, v10, v36, v42
	v_pk_fma_f16 v44, v10, v6, v44
	;; [unrolled: 1-line block ×14, first 2 shown]
	ds_load_2addr_b64 v[4:7], v35 offset0:80 offset1:104
	v_pk_fma_f16 v15, v11, v46, v15
	v_pk_fma_f16 v35, v11, v47, v9
	ds_load_b128 v[8:11], v158 offset:496
	s_wait_dscnt 0x2
	v_lshrrev_b32_e32 v36, 16, v0
	v_and_b32_e32 v0, 0xffff, v0
	v_dual_lshrrev_b32 v38, 16, v1 :: v_dual_lshrrev_b32 v40, 16, v2
	v_lshrrev_b32_e32 v46, 16, v3
	v_and_b32_e32 v1, 0xffff, v1
	v_and_b32_e32 v2, 0xffff, v2
	v_and_b32_e32 v3, 0xffff, v3
	v_mul_u32_u24_e32 v0, 0x10001, v0
	v_mul_u32_u24_e32 v36, 0x10001, v36
	;; [unrolled: 1-line block ×7, first 2 shown]
	s_wait_dscnt 0x0
	v_pk_fma_f16 v42, v4, v0, v42
	v_pk_fma_f16 v45, v4, v1, v45
	;; [unrolled: 1-line block ×9, first 2 shown]
	v_lshrrev_b32_e32 v15, 16, v8
	v_and_b32_e32 v8, 0xffff, v8
	v_dual_lshrrev_b32 v32, 16, v9 :: v_dual_lshrrev_b32 v33, 16, v10
	v_lshrrev_b32_e32 v34, 16, v11
	v_and_b32_e32 v9, 0xffff, v9
	v_and_b32_e32 v10, 0xffff, v10
	;; [unrolled: 1-line block ×3, first 2 shown]
	v_mul_u32_u24_e32 v46, 0x10001, v46
	v_pk_fma_f16 v44, v4, v36, v44
	v_pk_fma_f16 v13, v5, v38, v13
	;; [unrolled: 1-line block ×3, first 2 shown]
	v_mul_u32_u24_e32 v8, 0x10001, v8
	v_mul_u32_u24_e32 v15, 0x10001, v15
	;; [unrolled: 1-line block ×7, first 2 shown]
	v_pk_fma_f16 v37, v4, v38, v37
	v_pk_fma_f16 v41, v4, v40, v41
	;; [unrolled: 1-line block ×4, first 2 shown]
	v_mul_u32_u24_e32 v34, 0x10001, v34
	v_pk_fma_f16 v174, v6, v8, v42
	v_pk_fma_f16 v172, v6, v15, v44
	;; [unrolled: 1-line block ×12, first 2 shown]
	v_mov_b64_e32 v[8:9], v[16:17]
	v_mov_b64_e32 v[10:11], v[18:19]
	;; [unrolled: 1-line block ×4, first 2 shown]
	v_pk_fma_f16 v167, v6, v32, v37
	v_pk_fma_f16 v163, v6, v33, v41
	;; [unrolled: 1-line block ×4, first 2 shown]
	s_barrier_signal -1
	s_barrier_wait -1
.LBB52_120:
	v_cmp_lt_i32_e32 vcc_lo, v72, v67
	s_cmp_eq_u64 s[24:25], 0
	s_cselect_b32 s3, -1, 0
	s_cmp_lg_u32 s35, 0
	v_cndmask_b32_e32 v0, v157, v72, vcc_lo
	v_cmp_lt_i32_e32 vcc_lo, v71, v67
	s_cselect_b32 s4, -1, 0
	s_delay_alu instid0(SALU_CYCLE_1)
	s_or_b32 s3, s4, s3
	v_cndmask_b32_e32 v16, v157, v71, vcc_lo
	v_cmp_lt_i32_e32 vcc_lo, v70, v67
	v_lshlrev_b32_e32 v7, 2, v0
	ds_bpermute_b32 v0, v7, v24
	ds_bpermute_b32 v1, v7, v25
	s_wait_dscnt 0x0
	v_pk_add_f32 v[0:1], v[24:25], v[0:1]
	v_cndmask_b32_e32 v24, v157, v70, vcc_lo
	ds_bpermute_b32 v2, v7, v26
	ds_bpermute_b32 v3, v7, v27
	;; [unrolled: 1-line block ×6, first 2 shown]
	v_cmp_lt_i32_e32 vcc_lo, v69, v67
	v_lshlrev_b32_e32 v23, 2, v16
	v_lshlrev_b32_e32 v24, 2, v24
	ds_bpermute_b32 v16, v23, v0
	ds_bpermute_b32 v17, v23, v1
	s_wait_dscnt 0x6
	v_pk_add_f32 v[2:3], v[26:27], v[2:3]
	s_wait_dscnt 0x4
	v_pk_add_f32 v[4:5], v[28:29], v[4:5]
	;; [unrolled: 2-line block ×3, first 2 shown]
	ds_bpermute_b32 v18, v23, v2
	ds_bpermute_b32 v19, v23, v3
	ds_bpermute_b32 v20, v23, v4
	ds_bpermute_b32 v21, v23, v5
	ds_bpermute_b32 v22, v23, v6
	ds_bpermute_b32 v23, v23, v7
	s_wait_dscnt 0x6
	v_pk_add_f32 v[0:1], v[0:1], v[16:17]
	ds_bpermute_b32 v16, v24, v0
	ds_bpermute_b32 v17, v24, v1
	s_wait_dscnt 0x6
	v_pk_add_f32 v[2:3], v[2:3], v[18:19]
	s_wait_dscnt 0x4
	v_pk_add_f32 v[4:5], v[4:5], v[20:21]
	;; [unrolled: 2-line block ×3, first 2 shown]
	ds_bpermute_b32 v18, v24, v2
	ds_bpermute_b32 v19, v24, v3
	;; [unrolled: 1-line block ×6, first 2 shown]
	v_cndmask_b32_e32 v24, v157, v69, vcc_lo
	s_wait_dscnt 0x6
	v_pk_add_f32 v[0:1], v[0:1], v[16:17]
	v_cmp_lt_i32_e32 vcc_lo, v68, v67
	s_delay_alu instid0(VALU_DEP_3)
	v_lshlrev_b32_e32 v24, 2, v24
	ds_bpermute_b32 v16, v24, v0
	ds_bpermute_b32 v17, v24, v1
	s_wait_dscnt 0x6
	v_pk_add_f32 v[2:3], v[2:3], v[18:19]
	s_wait_dscnt 0x4
	v_pk_add_f32 v[4:5], v[4:5], v[20:21]
	;; [unrolled: 2-line block ×3, first 2 shown]
	ds_bpermute_b32 v18, v24, v2
	ds_bpermute_b32 v19, v24, v3
	;; [unrolled: 1-line block ×6, first 2 shown]
	v_cndmask_b32_e32 v24, v157, v68, vcc_lo
	s_and_b32 vcc_lo, exec_lo, s3
	s_delay_alu instid0(VALU_DEP_1)
	v_lshlrev_b32_e32 v25, 2, v24
	s_wait_dscnt 0x6
	v_pk_add_f32 v[0:1], v[0:1], v[16:17]
	s_wait_dscnt 0x4
	v_pk_add_f32 v[2:3], v[2:3], v[18:19]
	;; [unrolled: 2-line block ×3, first 2 shown]
	ds_bpermute_b32 v4, v25, v0
	s_wait_dscnt 0x1
	v_pk_add_f32 v[18:19], v[6:7], v[22:23]
	ds_bpermute_b32 v5, v25, v1
	ds_bpermute_b32 v20, v25, v2
	;; [unrolled: 1-line block ×7, first 2 shown]
	s_wait_dscnt 0x6
	v_pk_add_f32 v[6:7], v[0:1], v[4:5]
	s_wait_dscnt 0x4
	v_pk_add_f32 v[4:5], v[2:3], v[20:21]
	;; [unrolled: 2-line block ×4, first 2 shown]
	s_cbranch_vccnz .LBB52_122
; %bb.121:
	v_dual_mov_b32 v16, s33 :: v_dual_max_num_f32 v17, v9, v9
	v_dual_max_num_f32 v20, v12, v12 :: v_dual_max_num_f32 v21, v13, v13
	v_dual_max_num_f32 v22, v14, v14 :: v_dual_max_num_f32 v25, v15, v15
	global_load_b32 v24, v16, s[24:25] scale_offset
	s_wait_xcnt 0x0
	v_dual_max_num_f32 v16, v8, v8 :: v_dual_max_num_f32 v18, v10, v10
	s_wait_loadcnt 0x0
	v_dual_max_num_f32 v19, v11, v11 :: v_dual_max_num_f32 v23, v24, v24
	s_delay_alu instid0(VALU_DEP_1) | instskip(NEXT) | instid1(VALU_DEP_2)
	v_dual_max_num_f32 v16, v16, v23 :: v_dual_max_num_f32 v17, v17, v23
	v_dual_max_num_f32 v18, v18, v23 :: v_dual_max_num_f32 v19, v19, v23
	;; [unrolled: 1-line block ×3, first 2 shown]
	s_delay_alu instid0(VALU_DEP_3) | instskip(SKIP_4) | instid1(VALU_DEP_3)
	v_dual_sub_f32 v8, v8, v16 :: v_dual_sub_f32 v9, v9, v17
	v_dual_max_num_f32 v22, v22, v23 :: v_dual_max_num_f32 v23, v25, v23
	v_dual_sub_f32 v25, v24, v16 :: v_dual_sub_f32 v26, v24, v17
	v_dual_sub_f32 v27, v10, v18 :: v_dual_sub_f32 v28, v24, v18
	;; [unrolled: 1-line block ×3, first 2 shown]
	v_dual_mul_f32 v10, 0x3fb8aa3b, v8 :: v_dual_mul_f32 v11, 0x3fb8aa3b, v25
	v_dual_sub_f32 v31, v12, v20 :: v_dual_sub_f32 v33, v13, v21
	v_dual_sub_f32 v32, v24, v20 :: v_dual_sub_f32 v34, v24, v21
	;; [unrolled: 1-line block ×4, first 2 shown]
	v_dual_mul_f32 v12, 0x3fb8aa3b, v9 :: v_dual_mul_f32 v13, 0x3fb8aa3b, v26
	v_dual_mul_f32 v24, 0x3fb8aa3b, v29 :: v_dual_mul_f32 v39, 0x3fb8aa3b, v30
	v_fma_f32 v48, 0x3fb8aa3b, v8, -v10
	v_rndne_f32_e32 v49, v10
	v_dual_mul_f32 v14, 0x3fb8aa3b, v27 :: v_dual_mul_f32 v15, 0x3fb8aa3b, v28
	v_fma_f32 v50, 0x3fb8aa3b, v25, -v11
	v_rndne_f32_e32 v51, v11
	v_rndne_f32_e32 v55, v13
	;; [unrolled: 1-line block ×3, first 2 shown]
	v_fmac_f32_e32 v48, 0x32a5705f, v8
	v_sub_f32_e32 v10, v10, v49
	v_fma_f32 v54, 0x3fb8aa3b, v26, -v13
	v_fma_f32 v56, 0x3fb8aa3b, v27, -v14
	v_rndne_f32_e32 v59, v15
	v_fma_f32 v60, 0x3fb8aa3b, v29, -v24
	v_dual_fmac_f32 v50, 0x32a5705f, v25 :: v_dual_sub_f32 v11, v11, v51
	v_dual_sub_f32 v13, v13, v55 :: v_dual_sub_f32 v24, v24, v61
	v_add_f32_e32 v10, v10, v48
	v_dual_mul_f32 v40, 0x3fb8aa3b, v31 :: v_dual_mul_f32 v41, 0x3fb8aa3b, v32
	v_dual_mul_f32 v44, 0x3fb8aa3b, v35 :: v_dual_mul_f32 v45, 0x3fb8aa3b, v36
	;; [unrolled: 1-line block ×3, first 2 shown]
	v_fma_f32 v58, 0x3fb8aa3b, v28, -v15
	v_sub_f32_e32 v15, v15, v59
	v_dual_fmac_f32 v56, 0x32a5705f, v27 :: v_dual_add_f32 v11, v11, v50
	v_exp_f32_e32 v10, v10
	v_rndne_f32_e32 v57, v14
	v_fma_f32 v64, 0x3fb8aa3b, v31, -v40
	v_rndne_f32_e32 v65, v40
	v_rndne_f32_e32 v75, v45
	v_rndne_f32_e32 v79, v47
	v_cvt_i32_f32_e32 v49, v49
	v_exp_f32_e32 v11, v11
	v_dual_mul_f32 v42, 0x3fb8aa3b, v33 :: v_dual_mul_f32 v43, 0x3fb8aa3b, v34
	v_fma_f32 v52, 0x3fb8aa3b, v9, -v12
	v_rndne_f32_e32 v53, v12
	v_fma_f32 v74, 0x3fb8aa3b, v36, -v45
	v_fma_f32 v78, 0x3fb8aa3b, v38, -v47
	v_cvt_i32_f32_e32 v51, v51
	v_dual_sub_f32 v14, v14, v57 :: v_dual_sub_f32 v45, v45, v75
	v_dual_fmac_f32 v58, 0x32a5705f, v28 :: v_dual_sub_f32 v47, v47, v79
	v_fmac_f32_e32 v64, 0x32a5705f, v31
	s_delay_alu instid0(VALU_DEP_3)
	v_dual_sub_f32 v40, v40, v65 :: v_dual_add_f32 v14, v14, v56
	v_ldexp_f32 v10, v10, v49
	v_cmp_ngt_f32_e32 vcc_lo, 0xc2ce8ed0, v8
	v_fma_f32 v62, 0x3fb8aa3b, v30, -v39
	v_rndne_f32_e32 v63, v39
	v_fma_f32 v66, 0x3fb8aa3b, v32, -v41
	v_rndne_f32_e32 v67, v41
	v_rndne_f32_e32 v69, v42
	s_delay_alu instid0(VALU_DEP_4) | instskip(NEXT) | instid1(VALU_DEP_3)
	v_dual_fmac_f32 v52, 0x32a5705f, v9 :: v_dual_sub_f32 v39, v39, v63
	v_dual_sub_f32 v12, v12, v53 :: v_dual_sub_f32 v41, v41, v67
	v_dual_add_f32 v15, v15, v58 :: v_dual_add_f32 v40, v40, v64
	v_cndmask_b32_e32 v10, 0, v10, vcc_lo
	v_ldexp_f32 v11, v11, v51
	v_cmp_ngt_f32_e32 vcc_lo, 0xc2ce8ed0, v25
	v_fma_f32 v68, 0x3fb8aa3b, v33, -v42
	v_rndne_f32_e32 v71, v43
	v_fmac_f32_e32 v54, 0x32a5705f, v26
	v_dual_fmac_f32 v62, 0x32a5705f, v30 :: v_dual_cndmask_b32 v11, 0, v11
	v_fmac_f32_e32 v66, 0x32a5705f, v32
	v_dual_sub_f32 v42, v42, v69 :: v_dual_add_f32 v12, v12, v52
	v_fma_f32 v70, 0x3fb8aa3b, v34, -v43
	v_dual_sub_f32 v43, v43, v71 :: v_dual_fmac_f32 v60, 0x32a5705f, v29
	v_add_f32_e32 v13, v13, v54
	v_dual_add_f32 v39, v39, v62 :: v_dual_fmac_f32 v68, 0x32a5705f, v33
	v_add_f32_e32 v41, v41, v66
	v_exp_f32_e32 v12, v12
	v_cvt_i32_f32_e32 v53, v53
	v_exp_f32_e32 v13, v13
	v_cvt_i32_f32_e32 v55, v55
	;; [unrolled: 2-line block ×3, first 2 shown]
	v_cmp_ngt_f32_e32 vcc_lo, 0xc2ce8ed0, v9
	v_ldexp_f32 v12, v12, v53
	v_rndne_f32_e32 v77, v46
	v_exp_f32_e32 v14, v14
	v_fma_f32 v72, 0x3fb8aa3b, v35, -v44
	v_rndne_f32_e32 v73, v44
	v_cvt_i32_f32_e32 v57, v57
	v_ldexp_f32 v13, v13, v55
	v_ldexp_f32 v41, v41, v67
	v_cndmask_b32_e32 v12, 0, v12, vcc_lo
	v_cmp_ngt_f32_e32 vcc_lo, 0xc2ce8ed0, v26
	v_fma_f32 v76, 0x3fb8aa3b, v37, -v46
	v_dual_sub_f32 v46, v46, v77 :: v_dual_add_f32 v24, v24, v60
	v_exp_f32_e32 v15, v15
	v_cvt_i32_f32_e32 v59, v59
	v_dual_fmac_f32 v70, 0x32a5705f, v34 :: v_dual_cndmask_b32 v13, 0, v13
	v_fmac_f32_e32 v72, 0x32a5705f, v35
	v_dual_sub_f32 v44, v44, v73 :: v_dual_add_f32 v42, v42, v68
	v_ldexp_f32 v14, v14, v57
	v_cmp_ngt_f32_e32 vcc_lo, 0xc2ce8ed0, v27
	v_exp_f32_e32 v24, v24
	v_cvt_i32_f32_e32 v61, v61
	v_dual_add_f32 v43, v43, v70 :: v_dual_add_f32 v44, v44, v72
	v_cndmask_b32_e32 v14, 0, v14, vcc_lo
	v_ldexp_f32 v15, v15, v59
	v_cmp_ngt_f32_e32 vcc_lo, 0xc2ce8ed0, v28
	v_exp_f32_e32 v39, v39
	v_exp_f32_e32 v42, v42
	v_cvt_i32_f32_e32 v63, v63
	v_cvt_i32_f32_e32 v69, v69
	v_dual_fmac_f32 v78, 0x32a5705f, v38 :: v_dual_cndmask_b32 v15, 0, v15
	v_ldexp_f32 v24, v24, v61
	v_cmp_ngt_f32_e32 vcc_lo, 0xc2ce8ed0, v29
	v_exp_f32_e32 v40, v40
	v_cvt_i32_f32_e32 v65, v65
	v_dual_fmac_f32 v74, 0x32a5705f, v36 :: v_dual_add_f32 v47, v47, v78
	v_fmac_f32_e32 v76, 0x32a5705f, v37
	v_ldexp_f32 v39, v39, v63
	v_ldexp_f32 v42, v42, v69
	v_cndmask_b32_e32 v24, 0, v24, vcc_lo
	v_cmp_ngt_f32_e32 vcc_lo, 0xc2ce8ed0, v30
	v_exp_f32_e32 v43, v43
	v_cvt_i32_f32_e32 v71, v71
	v_dual_add_f32 v45, v45, v74 :: v_dual_add_f32 v46, v46, v76
	v_cndmask_b32_e32 v39, 0, v39, vcc_lo
	v_ldexp_f32 v40, v40, v65
	v_cmp_ngt_f32_e32 vcc_lo, 0xc2ce8ed0, v31
	s_delay_alu instid0(TRANS32_DEP_1)
	v_ldexp_f32 v43, v43, v71
	v_exp_f32_e32 v44, v44
	v_cvt_i32_f32_e32 v73, v73
	v_exp_f32_e32 v45, v45
	v_cndmask_b32_e32 v40, 0, v40, vcc_lo
	v_cmp_ngt_f32_e32 vcc_lo, 0xc2ce8ed0, v32
	v_cvt_i32_f32_e32 v75, v75
	v_exp_f32_e32 v46, v46
	v_ldexp_f32 v44, v44, v73
	v_cvt_i32_f32_e32 v77, v77
	v_cndmask_b32_e32 v41, 0, v41, vcc_lo
	v_cmp_ngt_f32_e32 vcc_lo, 0xc2ce8ed0, v33
	v_ldexp_f32 v45, v45, v75
	v_exp_f32_e32 v47, v47
	v_cvt_i32_f32_e32 v79, v79
	v_ldexp_f32 v46, v46, v77
	v_cndmask_b32_e32 v42, 0, v42, vcc_lo
	v_cmp_ngt_f32_e32 vcc_lo, 0xc2ce8ed0, v34
	s_delay_alu instid0(TRANS32_DEP_1) | instid1(VALU_DEP_4)
	v_ldexp_f32 v47, v47, v79
	v_cndmask_b32_e32 v43, 0, v43, vcc_lo
	v_cmp_ngt_f32_e32 vcc_lo, 0xc2ce8ed0, v35
	v_cndmask_b32_e32 v44, 0, v44, vcc_lo
	v_cmp_ngt_f32_e32 vcc_lo, 0xc2ce8ed0, v36
	;; [unrolled: 2-line block ×4, first 2 shown]
	v_cndmask_b32_e32 v47, 0, v47, vcc_lo
	v_cmp_nlt_f32_e32 vcc_lo, 0x42b17218, v8
	v_cndmask_b32_e32 v8, 0x7f800000, v10, vcc_lo
	v_cmp_nlt_f32_e32 vcc_lo, 0x42b17218, v25
	;; [unrolled: 2-line block ×5, first 2 shown]
	s_delay_alu instid0(VALU_DEP_2)
	v_pk_fma_f32 v[6:7], v[6:7], v[8:9], v[10:11]
	v_cndmask_b32_e32 v12, 0x7f800000, v14, vcc_lo
	v_cmp_nlt_f32_e32 vcc_lo, 0x42b17218, v28
	v_cndmask_b32_e32 v14, 0x7f800000, v15, vcc_lo
	v_cmp_nlt_f32_e32 vcc_lo, 0x42b17218, v29
	;; [unrolled: 2-line block ×4, first 2 shown]
	s_delay_alu instid0(VALU_DEP_2)
	v_pk_fma_f32 v[4:5], v[4:5], v[12:13], v[14:15]
	v_cndmask_b32_e32 v24, 0x7f800000, v40, vcc_lo
	v_cmp_nlt_f32_e32 vcc_lo, 0x42b17218, v32
	v_cvt_f16_f32_e32 v32, v8
	v_cndmask_b32_e32 v26, 0x7f800000, v41, vcc_lo
	v_cmp_nlt_f32_e32 vcc_lo, 0x42b17218, v33
	v_cvt_f16_f32_e32 v33, v9
	s_delay_alu instid0(VALU_DEP_4)
	v_and_b32_e32 v8, 0xffff, v32
	v_cndmask_b32_e32 v25, 0x7f800000, v42, vcc_lo
	v_cmp_nlt_f32_e32 vcc_lo, 0x42b17218, v34
	v_cvt_f16_f32_e32 v34, v12
	v_and_b32_e32 v9, 0xffff, v33
	v_mul_u32_u24_e32 v8, 0x10001, v8
	v_cndmask_b32_e32 v27, 0x7f800000, v43, vcc_lo
	v_cmp_nlt_f32_e32 vcc_lo, 0x42b17218, v35
	v_cvt_f16_f32_e32 v35, v13
	v_and_b32_e32 v10, 0xffff, v34
	v_mul_u32_u24_e32 v9, 0x10001, v9
	v_pk_mul_f16 v174, v174, v8
	v_cndmask_b32_e32 v28, 0x7f800000, v44, vcc_lo
	v_cmp_nlt_f32_e32 vcc_lo, 0x42b17218, v36
	v_cvt_f16_f32_e32 v36, v24
	v_and_b32_e32 v11, 0xffff, v35
	v_mul_u32_u24_e32 v10, 0x10001, v10
	v_pk_mul_f16 v175, v175, v8
	;; [unrolled: 6-line block ×3, first 2 shown]
	v_cndmask_b32_e32 v29, 0x7f800000, v46, vcc_lo
	v_cmp_nlt_f32_e32 vcc_lo, 0x42b17218, v38
	v_cvt_f16_f32_e32 v38, v28
	v_and_b32_e32 v13, 0xffff, v37
	v_mul_u32_u24_e32 v12, 0x10001, v12
	v_cvt_f16_f32_e32 v39, v29
	v_cndmask_b32_e32 v31, 0x7f800000, v47, vcc_lo
	v_and_b32_e32 v14, 0xffff, v38
	v_mul_u32_u24_e32 v13, 0x10001, v13
	v_pk_mul_f16 v173, v173, v9
	v_and_b32_e32 v15, 0xffff, v39
	v_pk_mul_f16 v170, v170, v10
	v_mul_u32_u24_e32 v14, 0x10001, v14
	v_pk_mul_f16 v171, v171, v10
	v_pk_mul_f16 v167, v167, v11
	v_mul_u32_u24_e32 v15, 0x10001, v15
	v_pk_mul_f16 v168, v168, v11
	v_pk_mul_f16 v165, v165, v12
	;; [unrolled: 1-line block ×9, first 2 shown]
	v_mov_b64_e32 v[8:9], v[16:17]
	v_mov_b64_e32 v[10:11], v[18:19]
	;; [unrolled: 1-line block ×4, first 2 shown]
	v_pk_fma_f32 v[2:3], v[2:3], v[24:25], v[26:27]
	v_pk_fma_f32 v[0:1], v[0:1], v[28:29], v[30:31]
.LBB52_122:
	s_mov_b32 s3, exec_lo
	v_cmpx_gt_i32_e64 s38, v114
	s_cbranch_execz .LBB52_178
; %bb.123:
	s_load_b32 s0, s[0:1], 0xd4
	v_mov_b32_e32 v16, 1.0
	s_wait_kmcnt 0x0
	s_cmp_lg_u32 s0, 1
	s_cselect_b32 s3, -1, 0
	s_cmp_eq_u32 s0, 1
	s_cselect_b32 s4, -1, 0
	s_and_b32 vcc_lo, exec_lo, s3
	s_cbranch_vccnz .LBB52_125
; %bb.124:
	v_div_scale_f32 v16, null, v6, v6, 1.0
	s_delay_alu instid0(VALU_DEP_1) | instskip(SKIP_1) | instid1(TRANS32_DEP_1)
	v_rcp_f32_e32 v17, v16
	v_nop
	v_fma_f32 v18, -v16, v17, 1.0
	s_delay_alu instid0(VALU_DEP_1) | instskip(SKIP_1) | instid1(VALU_DEP_1)
	v_fmac_f32_e32 v17, v18, v17
	v_div_scale_f32 v18, vcc_lo, 1.0, v6, 1.0
	v_mul_f32_e32 v19, v18, v17
	s_delay_alu instid0(VALU_DEP_1) | instskip(NEXT) | instid1(VALU_DEP_1)
	v_fma_f32 v20, -v16, v19, v18
	v_fmac_f32_e32 v19, v20, v17
	s_delay_alu instid0(VALU_DEP_1) | instskip(NEXT) | instid1(VALU_DEP_1)
	v_fma_f32 v16, -v16, v19, v18
	v_div_fmas_f32 v16, v16, v17, v19
	s_delay_alu instid0(VALU_DEP_1)
	v_div_fixup_f32 v16, v16, v6, 1.0
.LBB52_125:
	s_mul_i32 s1, s34, s38
	s_delay_alu instid0(SALU_CYCLE_1) | instskip(NEXT) | instid1(SALU_CYCLE_1)
	s_add_co_i32 s1, s1, s47
	v_add_nc_u32_e32 v17, s1, v155
	s_delay_alu instid0(VALU_DEP_1) | instskip(NEXT) | instid1(VALU_DEP_1)
	v_mad_u32 v17, v17, s39, s33
	v_mad_u32 v17, s0, v17, s35
	s_and_saveexec_b32 s5, s2
	s_cbranch_execz .LBB52_127
; %bb.126:
	s_delay_alu instid0(VALU_DEP_1) | instskip(SKIP_4) | instid1(VALU_DEP_4)
	v_mad_u32 v20, 0x60, v17, v121
	v_dual_lshrrev_b32 v19, 16, v174 :: v_dual_lshrrev_b32 v23, 16, v175
	v_mov_b32_e32 v21, 0
	v_cvt_f32_f16_e64 v18, v174
	v_cvt_f32_f16_e64 v22, v175
	v_cvt_f32_f16_e32 v19, v19
	v_cvt_f32_f16_e32 v23, v23
	s_delay_alu instid0(VALU_DEP_2) | instskip(SKIP_1) | instid1(VALU_DEP_3)
	v_pk_mul_f32 v[18:19], v[16:17], v[18:19] op_sel_hi:[0,1]
	v_lshl_add_u64 v[24:25], v[20:21], 2, s[28:29]
	v_pk_mul_f32 v[20:21], v[16:17], v[22:23] op_sel_hi:[0,1]
	global_store_b128 v[24:25], v[18:21], off
.LBB52_127:
	s_wait_xcnt 0x0
	s_or_b32 exec_lo, exec_lo, s5
	v_cmp_eq_u32_e32 vcc_lo, 0, v153
	s_and_b32 s3, vcc_lo, s3
	s_delay_alu instid0(SALU_CYCLE_1)
	s_and_saveexec_b32 s5, s3
	s_cbranch_execz .LBB52_129
; %bb.128:
	v_dual_mov_b32 v18, v8 :: v_dual_mov_b32 v19, v6
	global_store_b64 v17, v[18:19], s[30:31] scale_offset
.LBB52_129:
	s_wait_xcnt 0x0
	s_or_b32 exec_lo, exec_lo, s5
	v_cmp_gt_i32_e32 vcc_lo, s38, v112
	s_and_b32 exec_lo, exec_lo, vcc_lo
	s_cbranch_execz .LBB52_178
; %bb.130:
	v_cndmask_b32_e64 v8, 0, 1, s4
	v_mov_b32_e32 v6, 1.0
	s_and_not1_b32 vcc_lo, exec_lo, s4
	s_cbranch_vccnz .LBB52_132
; %bb.131:
	v_div_scale_f32 v6, null, v7, v7, 1.0
	s_delay_alu instid0(VALU_DEP_1) | instskip(SKIP_1) | instid1(TRANS32_DEP_1)
	v_rcp_f32_e32 v16, v6
	v_nop
	v_fma_f32 v17, -v6, v16, 1.0
	s_delay_alu instid0(VALU_DEP_1) | instskip(SKIP_1) | instid1(VALU_DEP_1)
	v_fmac_f32_e32 v16, v17, v16
	v_div_scale_f32 v17, vcc_lo, 1.0, v7, 1.0
	v_mul_f32_e32 v18, v17, v16
	s_delay_alu instid0(VALU_DEP_1) | instskip(NEXT) | instid1(VALU_DEP_1)
	v_fma_f32 v19, -v6, v18, v17
	v_fmac_f32_e32 v18, v19, v16
	s_delay_alu instid0(VALU_DEP_1) | instskip(NEXT) | instid1(VALU_DEP_1)
	v_fma_f32 v6, -v6, v18, v17
	v_div_fmas_f32 v6, v6, v16, v18
	s_delay_alu instid0(VALU_DEP_1)
	v_div_fixup_f32 v6, v6, v7, 1.0
.LBB52_132:
	v_add_nc_u32_e32 v16, s1, v154
	s_delay_alu instid0(VALU_DEP_1) | instskip(NEXT) | instid1(VALU_DEP_1)
	v_mad_u32 v16, v16, s39, s33
	v_mad_u32 v16, s0, v16, s35
	s_and_saveexec_b32 s4, s2
	s_cbranch_execz .LBB52_134
; %bb.133:
	s_delay_alu instid0(VALU_DEP_1) | instskip(SKIP_4) | instid1(VALU_DEP_4)
	v_mad_u32 v20, 0x60, v16, v121
	v_dual_lshrrev_b32 v17, 16, v172 :: v_dual_lshrrev_b32 v23, 16, v173
	v_mov_b32_e32 v21, 0
	v_cvt_f32_f16_e64 v18, v172
	v_cvt_f32_f16_e64 v22, v173
	v_cvt_f32_f16_e32 v19, v17
	v_cvt_f32_f16_e32 v23, v23
	s_delay_alu instid0(VALU_DEP_2) | instskip(SKIP_1) | instid1(VALU_DEP_3)
	v_pk_mul_f32 v[18:19], v[6:7], v[18:19] op_sel_hi:[0,1]
	v_lshl_add_u64 v[24:25], v[20:21], 2, s[28:29]
	v_pk_mul_f32 v[20:21], v[6:7], v[22:23] op_sel_hi:[0,1]
	global_store_b128 v[24:25], v[18:21], off
.LBB52_134:
	s_wait_xcnt 0x0
	s_or_b32 exec_lo, exec_lo, s4
	s_and_saveexec_b32 s4, s3
	s_cbranch_execz .LBB52_136
; %bb.135:
	v_mov_b32_e32 v6, v9
	global_store_b64 v16, v[6:7], s[30:31] scale_offset
.LBB52_136:
	s_wait_xcnt 0x0
	s_or_b32 exec_lo, exec_lo, s4
	v_add_nc_u32_e32 v6, s47, v152
	s_delay_alu instid0(VALU_DEP_1)
	v_cmp_gt_i32_e32 vcc_lo, s38, v6
	s_and_b32 exec_lo, exec_lo, vcc_lo
	s_cbranch_execz .LBB52_178
; %bb.137:
	v_cmp_ne_u32_e32 vcc_lo, 1, v8
	v_mov_b32_e32 v6, 1.0
	s_cbranch_vccnz .LBB52_139
; %bb.138:
	v_div_scale_f32 v6, null, v4, v4, 1.0
	s_delay_alu instid0(VALU_DEP_1) | instskip(SKIP_1) | instid1(TRANS32_DEP_1)
	v_rcp_f32_e32 v7, v6
	v_nop
	v_fma_f32 v9, -v6, v7, 1.0
	s_delay_alu instid0(VALU_DEP_1) | instskip(SKIP_1) | instid1(VALU_DEP_1)
	v_fmac_f32_e32 v7, v9, v7
	v_div_scale_f32 v9, vcc_lo, 1.0, v4, 1.0
	v_mul_f32_e32 v16, v9, v7
	s_delay_alu instid0(VALU_DEP_1) | instskip(NEXT) | instid1(VALU_DEP_1)
	v_fma_f32 v17, -v6, v16, v9
	v_fmac_f32_e32 v16, v17, v7
	s_delay_alu instid0(VALU_DEP_1) | instskip(NEXT) | instid1(VALU_DEP_1)
	v_fma_f32 v6, -v6, v16, v9
	v_div_fmas_f32 v6, v6, v7, v16
	s_delay_alu instid0(VALU_DEP_1)
	v_div_fixup_f32 v6, v6, v4, 1.0
.LBB52_139:
	v_add_nc_u32_e32 v7, s1, v152
	s_delay_alu instid0(VALU_DEP_1) | instskip(NEXT) | instid1(VALU_DEP_1)
	v_mad_u32 v7, v7, s39, s33
	v_mad_u32 v7, s0, v7, s35
	s_and_saveexec_b32 s4, s2
	s_cbranch_execz .LBB52_141
; %bb.140:
	s_delay_alu instid0(VALU_DEP_1) | instskip(SKIP_4) | instid1(VALU_DEP_4)
	v_mad_u32 v18, 0x60, v7, v121
	v_dual_lshrrev_b32 v9, 16, v170 :: v_dual_lshrrev_b32 v21, 16, v171
	v_mov_b32_e32 v19, 0
	v_cvt_f32_f16_e64 v16, v170
	v_cvt_f32_f16_e64 v20, v171
	v_cvt_f32_f16_e32 v17, v9
	v_cvt_f32_f16_e32 v21, v21
	s_delay_alu instid0(VALU_DEP_2) | instskip(SKIP_1) | instid1(VALU_DEP_3)
	v_pk_mul_f32 v[16:17], v[6:7], v[16:17] op_sel_hi:[0,1]
	v_lshl_add_u64 v[22:23], v[18:19], 2, s[28:29]
	v_pk_mul_f32 v[18:19], v[6:7], v[20:21] op_sel_hi:[0,1]
	global_store_b128 v[22:23], v[16:19], off
.LBB52_141:
	s_wait_xcnt 0x0
	s_or_b32 exec_lo, exec_lo, s4
	s_and_saveexec_b32 s4, s3
	s_cbranch_execz .LBB52_143
; %bb.142:
	v_dual_mov_b32 v16, v10 :: v_dual_mov_b32 v17, v4
	global_store_b64 v7, v[16:17], s[30:31] scale_offset
.LBB52_143:
	s_wait_xcnt 0x0
	s_or_b32 exec_lo, exec_lo, s4
	v_add_nc_u32_e32 v4, s47, v151
	s_delay_alu instid0(VALU_DEP_1)
	v_cmp_gt_i32_e32 vcc_lo, s38, v4
	s_and_b32 exec_lo, exec_lo, vcc_lo
	s_cbranch_execz .LBB52_178
; %bb.144:
	v_cmp_ne_u32_e32 vcc_lo, 1, v8
	v_mov_b32_e32 v4, 1.0
	s_cbranch_vccnz .LBB52_146
; %bb.145:
	v_div_scale_f32 v4, null, v5, v5, 1.0
	s_delay_alu instid0(VALU_DEP_1) | instskip(SKIP_1) | instid1(TRANS32_DEP_1)
	v_rcp_f32_e32 v6, v4
	v_nop
	v_fma_f32 v7, -v4, v6, 1.0
	s_delay_alu instid0(VALU_DEP_1) | instskip(SKIP_1) | instid1(VALU_DEP_1)
	v_fmac_f32_e32 v6, v7, v6
	v_div_scale_f32 v7, vcc_lo, 1.0, v5, 1.0
	v_mul_f32_e32 v9, v7, v6
	s_delay_alu instid0(VALU_DEP_1) | instskip(NEXT) | instid1(VALU_DEP_1)
	v_fma_f32 v10, -v4, v9, v7
	v_fmac_f32_e32 v9, v10, v6
	s_delay_alu instid0(VALU_DEP_1) | instskip(NEXT) | instid1(VALU_DEP_1)
	v_fma_f32 v4, -v4, v9, v7
	v_div_fmas_f32 v4, v4, v6, v9
	s_delay_alu instid0(VALU_DEP_1)
	v_div_fixup_f32 v4, v4, v5, 1.0
.LBB52_146:
	v_add_nc_u32_e32 v6, s1, v151
	s_delay_alu instid0(VALU_DEP_1) | instskip(NEXT) | instid1(VALU_DEP_1)
	v_mad_u32 v6, v6, s39, s33
	v_mad_u32 v6, s0, v6, s35
	s_and_saveexec_b32 s4, s2
	s_cbranch_execz .LBB52_148
; %bb.147:
	s_delay_alu instid0(VALU_DEP_1) | instskip(SKIP_4) | instid1(VALU_DEP_4)
	v_mad_u32 v18, 0x60, v6, v121
	v_dual_lshrrev_b32 v7, 16, v167 :: v_dual_lshrrev_b32 v9, 16, v168
	v_mov_b32_e32 v19, 0
	v_cvt_f32_f16_e64 v16, v167
	v_cvt_f32_f16_e64 v20, v168
	v_cvt_f32_f16_e32 v17, v7
	v_cvt_f32_f16_e32 v21, v9
	s_delay_alu instid0(VALU_DEP_2) | instskip(SKIP_1) | instid1(VALU_DEP_3)
	v_pk_mul_f32 v[16:17], v[4:5], v[16:17] op_sel_hi:[0,1]
	v_lshl_add_u64 v[22:23], v[18:19], 2, s[28:29]
	v_pk_mul_f32 v[18:19], v[4:5], v[20:21] op_sel_hi:[0,1]
	global_store_b128 v[22:23], v[16:19], off
.LBB52_148:
	s_wait_xcnt 0x0
	s_or_b32 exec_lo, exec_lo, s4
	s_and_saveexec_b32 s4, s3
	s_cbranch_execz .LBB52_150
; %bb.149:
	v_mov_b32_e32 v4, v11
	global_store_b64 v6, v[4:5], s[30:31] scale_offset
.LBB52_150:
	s_wait_xcnt 0x0
	s_or_b32 exec_lo, exec_lo, s4
	v_add_nc_u32_e32 v4, s47, v150
	s_delay_alu instid0(VALU_DEP_1)
	v_cmp_gt_i32_e32 vcc_lo, s38, v4
	s_and_b32 exec_lo, exec_lo, vcc_lo
	s_cbranch_execz .LBB52_178
; %bb.151:
	v_cmp_ne_u32_e32 vcc_lo, 1, v8
	v_mov_b32_e32 v4, 1.0
	s_cbranch_vccnz .LBB52_153
; %bb.152:
	v_div_scale_f32 v4, null, v2, v2, 1.0
	s_delay_alu instid0(VALU_DEP_1) | instskip(SKIP_1) | instid1(TRANS32_DEP_1)
	v_rcp_f32_e32 v5, v4
	v_nop
	v_fma_f32 v6, -v4, v5, 1.0
	s_delay_alu instid0(VALU_DEP_1) | instskip(SKIP_1) | instid1(VALU_DEP_1)
	v_fmac_f32_e32 v5, v6, v5
	v_div_scale_f32 v6, vcc_lo, 1.0, v2, 1.0
	v_mul_f32_e32 v7, v6, v5
	s_delay_alu instid0(VALU_DEP_1) | instskip(NEXT) | instid1(VALU_DEP_1)
	v_fma_f32 v9, -v4, v7, v6
	v_fmac_f32_e32 v7, v9, v5
	s_delay_alu instid0(VALU_DEP_1) | instskip(NEXT) | instid1(VALU_DEP_1)
	v_fma_f32 v4, -v4, v7, v6
	v_div_fmas_f32 v4, v4, v5, v7
	s_delay_alu instid0(VALU_DEP_1)
	v_div_fixup_f32 v4, v4, v2, 1.0
.LBB52_153:
	v_add_nc_u32_e32 v5, s1, v150
	s_delay_alu instid0(VALU_DEP_1) | instskip(NEXT) | instid1(VALU_DEP_1)
	v_mad_u32 v5, v5, s39, s33
	v_mad_u32 v5, s0, v5, s35
	s_and_saveexec_b32 s4, s2
	s_cbranch_execz .LBB52_155
; %bb.154:
	s_delay_alu instid0(VALU_DEP_1) | instskip(SKIP_4) | instid1(VALU_DEP_4)
	v_mad_u32 v6, 0x60, v5, v121
	v_dual_lshrrev_b32 v9, 16, v165 :: v_dual_lshrrev_b32 v16, 16, v166
	v_mov_b32_e32 v7, 0
	v_cvt_f32_f16_e64 v10, v165
	v_cvt_f32_f16_e64 v18, v166
	v_cvt_f32_f16_e32 v11, v9
	v_cvt_f32_f16_e32 v19, v16
	s_delay_alu instid0(VALU_DEP_2) | instskip(SKIP_1) | instid1(VALU_DEP_3)
	v_pk_mul_f32 v[16:17], v[4:5], v[10:11] op_sel_hi:[0,1]
	v_lshl_add_u64 v[6:7], v[6:7], 2, s[28:29]
	v_pk_mul_f32 v[18:19], v[4:5], v[18:19] op_sel_hi:[0,1]
	global_store_b128 v[6:7], v[16:19], off
.LBB52_155:
	s_wait_xcnt 0x0
	s_or_b32 exec_lo, exec_lo, s4
	s_and_saveexec_b32 s4, s3
	s_cbranch_execz .LBB52_157
; %bb.156:
	v_dual_mov_b32 v6, v12 :: v_dual_mov_b32 v7, v2
	global_store_b64 v5, v[6:7], s[30:31] scale_offset
.LBB52_157:
	s_wait_xcnt 0x0
	s_or_b32 exec_lo, exec_lo, s4
	v_add_nc_u32_e32 v2, s47, v119
	s_delay_alu instid0(VALU_DEP_1)
	v_cmp_gt_i32_e32 vcc_lo, s38, v2
	s_and_b32 exec_lo, exec_lo, vcc_lo
	s_cbranch_execz .LBB52_178
; %bb.158:
	v_cmp_ne_u32_e32 vcc_lo, 1, v8
	v_mov_b32_e32 v2, 1.0
	s_cbranch_vccnz .LBB52_160
; %bb.159:
	v_div_scale_f32 v2, null, v3, v3, 1.0
	s_delay_alu instid0(VALU_DEP_1) | instskip(SKIP_1) | instid1(TRANS32_DEP_1)
	v_rcp_f32_e32 v4, v2
	v_nop
	v_fma_f32 v5, -v2, v4, 1.0
	s_delay_alu instid0(VALU_DEP_1) | instskip(SKIP_1) | instid1(VALU_DEP_1)
	v_fmac_f32_e32 v4, v5, v4
	v_div_scale_f32 v5, vcc_lo, 1.0, v3, 1.0
	v_mul_f32_e32 v6, v5, v4
	s_delay_alu instid0(VALU_DEP_1) | instskip(NEXT) | instid1(VALU_DEP_1)
	v_fma_f32 v7, -v2, v6, v5
	v_fmac_f32_e32 v6, v7, v4
	s_delay_alu instid0(VALU_DEP_1) | instskip(NEXT) | instid1(VALU_DEP_1)
	v_fma_f32 v2, -v2, v6, v5
	v_div_fmas_f32 v2, v2, v4, v6
	s_delay_alu instid0(VALU_DEP_1)
	v_div_fixup_f32 v2, v2, v3, 1.0
.LBB52_160:
	v_add_nc_u32_e32 v4, s1, v119
	s_delay_alu instid0(VALU_DEP_1) | instskip(NEXT) | instid1(VALU_DEP_1)
	v_mad_u32 v4, v4, s39, s33
	v_mad_u32 v4, s0, v4, s35
	s_and_saveexec_b32 s4, s2
	s_cbranch_execz .LBB52_162
; %bb.161:
	s_delay_alu instid0(VALU_DEP_1) | instskip(SKIP_4) | instid1(VALU_DEP_4)
	v_mad_u32 v6, 0x60, v4, v121
	v_dual_lshrrev_b32 v5, 16, v163 :: v_dual_lshrrev_b32 v9, 16, v164
	v_mov_b32_e32 v7, 0
	v_cvt_f32_f16_e64 v10, v163
	v_cvt_f32_f16_e64 v18, v164
	v_cvt_f32_f16_e32 v11, v5
	v_cvt_f32_f16_e32 v19, v9
	s_delay_alu instid0(VALU_DEP_2) | instskip(SKIP_1) | instid1(VALU_DEP_3)
	v_pk_mul_f32 v[16:17], v[2:3], v[10:11] op_sel_hi:[0,1]
	v_lshl_add_u64 v[6:7], v[6:7], 2, s[28:29]
	v_pk_mul_f32 v[18:19], v[2:3], v[18:19] op_sel_hi:[0,1]
	global_store_b128 v[6:7], v[16:19], off
.LBB52_162:
	s_wait_xcnt 0x0
	s_or_b32 exec_lo, exec_lo, s4
	s_and_saveexec_b32 s4, s3
	s_cbranch_execz .LBB52_164
; %bb.163:
	v_mov_b32_e32 v2, v13
	global_store_b64 v4, v[2:3], s[30:31] scale_offset
.LBB52_164:
	s_wait_xcnt 0x0
	s_or_b32 exec_lo, exec_lo, s4
	v_add_nc_u32_e32 v2, s47, v117
	s_delay_alu instid0(VALU_DEP_1)
	v_cmp_gt_i32_e32 vcc_lo, s38, v2
	s_and_b32 exec_lo, exec_lo, vcc_lo
	s_cbranch_execz .LBB52_178
; %bb.165:
	v_cmp_ne_u32_e32 vcc_lo, 1, v8
	v_mov_b32_e32 v2, 1.0
	s_cbranch_vccnz .LBB52_167
; %bb.166:
	v_div_scale_f32 v2, null, v0, v0, 1.0
	s_delay_alu instid0(VALU_DEP_1) | instskip(SKIP_1) | instid1(TRANS32_DEP_1)
	v_rcp_f32_e32 v3, v2
	v_nop
	v_fma_f32 v4, -v2, v3, 1.0
	s_delay_alu instid0(VALU_DEP_1) | instskip(SKIP_1) | instid1(VALU_DEP_1)
	v_fmac_f32_e32 v3, v4, v3
	v_div_scale_f32 v4, vcc_lo, 1.0, v0, 1.0
	v_mul_f32_e32 v5, v4, v3
	s_delay_alu instid0(VALU_DEP_1) | instskip(NEXT) | instid1(VALU_DEP_1)
	v_fma_f32 v6, -v2, v5, v4
	v_fmac_f32_e32 v5, v6, v3
	s_delay_alu instid0(VALU_DEP_1) | instskip(NEXT) | instid1(VALU_DEP_1)
	v_fma_f32 v2, -v2, v5, v4
	v_div_fmas_f32 v2, v2, v3, v5
	s_delay_alu instid0(VALU_DEP_1)
	v_div_fixup_f32 v2, v2, v0, 1.0
.LBB52_167:
	v_add_nc_u32_e32 v3, s1, v117
	s_delay_alu instid0(VALU_DEP_1) | instskip(NEXT) | instid1(VALU_DEP_1)
	v_mad_u32 v3, v3, s39, s33
	v_mad_u32 v3, s0, v3, s35
	s_and_saveexec_b32 s4, s2
	s_cbranch_execz .LBB52_169
; %bb.168:
	s_delay_alu instid0(VALU_DEP_1) | instskip(SKIP_4) | instid1(VALU_DEP_4)
	v_mad_u32 v6, 0x60, v3, v121
	v_dual_lshrrev_b32 v5, 16, v161 :: v_dual_lshrrev_b32 v9, 16, v162
	v_mov_b32_e32 v7, 0
	v_cvt_f32_f16_e64 v4, v161
	v_cvt_f32_f16_e64 v10, v162
	v_cvt_f32_f16_e32 v5, v5
	v_cvt_f32_f16_e32 v11, v9
	s_delay_alu instid0(VALU_DEP_2) | instskip(SKIP_1) | instid1(VALU_DEP_3)
	v_pk_mul_f32 v[4:5], v[2:3], v[4:5] op_sel_hi:[0,1]
	v_lshl_add_u64 v[12:13], v[6:7], 2, s[28:29]
	v_pk_mul_f32 v[6:7], v[2:3], v[10:11] op_sel_hi:[0,1]
	global_store_b128 v[12:13], v[4:7], off
.LBB52_169:
	s_wait_xcnt 0x0
	s_or_b32 exec_lo, exec_lo, s4
	s_and_saveexec_b32 s4, s3
	s_cbranch_execz .LBB52_171
; %bb.170:
	v_dual_mov_b32 v4, v14 :: v_dual_mov_b32 v5, v0
	global_store_b64 v3, v[4:5], s[30:31] scale_offset
.LBB52_171:
	s_wait_xcnt 0x0
	s_or_b32 exec_lo, exec_lo, s4
	v_add_nc_u32_e32 v0, s47, v113
	s_delay_alu instid0(VALU_DEP_1)
	v_cmp_gt_i32_e32 vcc_lo, s38, v0
	s_and_b32 exec_lo, exec_lo, vcc_lo
	s_cbranch_execz .LBB52_178
; %bb.172:
	v_cmp_ne_u32_e32 vcc_lo, 1, v8
	v_mov_b32_e32 v0, 1.0
	s_cbranch_vccnz .LBB52_174
; %bb.173:
	v_div_scale_f32 v0, null, v1, v1, 1.0
	s_delay_alu instid0(VALU_DEP_1) | instskip(SKIP_1) | instid1(TRANS32_DEP_1)
	v_rcp_f32_e32 v2, v0
	v_nop
	v_fma_f32 v3, -v0, v2, 1.0
	s_delay_alu instid0(VALU_DEP_1) | instskip(SKIP_1) | instid1(VALU_DEP_1)
	v_fmac_f32_e32 v2, v3, v2
	v_div_scale_f32 v3, vcc_lo, 1.0, v1, 1.0
	v_mul_f32_e32 v4, v3, v2
	s_delay_alu instid0(VALU_DEP_1) | instskip(NEXT) | instid1(VALU_DEP_1)
	v_fma_f32 v5, -v0, v4, v3
	v_fmac_f32_e32 v4, v5, v2
	s_delay_alu instid0(VALU_DEP_1) | instskip(NEXT) | instid1(VALU_DEP_1)
	v_fma_f32 v0, -v0, v4, v3
	v_div_fmas_f32 v0, v0, v2, v4
	s_delay_alu instid0(VALU_DEP_1)
	v_div_fixup_f32 v0, v0, v1, 1.0
.LBB52_174:
	v_add_nc_u32_e32 v2, s1, v113
	s_delay_alu instid0(VALU_DEP_1) | instskip(NEXT) | instid1(VALU_DEP_1)
	v_mad_u32 v2, v2, s39, s33
	v_mad_u32 v2, s0, v2, s35
	s_and_saveexec_b32 s0, s2
	s_cbranch_execz .LBB52_176
; %bb.175:
	s_delay_alu instid0(VALU_DEP_1) | instskip(SKIP_4) | instid1(VALU_DEP_4)
	v_mad_u32 v6, 0x60, v2, v121
	v_dual_lshrrev_b32 v3, 16, v159 :: v_dual_lshrrev_b32 v9, 16, v160
	v_mov_b32_e32 v7, 0
	v_cvt_f32_f16_e64 v4, v159
	v_cvt_f32_f16_e64 v8, v160
	v_cvt_f32_f16_e32 v5, v3
	v_cvt_f32_f16_e32 v9, v9
	s_delay_alu instid0(VALU_DEP_2) | instskip(SKIP_1) | instid1(VALU_DEP_3)
	v_pk_mul_f32 v[4:5], v[0:1], v[4:5] op_sel_hi:[0,1]
	v_lshl_add_u64 v[10:11], v[6:7], 2, s[28:29]
	v_pk_mul_f32 v[6:7], v[0:1], v[8:9] op_sel_hi:[0,1]
	global_store_b128 v[10:11], v[4:7], off
.LBB52_176:
	s_wait_xcnt 0x0
	s_or_b32 exec_lo, exec_lo, s0
	s_delay_alu instid0(SALU_CYCLE_1)
	s_and_b32 exec_lo, exec_lo, s3
	s_cbranch_execz .LBB52_178
; %bb.177:
	v_mov_b32_e32 v0, v15
	global_store_b64 v2, v[0:1], s[30:31] scale_offset
.LBB52_178:
	s_sendmsg sendmsg(MSG_DEALLOC_VGPRS)
	s_endpgm
	.section	.rodata,"a",@progbits
	.p2align	6, 0x0
	.amdhsa_kernel _ZL15flash_attn_tileILi96ELi96ELi64ELi1ELb0EEvPKcS1_S1_S1_S1_PKiPfP15HIP_vector_typeIfLj2EEffffjfiS5_IjLj3EEiiiiiiiiiiiliiliiiiil
		.amdhsa_group_segment_fixed_size 20096
		.amdhsa_private_segment_fixed_size 32
		.amdhsa_kernarg_size 464
		.amdhsa_user_sgpr_count 2
		.amdhsa_user_sgpr_dispatch_ptr 0
		.amdhsa_user_sgpr_queue_ptr 0
		.amdhsa_user_sgpr_kernarg_segment_ptr 1
		.amdhsa_user_sgpr_dispatch_id 0
		.amdhsa_user_sgpr_kernarg_preload_length 0
		.amdhsa_user_sgpr_kernarg_preload_offset 0
		.amdhsa_user_sgpr_private_segment_size 0
		.amdhsa_wavefront_size32 1
		.amdhsa_uses_dynamic_stack 0
		.amdhsa_enable_private_segment 1
		.amdhsa_system_sgpr_workgroup_id_x 1
		.amdhsa_system_sgpr_workgroup_id_y 1
		.amdhsa_system_sgpr_workgroup_id_z 1
		.amdhsa_system_sgpr_workgroup_info 0
		.amdhsa_system_vgpr_workitem_id 1
		.amdhsa_next_free_vgpr 314
		.amdhsa_next_free_sgpr 58
		.amdhsa_named_barrier_count 0
		.amdhsa_reserve_vcc 1
		.amdhsa_float_round_mode_32 0
		.amdhsa_float_round_mode_16_64 0
		.amdhsa_float_denorm_mode_32 3
		.amdhsa_float_denorm_mode_16_64 3
		.amdhsa_fp16_overflow 0
		.amdhsa_memory_ordered 1
		.amdhsa_forward_progress 1
		.amdhsa_inst_pref_size 255
		.amdhsa_round_robin_scheduling 0
		.amdhsa_exception_fp_ieee_invalid_op 0
		.amdhsa_exception_fp_denorm_src 0
		.amdhsa_exception_fp_ieee_div_zero 0
		.amdhsa_exception_fp_ieee_overflow 0
		.amdhsa_exception_fp_ieee_underflow 0
		.amdhsa_exception_fp_ieee_inexact 0
		.amdhsa_exception_int_div_zero 0
	.end_amdhsa_kernel
	.section	.text._ZL15flash_attn_tileILi96ELi96ELi64ELi1ELb0EEvPKcS1_S1_S1_S1_PKiPfP15HIP_vector_typeIfLj2EEffffjfiS5_IjLj3EEiiiiiiiiiiiliiliiiiil,"axG",@progbits,_ZL15flash_attn_tileILi96ELi96ELi64ELi1ELb0EEvPKcS1_S1_S1_S1_PKiPfP15HIP_vector_typeIfLj2EEffffjfiS5_IjLj3EEiiiiiiiiiiiliiliiiiil,comdat
.Lfunc_end52:
	.size	_ZL15flash_attn_tileILi96ELi96ELi64ELi1ELb0EEvPKcS1_S1_S1_S1_PKiPfP15HIP_vector_typeIfLj2EEffffjfiS5_IjLj3EEiiiiiiiiiiiliiliiiiil, .Lfunc_end52-_ZL15flash_attn_tileILi96ELi96ELi64ELi1ELb0EEvPKcS1_S1_S1_S1_PKiPfP15HIP_vector_typeIfLj2EEffffjfiS5_IjLj3EEiiiiiiiiiiiliiliiiiil
                                        ; -- End function
	.set _ZL15flash_attn_tileILi96ELi96ELi64ELi1ELb0EEvPKcS1_S1_S1_S1_PKiPfP15HIP_vector_typeIfLj2EEffffjfiS5_IjLj3EEiiiiiiiiiiiliiliiiiil.num_vgpr, 314
	.set _ZL15flash_attn_tileILi96ELi96ELi64ELi1ELb0EEvPKcS1_S1_S1_S1_PKiPfP15HIP_vector_typeIfLj2EEffffjfiS5_IjLj3EEiiiiiiiiiiiliiliiiiil.num_agpr, 0
	.set _ZL15flash_attn_tileILi96ELi96ELi64ELi1ELb0EEvPKcS1_S1_S1_S1_PKiPfP15HIP_vector_typeIfLj2EEffffjfiS5_IjLj3EEiiiiiiiiiiiliiliiiiil.numbered_sgpr, 58
	.set _ZL15flash_attn_tileILi96ELi96ELi64ELi1ELb0EEvPKcS1_S1_S1_S1_PKiPfP15HIP_vector_typeIfLj2EEffffjfiS5_IjLj3EEiiiiiiiiiiiliiliiiiil.num_named_barrier, 0
	.set _ZL15flash_attn_tileILi96ELi96ELi64ELi1ELb0EEvPKcS1_S1_S1_S1_PKiPfP15HIP_vector_typeIfLj2EEffffjfiS5_IjLj3EEiiiiiiiiiiiliiliiiiil.private_seg_size, 32
	.set _ZL15flash_attn_tileILi96ELi96ELi64ELi1ELb0EEvPKcS1_S1_S1_S1_PKiPfP15HIP_vector_typeIfLj2EEffffjfiS5_IjLj3EEiiiiiiiiiiiliiliiiiil.uses_vcc, 1
	.set _ZL15flash_attn_tileILi96ELi96ELi64ELi1ELb0EEvPKcS1_S1_S1_S1_PKiPfP15HIP_vector_typeIfLj2EEffffjfiS5_IjLj3EEiiiiiiiiiiiliiliiiiil.uses_flat_scratch, 1
	.set _ZL15flash_attn_tileILi96ELi96ELi64ELi1ELb0EEvPKcS1_S1_S1_S1_PKiPfP15HIP_vector_typeIfLj2EEffffjfiS5_IjLj3EEiiiiiiiiiiiliiliiiiil.has_dyn_sized_stack, 0
	.set _ZL15flash_attn_tileILi96ELi96ELi64ELi1ELb0EEvPKcS1_S1_S1_S1_PKiPfP15HIP_vector_typeIfLj2EEffffjfiS5_IjLj3EEiiiiiiiiiiiliiliiiiil.has_recursion, 0
	.set _ZL15flash_attn_tileILi96ELi96ELi64ELi1ELb0EEvPKcS1_S1_S1_S1_PKiPfP15HIP_vector_typeIfLj2EEffffjfiS5_IjLj3EEiiiiiiiiiiiliiliiiiil.has_indirect_call, 0
	.section	.AMDGPU.csdata,"",@progbits
; Kernel info:
; codeLenInByte = 40380
; TotalNumSgprs: 60
; NumVgprs: 314
; ScratchSize: 32
; MemoryBound: 0
; FloatMode: 240
; IeeeMode: 1
; LDSByteSize: 20096 bytes/workgroup (compile time only)
; SGPRBlocks: 0
; VGPRBlocks: 19
; NumSGPRsForWavesPerEU: 60
; NumVGPRsForWavesPerEU: 314
; NamedBarCnt: 0
; Occupancy: 3
; WaveLimiterHint : 1
; COMPUTE_PGM_RSRC2:SCRATCH_EN: 1
; COMPUTE_PGM_RSRC2:USER_SGPR: 2
; COMPUTE_PGM_RSRC2:TRAP_HANDLER: 0
; COMPUTE_PGM_RSRC2:TGID_X_EN: 1
; COMPUTE_PGM_RSRC2:TGID_Y_EN: 1
; COMPUTE_PGM_RSRC2:TGID_Z_EN: 1
; COMPUTE_PGM_RSRC2:TIDIG_COMP_CNT: 1
	.section	.text._ZL25flash_attn_mask_to_KV_maxILi64EEvPK7__half2Piiii,"axG",@progbits,_ZL25flash_attn_mask_to_KV_maxILi64EEvPK7__half2Piiii,comdat
	.globl	_ZL25flash_attn_mask_to_KV_maxILi64EEvPK7__half2Piiii ; -- Begin function _ZL25flash_attn_mask_to_KV_maxILi64EEvPK7__half2Piiii
	.p2align	8
	.type	_ZL25flash_attn_mask_to_KV_maxILi64EEvPK7__half2Piiii,@function
_ZL25flash_attn_mask_to_KV_maxILi64EEvPK7__half2Piiii: ; @_ZL25flash_attn_mask_to_KV_maxILi64EEvPK7__half2Piiii
; %bb.0:
	s_load_b128 s[4:7], s[0:1], 0x0
	s_mov_b32 s2, exec_lo
	v_cmpx_gt_u32_e32 32, v0
; %bb.1:
	v_dual_mov_b32 v2, 1 :: v_dual_lshlrev_b32 v1, 2, v0
	ds_store_b32 v1, v2
; %bb.2:
	s_or_b32 exec_lo, exec_lo, s2
	s_clause 0x1
	s_load_b96 s[8:10], s[0:1], 0x10
	s_load_b32 s11, s[0:1], 0x20
	s_wait_xcnt 0x0
	s_bfe_u32 s1, ttmp6, 0x4000c
	s_bfe_u32 s2, ttmp6, 0x40010
	s_add_co_i32 s1, s1, 1
	s_add_co_i32 s2, s2, 1
	s_and_b32 s0, ttmp6, 15
	s_bfe_u32 s3, ttmp6, 0x40004
	s_mul_i32 s1, ttmp9, s1
	s_mul_i32 s2, ttmp7, s2
	s_getreg_b32 s12, hwreg(HW_REG_IB_STS2, 6, 4)
	s_add_co_i32 s0, s0, s1
	s_add_co_i32 s3, s3, s2
	s_cmp_eq_u32 s12, 0
	v_dual_lshrrev_b32 v1, 3, v0 :: v_dual_bitop2_b32 v2, 31, v0 bitop3:0x40
	s_cselect_b32 s1, ttmp9, s0
	s_cselect_b32 s12, ttmp7, s3
	s_wait_dscnt 0x0
	s_barrier_signal -1
	s_wait_kmcnt 0x0
	s_mul_i32 s0, s1, s9
	s_mul_i32 s2, s10, s12
	s_lshl_b32 s0, s0, 6
	s_barrier_wait -1
	s_add_co_i32 s2, s2, s0
	v_cmp_eq_u32_e64 s0, 0, v2
	s_ashr_i32 s3, s2, 31
	v_lshlrev_b32_e32 v2, 2, v2
	s_lshl_b64 s[2:3], s[2:3], 2
	s_delay_alu instid0(SALU_CYCLE_1)
	s_add_nc_u64 s[2:3], s[4:5], s[2:3]
	s_lshl_b32 s5, s8, 8
	s_branch .LBB53_4
.LBB53_3:                               ;   in Loop: Header=BB53_4 Depth=1
	s_or_b32 exec_lo, exec_lo, s8
	s_wait_dscnt 0x0
	s_barrier_signal -1
	s_barrier_wait -1
	ds_load_b32 v3, v2
	s_wait_dscnt 0x0
	s_barrier_signal -1
	s_barrier_wait -1
	v_cmp_ne_u32_e32 vcc_lo, 0, v3
	s_cmp_lg_u32 vcc_lo, exec_lo
	s_cselect_b32 s8, -1, 0
	s_delay_alu instid0(SALU_CYCLE_1)
	s_and_b32 vcc_lo, exec_lo, s8
	s_cbranch_vccnz .LBB53_260
.LBB53_4:                               ; =>This Inner Loop Header: Depth=1
	s_mov_b32 s4, s5
	s_addk_co_i32 s5, 0xff00
	s_delay_alu instid0(SALU_CYCLE_1)
	s_cmp_lt_i32 s5, 0
	s_cbranch_scc1 .LBB53_259
; %bb.5:                                ;   in Loop: Header=BB53_4 Depth=1
	s_lshr_b32 s8, s5, 1
	s_delay_alu instid0(SALU_CYCLE_1) | instskip(SKIP_4) | instid1(VALU_DEP_2)
	v_add_nc_u32_e32 v3, s8, v0
	global_load_b32 v4, v3, s[2:3] scale_offset
	s_wait_loadcnt 0x0
	v_lshrrev_b32_e32 v5, 16, v4
	v_cmp_class_f16_e64 s8, v4, 0x204
	v_cmp_class_f16_e64 s10, v5, 0x204
	s_and_b32 s13, s8, s10
	s_mov_b32 s10, 0
	s_and_saveexec_b32 s8, s13
	s_cbranch_execz .LBB53_257
; %bb.6:                                ;   in Loop: Header=BB53_4 Depth=1
	v_add_nc_u32_e32 v3, s9, v3
	s_mov_b32 s13, 0
	global_load_b32 v4, v3, s[2:3] scale_offset
	s_wait_loadcnt 0x0
	v_cmp_class_f16_e64 s14, v4, 0x204
	s_and_saveexec_b32 s10, s14
	s_cbranch_execz .LBB53_256
; %bb.7:                                ;   in Loop: Header=BB53_4 Depth=1
	v_lshrrev_b32_e32 v4, 16, v4
	s_mov_b32 s14, 0
	s_delay_alu instid0(VALU_DEP_1)
	v_cmp_class_f16_e64 s15, v4, 0x204
	s_and_saveexec_b32 s13, s15
	s_cbranch_execz .LBB53_255
; %bb.8:                                ;   in Loop: Header=BB53_4 Depth=1
	v_add_nc_u32_e32 v3, s9, v3
	s_mov_b32 s15, 0
	global_load_b32 v4, v3, s[2:3] scale_offset
	s_wait_loadcnt 0x0
	v_cmp_class_f16_e64 s16, v4, 0x204
	s_and_saveexec_b32 s14, s16
	s_cbranch_execz .LBB53_254
; %bb.9:                                ;   in Loop: Header=BB53_4 Depth=1
	v_lshrrev_b32_e32 v4, 16, v4
	s_mov_b32 s16, 0
	s_delay_alu instid0(VALU_DEP_1)
	v_cmp_class_f16_e64 s17, v4, 0x204
	s_and_saveexec_b32 s15, s17
	s_cbranch_execz .LBB53_253
; %bb.10:                               ;   in Loop: Header=BB53_4 Depth=1
	v_add_nc_u32_e32 v3, s9, v3
	s_mov_b32 s17, 0
	global_load_b32 v4, v3, s[2:3] scale_offset
	s_wait_loadcnt 0x0
	v_cmp_class_f16_e64 s18, v4, 0x204
	s_and_saveexec_b32 s16, s18
	s_cbranch_execz .LBB53_252
; %bb.11:                               ;   in Loop: Header=BB53_4 Depth=1
	v_lshrrev_b32_e32 v4, 16, v4
	s_mov_b32 s18, 0
	s_delay_alu instid0(VALU_DEP_1)
	v_cmp_class_f16_e64 s19, v4, 0x204
	s_and_saveexec_b32 s17, s19
	s_cbranch_execz .LBB53_251
; %bb.12:                               ;   in Loop: Header=BB53_4 Depth=1
	v_add_nc_u32_e32 v3, s9, v3
	s_mov_b32 s19, 0
	global_load_b32 v4, v3, s[2:3] scale_offset
	s_wait_loadcnt 0x0
	v_cmp_class_f16_e64 s20, v4, 0x204
	s_and_saveexec_b32 s18, s20
	s_cbranch_execz .LBB53_250
; %bb.13:                               ;   in Loop: Header=BB53_4 Depth=1
	;; [unrolled: 15-line block ×24, first 2 shown]
	v_lshrrev_b32_e32 v4, 16, v4
	s_mov_b32 s65, 0
	s_delay_alu instid0(VALU_DEP_1)
	v_cmp_class_f16_e64 s66, v4, 0x204
	s_and_saveexec_b32 s64, s66
	s_cbranch_execz .LBB53_205
; %bb.58:                               ;   in Loop: Header=BB53_4 Depth=1
	v_add_nc_u32_e32 v3, s9, v3
	global_load_b32 v4, v3, s[2:3] scale_offset
	s_wait_loadcnt 0x0
	v_cmp_class_f16_e64 s66, v4, 0x204
	s_mov_b32 s67, exec_lo
	s_delay_alu instid0(SALU_CYCLE_1)
	s_and_b32 s66, s67, s66
                                        ; implicit-def: $vgpr7 : SGPR spill to VGPR lane
	v_writelane_b32 v7, s67, 0
	s_mov_b32 exec_lo, s66
	s_cbranch_execz .LBB53_204
; %bb.59:                               ;   in Loop: Header=BB53_4 Depth=1
	v_lshrrev_b32_e32 v4, 16, v4
	s_delay_alu instid0(VALU_DEP_1) | instskip(SKIP_1) | instid1(SALU_CYCLE_1)
	v_cmp_class_f16_e64 s66, v4, 0x204
	s_mov_b32 s67, exec_lo
	s_and_b32 s66, s67, s66
	v_writelane_b32 v7, s67, 1
	s_mov_b32 exec_lo, s66
	s_cbranch_execz .LBB53_203
; %bb.60:                               ;   in Loop: Header=BB53_4 Depth=1
	v_add_nc_u32_e32 v3, s9, v3
	global_load_b32 v4, v3, s[2:3] scale_offset
	s_wait_loadcnt 0x0
	v_cmp_class_f16_e64 s66, v4, 0x204
	s_mov_b32 s67, exec_lo
	s_delay_alu instid0(SALU_CYCLE_1)
	s_and_b32 s66, s67, s66
	v_writelane_b32 v7, s67, 2
	s_mov_b32 exec_lo, s66
	s_cbranch_execz .LBB53_202
; %bb.61:                               ;   in Loop: Header=BB53_4 Depth=1
	v_lshrrev_b32_e32 v4, 16, v4
	s_delay_alu instid0(VALU_DEP_1) | instskip(SKIP_1) | instid1(SALU_CYCLE_1)
	v_cmp_class_f16_e64 s66, v4, 0x204
	s_mov_b32 s67, exec_lo
	s_and_b32 s66, s67, s66
	v_writelane_b32 v7, s67, 3
	s_mov_b32 exec_lo, s66
	s_cbranch_execz .LBB53_201
; %bb.62:                               ;   in Loop: Header=BB53_4 Depth=1
	v_add_nc_u32_e32 v3, s9, v3
	global_load_b32 v4, v3, s[2:3] scale_offset
	s_wait_loadcnt 0x0
	v_cmp_class_f16_e64 s66, v4, 0x204
	s_mov_b32 s67, exec_lo
	s_delay_alu instid0(SALU_CYCLE_1)
	s_and_b32 s66, s67, s66
	;; [unrolled: 20-line block ×16, first 2 shown]
                                        ; implicit-def: $vgpr6 : SGPR spill to VGPR lane
	v_writelane_b32 v6, s67, 0
	s_mov_b32 exec_lo, s66
	s_cbranch_execz .LBB53_172
; %bb.91:                               ;   in Loop: Header=BB53_4 Depth=1
	v_lshrrev_b32_e32 v4, 16, v4
	s_delay_alu instid0(VALU_DEP_1)
	v_cmp_class_f16_e64 s66, v4, 0x204
	s_and_saveexec_b32 s98, s66
	s_cbranch_execz .LBB53_171
; %bb.92:                               ;   in Loop: Header=BB53_4 Depth=1
	v_add_nc_u32_e32 v3, s9, v3
	global_load_b32 v4, v3, s[2:3] scale_offset
	s_wait_loadcnt 0x0
	v_cmp_class_f16_e64 s66, v4, 0x204
	s_and_saveexec_b32 s99, s66
	s_cbranch_execz .LBB53_170
; %bb.93:                               ;   in Loop: Header=BB53_4 Depth=1
	v_lshrrev_b32_e32 v4, 16, v4
	s_delay_alu instid0(VALU_DEP_1)
	v_cmp_class_f16_e64 s66, v4, 0x204
	s_and_saveexec_b32 s100, s66
	s_cbranch_execz .LBB53_169
; %bb.94:                               ;   in Loop: Header=BB53_4 Depth=1
	v_add_nc_u32_e32 v3, s9, v3
	global_load_b32 v4, v3, s[2:3] scale_offset
	s_wait_loadcnt 0x0
	v_cmp_class_f16_e64 s66, v4, 0x204
	s_and_saveexec_b32 s101, s66
	;; [unrolled: 13-line block ×3, first 2 shown]
	s_cbranch_execz .LBB53_166
; %bb.97:                               ;   in Loop: Header=BB53_4 Depth=1
	v_lshrrev_b32_e32 v4, 16, v4
	s_delay_alu instid0(VALU_DEP_1)
	v_cmp_class_f16_e64 s66, v4, 0x204
	s_and_saveexec_b32 s104, s66
	s_cbranch_execz .LBB53_165
; %bb.98:                               ;   in Loop: Header=BB53_4 Depth=1
	v_add_nc_u32_e32 v3, s9, v3
	global_load_b32 v4, v3, s[2:3] scale_offset
	s_wait_loadcnt 0x0
	v_cmp_class_f16_e64 s66, v4, 0x204
	s_and_saveexec_b32 vcc_lo, s66
	s_cbranch_execz .LBB53_164
; %bb.99:                               ;   in Loop: Header=BB53_4 Depth=1
	v_lshrrev_b32_e32 v4, 16, v4
	s_delay_alu instid0(VALU_DEP_1)
	v_cmp_class_f16_e64 s66, v4, 0x204
	s_and_saveexec_b32 vcc_hi, s66
	s_cbranch_execz .LBB53_163
; %bb.100:                              ;   in Loop: Header=BB53_4 Depth=1
	v_add_nc_u32_e32 v3, s9, v3
	s_mov_b32 s66, 0
	global_load_b32 v4, v3, s[2:3] scale_offset
	s_wait_loadcnt 0x0
	v_cmp_class_f16_e64 s67, v4, 0x204
	s_and_saveexec_b32 s65, s67
	s_cbranch_execz .LBB53_162
; %bb.101:                              ;   in Loop: Header=BB53_4 Depth=1
	v_lshrrev_b32_e32 v4, 16, v4
	s_mov_b32 s67, 0
	s_delay_alu instid0(VALU_DEP_1)
	v_cmp_class_f16_e64 s68, v4, 0x204
	s_and_saveexec_b32 s66, s68
	s_cbranch_execz .LBB53_161
; %bb.102:                              ;   in Loop: Header=BB53_4 Depth=1
	v_add_nc_u32_e32 v3, s9, v3
	s_mov_b32 s68, 0
	global_load_b32 v4, v3, s[2:3] scale_offset
	s_wait_loadcnt 0x0
	v_cmp_class_f16_e64 s69, v4, 0x204
	s_and_saveexec_b32 s67, s69
	s_cbranch_execz .LBB53_160
; %bb.103:                              ;   in Loop: Header=BB53_4 Depth=1
	v_lshrrev_b32_e32 v4, 16, v4
	s_mov_b32 s69, 0
	s_delay_alu instid0(VALU_DEP_1)
	v_cmp_class_f16_e64 s70, v4, 0x204
	s_and_saveexec_b32 s68, s70
	s_cbranch_execz .LBB53_159
; %bb.104:                              ;   in Loop: Header=BB53_4 Depth=1
	v_add_nc_u32_e32 v3, s9, v3
	s_mov_b32 s70, 0
	global_load_b32 v4, v3, s[2:3] scale_offset
	s_wait_loadcnt 0x0
	v_cmp_class_f16_e64 s71, v4, 0x204
	s_and_saveexec_b32 s69, s71
	s_cbranch_execz .LBB53_158
; %bb.105:                              ;   in Loop: Header=BB53_4 Depth=1
	v_lshrrev_b32_e32 v4, 16, v4
	s_mov_b32 s71, 0
	s_delay_alu instid0(VALU_DEP_1)
	v_cmp_class_f16_e64 s72, v4, 0x204
	s_and_saveexec_b32 s70, s72
	s_cbranch_execz .LBB53_157
; %bb.106:                              ;   in Loop: Header=BB53_4 Depth=1
	v_add_nc_u32_e32 v3, s9, v3
	s_mov_b32 s72, 0
	global_load_b32 v4, v3, s[2:3] scale_offset
	s_wait_loadcnt 0x0
	v_cmp_class_f16_e64 s73, v4, 0x204
	s_and_saveexec_b32 s71, s73
	s_cbranch_execz .LBB53_156
; %bb.107:                              ;   in Loop: Header=BB53_4 Depth=1
	v_lshrrev_b32_e32 v4, 16, v4
	s_mov_b32 s73, 0
	s_delay_alu instid0(VALU_DEP_1)
	v_cmp_class_f16_e64 s74, v4, 0x204
	s_and_saveexec_b32 s72, s74
	s_cbranch_execz .LBB53_155
; %bb.108:                              ;   in Loop: Header=BB53_4 Depth=1
	v_add_nc_u32_e32 v3, s9, v3
	s_mov_b32 s74, 0
	global_load_b32 v4, v3, s[2:3] scale_offset
	s_wait_loadcnt 0x0
	v_cmp_class_f16_e64 s75, v4, 0x204
	s_and_saveexec_b32 s73, s75
	s_cbranch_execz .LBB53_154
; %bb.109:                              ;   in Loop: Header=BB53_4 Depth=1
	v_lshrrev_b32_e32 v4, 16, v4
	s_mov_b32 s75, 0
	s_delay_alu instid0(VALU_DEP_1)
	v_cmp_class_f16_e64 s76, v4, 0x204
	s_and_saveexec_b32 s74, s76
	s_cbranch_execz .LBB53_153
; %bb.110:                              ;   in Loop: Header=BB53_4 Depth=1
	v_add_nc_u32_e32 v3, s9, v3
	s_mov_b32 s76, 0
	global_load_b32 v4, v3, s[2:3] scale_offset
	s_wait_loadcnt 0x0
	v_cmp_class_f16_e64 s77, v4, 0x204
	s_and_saveexec_b32 s75, s77
	s_cbranch_execz .LBB53_152
; %bb.111:                              ;   in Loop: Header=BB53_4 Depth=1
	v_lshrrev_b32_e32 v4, 16, v4
	s_mov_b32 s77, 0
	s_delay_alu instid0(VALU_DEP_1)
	v_cmp_class_f16_e64 s78, v4, 0x204
	s_and_saveexec_b32 s76, s78
	s_cbranch_execz .LBB53_151
; %bb.112:                              ;   in Loop: Header=BB53_4 Depth=1
	v_add_nc_u32_e32 v3, s9, v3
	s_mov_b32 s78, 0
	global_load_b32 v4, v3, s[2:3] scale_offset
	s_wait_loadcnt 0x0
	v_cmp_class_f16_e64 s79, v4, 0x204
	s_and_saveexec_b32 s77, s79
	s_cbranch_execz .LBB53_150
; %bb.113:                              ;   in Loop: Header=BB53_4 Depth=1
	v_lshrrev_b32_e32 v4, 16, v4
	s_mov_b32 s79, 0
	s_delay_alu instid0(VALU_DEP_1)
	v_cmp_class_f16_e64 s80, v4, 0x204
	s_and_saveexec_b32 s78, s80
	s_cbranch_execz .LBB53_149
; %bb.114:                              ;   in Loop: Header=BB53_4 Depth=1
	v_add_nc_u32_e32 v3, s9, v3
	s_mov_b32 s80, 0
	global_load_b32 v4, v3, s[2:3] scale_offset
	s_wait_loadcnt 0x0
	v_cmp_class_f16_e64 s81, v4, 0x204
	s_and_saveexec_b32 s79, s81
	s_cbranch_execz .LBB53_148
; %bb.115:                              ;   in Loop: Header=BB53_4 Depth=1
	v_lshrrev_b32_e32 v4, 16, v4
	s_mov_b32 s81, 0
	s_delay_alu instid0(VALU_DEP_1)
	v_cmp_class_f16_e64 s82, v4, 0x204
	s_and_saveexec_b32 s80, s82
	s_cbranch_execz .LBB53_147
; %bb.116:                              ;   in Loop: Header=BB53_4 Depth=1
	v_add_nc_u32_e32 v3, s9, v3
	s_mov_b32 s82, 0
	global_load_b32 v4, v3, s[2:3] scale_offset
	s_wait_loadcnt 0x0
	v_cmp_class_f16_e64 s83, v4, 0x204
	s_and_saveexec_b32 s81, s83
	s_cbranch_execz .LBB53_146
; %bb.117:                              ;   in Loop: Header=BB53_4 Depth=1
	v_lshrrev_b32_e32 v4, 16, v4
	s_mov_b32 s83, 0
	s_delay_alu instid0(VALU_DEP_1)
	v_cmp_class_f16_e64 s84, v4, 0x204
	s_and_saveexec_b32 s82, s84
	s_cbranch_execz .LBB53_145
; %bb.118:                              ;   in Loop: Header=BB53_4 Depth=1
	v_add_nc_u32_e32 v3, s9, v3
	s_mov_b32 s84, 0
	global_load_b32 v4, v3, s[2:3] scale_offset
	s_wait_loadcnt 0x0
	v_cmp_class_f16_e64 s85, v4, 0x204
	s_and_saveexec_b32 s83, s85
	s_cbranch_execz .LBB53_144
; %bb.119:                              ;   in Loop: Header=BB53_4 Depth=1
	v_lshrrev_b32_e32 v4, 16, v4
	s_mov_b32 s85, 0
	s_delay_alu instid0(VALU_DEP_1)
	v_cmp_class_f16_e64 s86, v4, 0x204
	s_and_saveexec_b32 s84, s86
	s_cbranch_execz .LBB53_143
; %bb.120:                              ;   in Loop: Header=BB53_4 Depth=1
	v_add_nc_u32_e32 v3, s9, v3
	s_mov_b32 s86, 0
	global_load_b32 v4, v3, s[2:3] scale_offset
	s_wait_loadcnt 0x0
	v_cmp_class_f16_e64 s87, v4, 0x204
	s_and_saveexec_b32 s85, s87
	s_cbranch_execz .LBB53_142
; %bb.121:                              ;   in Loop: Header=BB53_4 Depth=1
	v_lshrrev_b32_e32 v4, 16, v4
	s_mov_b32 s87, 0
	s_delay_alu instid0(VALU_DEP_1)
	v_cmp_class_f16_e64 s88, v4, 0x204
	s_and_saveexec_b32 s86, s88
	s_cbranch_execz .LBB53_141
; %bb.122:                              ;   in Loop: Header=BB53_4 Depth=1
	v_add_nc_u32_e32 v3, s9, v3
	s_mov_b32 s88, 0
	global_load_b32 v4, v3, s[2:3] scale_offset
	s_wait_loadcnt 0x0
	v_cmp_class_f16_e64 s89, v4, 0x204
	s_and_saveexec_b32 s87, s89
	s_cbranch_execz .LBB53_140
; %bb.123:                              ;   in Loop: Header=BB53_4 Depth=1
	v_lshrrev_b32_e32 v4, 16, v4
	s_mov_b32 s89, 0
	s_delay_alu instid0(VALU_DEP_1)
	v_cmp_class_f16_e64 s90, v4, 0x204
	s_and_saveexec_b32 s88, s90
	s_cbranch_execz .LBB53_139
; %bb.124:                              ;   in Loop: Header=BB53_4 Depth=1
	v_add_nc_u32_e32 v3, s9, v3
	s_mov_b32 s90, 0
	global_load_b32 v4, v3, s[2:3] scale_offset
	s_wait_loadcnt 0x0
	v_cmp_class_f16_e64 s91, v4, 0x204
	s_and_saveexec_b32 s89, s91
	s_cbranch_execz .LBB53_138
; %bb.125:                              ;   in Loop: Header=BB53_4 Depth=1
	v_lshrrev_b32_e32 v4, 16, v4
	s_mov_b32 s91, 0
	s_delay_alu instid0(VALU_DEP_1)
	v_cmp_class_f16_e64 s92, v4, 0x204
	s_and_saveexec_b32 s90, s92
	s_cbranch_execz .LBB53_137
; %bb.126:                              ;   in Loop: Header=BB53_4 Depth=1
	v_add_nc_u32_e32 v3, s9, v3
	s_mov_b32 s92, 0
	global_load_b32 v4, v3, s[2:3] scale_offset
	s_wait_loadcnt 0x0
	v_cmp_class_f16_e64 s93, v4, 0x204
	s_and_saveexec_b32 s91, s93
	s_cbranch_execz .LBB53_136
; %bb.127:                              ;   in Loop: Header=BB53_4 Depth=1
	v_lshrrev_b32_e32 v4, 16, v4
	s_mov_b32 s93, 0
	s_delay_alu instid0(VALU_DEP_1)
	v_cmp_class_f16_e64 s94, v4, 0x204
	s_and_saveexec_b32 s92, s94
	s_cbranch_execz .LBB53_135
; %bb.128:                              ;   in Loop: Header=BB53_4 Depth=1
	v_add_nc_u32_e32 v3, s9, v3
	s_mov_b32 s94, 0
	global_load_b32 v4, v3, s[2:3] scale_offset
	s_wait_loadcnt 0x0
	v_cmp_class_f16_e64 s95, v4, 0x204
	s_and_saveexec_b32 s93, s95
	s_cbranch_execz .LBB53_134
; %bb.129:                              ;   in Loop: Header=BB53_4 Depth=1
	v_lshrrev_b32_e32 v4, 16, v4
	s_mov_b32 s95, 0
	s_delay_alu instid0(VALU_DEP_1)
	v_cmp_class_f16_e64 s96, v4, 0x204
	s_and_saveexec_b32 s94, s96
	s_cbranch_execz .LBB53_133
; %bb.130:                              ;   in Loop: Header=BB53_4 Depth=1
	v_add_nc_u32_e32 v3, s9, v3
	global_load_b32 v3, v3, s[2:3] scale_offset
	s_wait_loadcnt 0x0
	v_cmp_class_f16_e64 s97, v3, 0x204
	s_and_saveexec_b32 s96, s97
; %bb.131:                              ;   in Loop: Header=BB53_4 Depth=1
	v_lshrrev_b32_e32 v3, 16, v3
	s_delay_alu instid0(VALU_DEP_1)
	v_cmp_class_f16_e64 s95, v3, 0x204
	s_and_b32 s95, s95, exec_lo
; %bb.132:                              ;   in Loop: Header=BB53_4 Depth=1
	s_or_b32 exec_lo, exec_lo, s96
	s_delay_alu instid0(SALU_CYCLE_1)
	s_and_b32 s95, s95, exec_lo
.LBB53_133:                             ;   in Loop: Header=BB53_4 Depth=1
	s_or_b32 exec_lo, exec_lo, s94
	s_delay_alu instid0(SALU_CYCLE_1)
	s_and_b32 s94, s95, exec_lo
.LBB53_134:                             ;   in Loop: Header=BB53_4 Depth=1
	s_or_b32 exec_lo, exec_lo, s93
	s_delay_alu instid0(SALU_CYCLE_1)
	s_and_b32 s93, s94, exec_lo
.LBB53_135:                             ;   in Loop: Header=BB53_4 Depth=1
	s_or_b32 exec_lo, exec_lo, s92
	s_delay_alu instid0(SALU_CYCLE_1)
	s_and_b32 s92, s93, exec_lo
.LBB53_136:                             ;   in Loop: Header=BB53_4 Depth=1
	s_or_b32 exec_lo, exec_lo, s91
	s_delay_alu instid0(SALU_CYCLE_1)
	s_and_b32 s91, s92, exec_lo
.LBB53_137:                             ;   in Loop: Header=BB53_4 Depth=1
	s_or_b32 exec_lo, exec_lo, s90
	s_delay_alu instid0(SALU_CYCLE_1)
	s_and_b32 s90, s91, exec_lo
.LBB53_138:                             ;   in Loop: Header=BB53_4 Depth=1
	s_or_b32 exec_lo, exec_lo, s89
	s_delay_alu instid0(SALU_CYCLE_1)
	s_and_b32 s89, s90, exec_lo
.LBB53_139:                             ;   in Loop: Header=BB53_4 Depth=1
	s_or_b32 exec_lo, exec_lo, s88
	s_delay_alu instid0(SALU_CYCLE_1)
	s_and_b32 s88, s89, exec_lo
.LBB53_140:                             ;   in Loop: Header=BB53_4 Depth=1
	s_or_b32 exec_lo, exec_lo, s87
	s_delay_alu instid0(SALU_CYCLE_1)
	s_and_b32 s87, s88, exec_lo
.LBB53_141:                             ;   in Loop: Header=BB53_4 Depth=1
	s_or_b32 exec_lo, exec_lo, s86
	s_delay_alu instid0(SALU_CYCLE_1)
	s_and_b32 s86, s87, exec_lo
.LBB53_142:                             ;   in Loop: Header=BB53_4 Depth=1
	s_or_b32 exec_lo, exec_lo, s85
	s_delay_alu instid0(SALU_CYCLE_1)
	s_and_b32 s85, s86, exec_lo
.LBB53_143:                             ;   in Loop: Header=BB53_4 Depth=1
	s_or_b32 exec_lo, exec_lo, s84
	s_delay_alu instid0(SALU_CYCLE_1)
	s_and_b32 s84, s85, exec_lo
.LBB53_144:                             ;   in Loop: Header=BB53_4 Depth=1
	s_or_b32 exec_lo, exec_lo, s83
	s_delay_alu instid0(SALU_CYCLE_1)
	s_and_b32 s83, s84, exec_lo
.LBB53_145:                             ;   in Loop: Header=BB53_4 Depth=1
	s_or_b32 exec_lo, exec_lo, s82
	s_delay_alu instid0(SALU_CYCLE_1)
	s_and_b32 s82, s83, exec_lo
.LBB53_146:                             ;   in Loop: Header=BB53_4 Depth=1
	s_or_b32 exec_lo, exec_lo, s81
	s_delay_alu instid0(SALU_CYCLE_1)
	s_and_b32 s81, s82, exec_lo
.LBB53_147:                             ;   in Loop: Header=BB53_4 Depth=1
	s_or_b32 exec_lo, exec_lo, s80
	s_delay_alu instid0(SALU_CYCLE_1)
	s_and_b32 s80, s81, exec_lo
.LBB53_148:                             ;   in Loop: Header=BB53_4 Depth=1
	s_or_b32 exec_lo, exec_lo, s79
	s_delay_alu instid0(SALU_CYCLE_1)
	s_and_b32 s79, s80, exec_lo
.LBB53_149:                             ;   in Loop: Header=BB53_4 Depth=1
	s_or_b32 exec_lo, exec_lo, s78
	s_delay_alu instid0(SALU_CYCLE_1)
	s_and_b32 s78, s79, exec_lo
.LBB53_150:                             ;   in Loop: Header=BB53_4 Depth=1
	s_or_b32 exec_lo, exec_lo, s77
	s_delay_alu instid0(SALU_CYCLE_1)
	s_and_b32 s77, s78, exec_lo
.LBB53_151:                             ;   in Loop: Header=BB53_4 Depth=1
	s_or_b32 exec_lo, exec_lo, s76
	s_delay_alu instid0(SALU_CYCLE_1)
	s_and_b32 s76, s77, exec_lo
.LBB53_152:                             ;   in Loop: Header=BB53_4 Depth=1
	s_or_b32 exec_lo, exec_lo, s75
	s_delay_alu instid0(SALU_CYCLE_1)
	s_and_b32 s75, s76, exec_lo
.LBB53_153:                             ;   in Loop: Header=BB53_4 Depth=1
	s_or_b32 exec_lo, exec_lo, s74
	s_delay_alu instid0(SALU_CYCLE_1)
	s_and_b32 s74, s75, exec_lo
.LBB53_154:                             ;   in Loop: Header=BB53_4 Depth=1
	s_or_b32 exec_lo, exec_lo, s73
	s_delay_alu instid0(SALU_CYCLE_1)
	s_and_b32 s73, s74, exec_lo
.LBB53_155:                             ;   in Loop: Header=BB53_4 Depth=1
	s_or_b32 exec_lo, exec_lo, s72
	s_delay_alu instid0(SALU_CYCLE_1)
	s_and_b32 s72, s73, exec_lo
.LBB53_156:                             ;   in Loop: Header=BB53_4 Depth=1
	s_or_b32 exec_lo, exec_lo, s71
	s_delay_alu instid0(SALU_CYCLE_1)
	s_and_b32 s71, s72, exec_lo
.LBB53_157:                             ;   in Loop: Header=BB53_4 Depth=1
	s_or_b32 exec_lo, exec_lo, s70
	s_delay_alu instid0(SALU_CYCLE_1)
	s_and_b32 s70, s71, exec_lo
.LBB53_158:                             ;   in Loop: Header=BB53_4 Depth=1
	s_or_b32 exec_lo, exec_lo, s69
	s_delay_alu instid0(SALU_CYCLE_1)
	s_and_b32 s69, s70, exec_lo
.LBB53_159:                             ;   in Loop: Header=BB53_4 Depth=1
	s_or_b32 exec_lo, exec_lo, s68
	s_delay_alu instid0(SALU_CYCLE_1)
	s_and_b32 s68, s69, exec_lo
.LBB53_160:                             ;   in Loop: Header=BB53_4 Depth=1
	s_or_b32 exec_lo, exec_lo, s67
	s_delay_alu instid0(SALU_CYCLE_1)
	s_and_b32 s67, s68, exec_lo
.LBB53_161:                             ;   in Loop: Header=BB53_4 Depth=1
	s_or_b32 exec_lo, exec_lo, s66
	s_delay_alu instid0(SALU_CYCLE_1)
	s_and_b32 s66, s67, exec_lo
.LBB53_162:                             ;   in Loop: Header=BB53_4 Depth=1
	s_or_b32 exec_lo, exec_lo, s65
	s_delay_alu instid0(SALU_CYCLE_1)
	s_and_b32 s65, s66, exec_lo
.LBB53_163:                             ;   in Loop: Header=BB53_4 Depth=1
	s_or_b32 exec_lo, exec_lo, vcc_hi
	s_delay_alu instid0(SALU_CYCLE_1)
	s_and_b32 s65, s65, exec_lo
.LBB53_164:                             ;   in Loop: Header=BB53_4 Depth=1
	s_or_b32 exec_lo, exec_lo, vcc_lo
	s_delay_alu instid0(SALU_CYCLE_1)
	s_and_b32 s65, s65, exec_lo
.LBB53_165:                             ;   in Loop: Header=BB53_4 Depth=1
	s_or_b32 exec_lo, exec_lo, s104
	s_delay_alu instid0(SALU_CYCLE_1)
	s_and_b32 s65, s65, exec_lo
.LBB53_166:                             ;   in Loop: Header=BB53_4 Depth=1
	s_or_b32 exec_lo, exec_lo, s103
	s_delay_alu instid0(SALU_CYCLE_1)
	s_and_b32 s65, s65, exec_lo
.LBB53_167:                             ;   in Loop: Header=BB53_4 Depth=1
	s_or_b32 exec_lo, exec_lo, s102
	s_delay_alu instid0(SALU_CYCLE_1)
	s_and_b32 s65, s65, exec_lo
.LBB53_168:                             ;   in Loop: Header=BB53_4 Depth=1
	s_or_b32 exec_lo, exec_lo, s101
	s_delay_alu instid0(SALU_CYCLE_1)
	s_and_b32 s65, s65, exec_lo
.LBB53_169:                             ;   in Loop: Header=BB53_4 Depth=1
	s_or_b32 exec_lo, exec_lo, s100
	s_delay_alu instid0(SALU_CYCLE_1)
	s_and_b32 s65, s65, exec_lo
.LBB53_170:                             ;   in Loop: Header=BB53_4 Depth=1
	s_or_b32 exec_lo, exec_lo, s99
	s_delay_alu instid0(SALU_CYCLE_1)
	s_and_b32 s65, s65, exec_lo
.LBB53_171:                             ;   in Loop: Header=BB53_4 Depth=1
	s_or_b32 exec_lo, exec_lo, s98
	s_delay_alu instid0(SALU_CYCLE_1)
	s_and_b32 s65, s65, exec_lo
.LBB53_172:                             ;   in Loop: Header=BB53_4 Depth=1
	s_delay_alu instid0(VALU_DEP_1) | instskip(SKIP_1) | instid1(SALU_CYCLE_1)
	v_readlane_b32 s66, v6, 0
	s_or_b32 exec_lo, exec_lo, s66
	s_and_b32 s65, s65, exec_lo
.LBB53_173:                             ;   in Loop: Header=BB53_4 Depth=1
	s_delay_alu instid0(VALU_DEP_1) | instskip(SKIP_1) | instid1(SALU_CYCLE_1)
	v_readlane_b32 s66, v7, 31
	s_or_b32 exec_lo, exec_lo, s66
	s_and_b32 s65, s65, exec_lo
.LBB53_174:                             ;   in Loop: Header=BB53_4 Depth=1
	s_delay_alu instid0(VALU_DEP_1) | instskip(SKIP_1) | instid1(SALU_CYCLE_1)
	v_readlane_b32 s66, v7, 30
	s_or_b32 exec_lo, exec_lo, s66
	s_and_b32 s65, s65, exec_lo
.LBB53_175:                             ;   in Loop: Header=BB53_4 Depth=1
	s_delay_alu instid0(VALU_DEP_1) | instskip(SKIP_1) | instid1(SALU_CYCLE_1)
	v_readlane_b32 s66, v7, 29
	s_or_b32 exec_lo, exec_lo, s66
	s_and_b32 s65, s65, exec_lo
.LBB53_176:                             ;   in Loop: Header=BB53_4 Depth=1
	s_delay_alu instid0(VALU_DEP_1) | instskip(SKIP_1) | instid1(SALU_CYCLE_1)
	v_readlane_b32 s66, v7, 28
	s_or_b32 exec_lo, exec_lo, s66
	s_and_b32 s65, s65, exec_lo
.LBB53_177:                             ;   in Loop: Header=BB53_4 Depth=1
	s_delay_alu instid0(VALU_DEP_1) | instskip(SKIP_1) | instid1(SALU_CYCLE_1)
	v_readlane_b32 s66, v7, 27
	s_or_b32 exec_lo, exec_lo, s66
	s_and_b32 s65, s65, exec_lo
.LBB53_178:                             ;   in Loop: Header=BB53_4 Depth=1
	s_delay_alu instid0(VALU_DEP_1) | instskip(SKIP_1) | instid1(SALU_CYCLE_1)
	v_readlane_b32 s66, v7, 26
	s_or_b32 exec_lo, exec_lo, s66
	s_and_b32 s65, s65, exec_lo
.LBB53_179:                             ;   in Loop: Header=BB53_4 Depth=1
	s_delay_alu instid0(VALU_DEP_1) | instskip(SKIP_1) | instid1(SALU_CYCLE_1)
	v_readlane_b32 s66, v7, 25
	s_or_b32 exec_lo, exec_lo, s66
	s_and_b32 s65, s65, exec_lo
.LBB53_180:                             ;   in Loop: Header=BB53_4 Depth=1
	s_delay_alu instid0(VALU_DEP_1) | instskip(SKIP_1) | instid1(SALU_CYCLE_1)
	v_readlane_b32 s66, v7, 24
	s_or_b32 exec_lo, exec_lo, s66
	s_and_b32 s65, s65, exec_lo
.LBB53_181:                             ;   in Loop: Header=BB53_4 Depth=1
	s_delay_alu instid0(VALU_DEP_1) | instskip(SKIP_1) | instid1(SALU_CYCLE_1)
	v_readlane_b32 s66, v7, 23
	s_or_b32 exec_lo, exec_lo, s66
	s_and_b32 s65, s65, exec_lo
.LBB53_182:                             ;   in Loop: Header=BB53_4 Depth=1
	s_delay_alu instid0(VALU_DEP_1) | instskip(SKIP_1) | instid1(SALU_CYCLE_1)
	v_readlane_b32 s66, v7, 22
	s_or_b32 exec_lo, exec_lo, s66
	s_and_b32 s65, s65, exec_lo
.LBB53_183:                             ;   in Loop: Header=BB53_4 Depth=1
	s_delay_alu instid0(VALU_DEP_1) | instskip(SKIP_1) | instid1(SALU_CYCLE_1)
	v_readlane_b32 s66, v7, 21
	s_or_b32 exec_lo, exec_lo, s66
	s_and_b32 s65, s65, exec_lo
.LBB53_184:                             ;   in Loop: Header=BB53_4 Depth=1
	s_delay_alu instid0(VALU_DEP_1) | instskip(SKIP_1) | instid1(SALU_CYCLE_1)
	v_readlane_b32 s66, v7, 20
	s_or_b32 exec_lo, exec_lo, s66
	s_and_b32 s65, s65, exec_lo
.LBB53_185:                             ;   in Loop: Header=BB53_4 Depth=1
	s_delay_alu instid0(VALU_DEP_1) | instskip(SKIP_1) | instid1(SALU_CYCLE_1)
	v_readlane_b32 s66, v7, 19
	s_or_b32 exec_lo, exec_lo, s66
	s_and_b32 s65, s65, exec_lo
.LBB53_186:                             ;   in Loop: Header=BB53_4 Depth=1
	s_delay_alu instid0(VALU_DEP_1) | instskip(SKIP_1) | instid1(SALU_CYCLE_1)
	v_readlane_b32 s66, v7, 18
	s_or_b32 exec_lo, exec_lo, s66
	s_and_b32 s65, s65, exec_lo
.LBB53_187:                             ;   in Loop: Header=BB53_4 Depth=1
	s_delay_alu instid0(VALU_DEP_1) | instskip(SKIP_1) | instid1(SALU_CYCLE_1)
	v_readlane_b32 s66, v7, 17
	s_or_b32 exec_lo, exec_lo, s66
	s_and_b32 s65, s65, exec_lo
.LBB53_188:                             ;   in Loop: Header=BB53_4 Depth=1
	s_delay_alu instid0(VALU_DEP_1) | instskip(SKIP_1) | instid1(SALU_CYCLE_1)
	v_readlane_b32 s66, v7, 16
	s_or_b32 exec_lo, exec_lo, s66
	s_and_b32 s65, s65, exec_lo
.LBB53_189:                             ;   in Loop: Header=BB53_4 Depth=1
	s_delay_alu instid0(VALU_DEP_1) | instskip(SKIP_1) | instid1(SALU_CYCLE_1)
	v_readlane_b32 s66, v7, 15
	s_or_b32 exec_lo, exec_lo, s66
	s_and_b32 s65, s65, exec_lo
.LBB53_190:                             ;   in Loop: Header=BB53_4 Depth=1
	s_delay_alu instid0(VALU_DEP_1) | instskip(SKIP_1) | instid1(SALU_CYCLE_1)
	v_readlane_b32 s66, v7, 14
	s_or_b32 exec_lo, exec_lo, s66
	s_and_b32 s65, s65, exec_lo
.LBB53_191:                             ;   in Loop: Header=BB53_4 Depth=1
	s_delay_alu instid0(VALU_DEP_1) | instskip(SKIP_1) | instid1(SALU_CYCLE_1)
	v_readlane_b32 s66, v7, 13
	s_or_b32 exec_lo, exec_lo, s66
	s_and_b32 s65, s65, exec_lo
.LBB53_192:                             ;   in Loop: Header=BB53_4 Depth=1
	s_delay_alu instid0(VALU_DEP_1) | instskip(SKIP_1) | instid1(SALU_CYCLE_1)
	v_readlane_b32 s66, v7, 12
	s_or_b32 exec_lo, exec_lo, s66
	s_and_b32 s65, s65, exec_lo
.LBB53_193:                             ;   in Loop: Header=BB53_4 Depth=1
	s_delay_alu instid0(VALU_DEP_1) | instskip(SKIP_1) | instid1(SALU_CYCLE_1)
	v_readlane_b32 s66, v7, 11
	s_or_b32 exec_lo, exec_lo, s66
	s_and_b32 s65, s65, exec_lo
.LBB53_194:                             ;   in Loop: Header=BB53_4 Depth=1
	s_delay_alu instid0(VALU_DEP_1) | instskip(SKIP_1) | instid1(SALU_CYCLE_1)
	v_readlane_b32 s66, v7, 10
	s_or_b32 exec_lo, exec_lo, s66
	s_and_b32 s65, s65, exec_lo
.LBB53_195:                             ;   in Loop: Header=BB53_4 Depth=1
	s_delay_alu instid0(VALU_DEP_1) | instskip(SKIP_1) | instid1(SALU_CYCLE_1)
	v_readlane_b32 s66, v7, 9
	s_or_b32 exec_lo, exec_lo, s66
	s_and_b32 s65, s65, exec_lo
.LBB53_196:                             ;   in Loop: Header=BB53_4 Depth=1
	s_delay_alu instid0(VALU_DEP_1) | instskip(SKIP_1) | instid1(SALU_CYCLE_1)
	v_readlane_b32 s66, v7, 8
	s_or_b32 exec_lo, exec_lo, s66
	s_and_b32 s65, s65, exec_lo
.LBB53_197:                             ;   in Loop: Header=BB53_4 Depth=1
	s_delay_alu instid0(VALU_DEP_1) | instskip(SKIP_1) | instid1(SALU_CYCLE_1)
	v_readlane_b32 s66, v7, 7
	s_or_b32 exec_lo, exec_lo, s66
	s_and_b32 s65, s65, exec_lo
.LBB53_198:                             ;   in Loop: Header=BB53_4 Depth=1
	s_delay_alu instid0(VALU_DEP_1) | instskip(SKIP_1) | instid1(SALU_CYCLE_1)
	v_readlane_b32 s66, v7, 6
	s_or_b32 exec_lo, exec_lo, s66
	s_and_b32 s65, s65, exec_lo
.LBB53_199:                             ;   in Loop: Header=BB53_4 Depth=1
	s_delay_alu instid0(VALU_DEP_1) | instskip(SKIP_1) | instid1(SALU_CYCLE_1)
	v_readlane_b32 s66, v7, 5
	s_or_b32 exec_lo, exec_lo, s66
	s_and_b32 s65, s65, exec_lo
.LBB53_200:                             ;   in Loop: Header=BB53_4 Depth=1
	s_delay_alu instid0(VALU_DEP_1) | instskip(SKIP_1) | instid1(SALU_CYCLE_1)
	v_readlane_b32 s66, v7, 4
	s_or_b32 exec_lo, exec_lo, s66
	s_and_b32 s65, s65, exec_lo
.LBB53_201:                             ;   in Loop: Header=BB53_4 Depth=1
	s_delay_alu instid0(VALU_DEP_1) | instskip(SKIP_1) | instid1(SALU_CYCLE_1)
	v_readlane_b32 s66, v7, 3
	s_or_b32 exec_lo, exec_lo, s66
	s_and_b32 s65, s65, exec_lo
.LBB53_202:                             ;   in Loop: Header=BB53_4 Depth=1
	s_delay_alu instid0(VALU_DEP_1) | instskip(SKIP_1) | instid1(SALU_CYCLE_1)
	v_readlane_b32 s66, v7, 2
	s_or_b32 exec_lo, exec_lo, s66
	s_and_b32 s65, s65, exec_lo
.LBB53_203:                             ;   in Loop: Header=BB53_4 Depth=1
	s_delay_alu instid0(VALU_DEP_1) | instskip(SKIP_1) | instid1(SALU_CYCLE_1)
	v_readlane_b32 s66, v7, 1
	s_or_b32 exec_lo, exec_lo, s66
	s_and_b32 s65, s65, exec_lo
.LBB53_204:                             ;   in Loop: Header=BB53_4 Depth=1
	s_delay_alu instid0(VALU_DEP_1) | instskip(SKIP_1) | instid1(SALU_CYCLE_1)
	v_readlane_b32 s66, v7, 0
	s_or_b32 exec_lo, exec_lo, s66
	s_and_b32 s65, s65, exec_lo
.LBB53_205:                             ;   in Loop: Header=BB53_4 Depth=1
	s_or_b32 exec_lo, exec_lo, s64
	s_delay_alu instid0(SALU_CYCLE_1)
	s_and_b32 s64, s65, exec_lo
.LBB53_206:                             ;   in Loop: Header=BB53_4 Depth=1
	s_or_b32 exec_lo, exec_lo, s63
	s_delay_alu instid0(SALU_CYCLE_1)
	s_and_b32 s63, s64, exec_lo
.LBB53_207:                             ;   in Loop: Header=BB53_4 Depth=1
	s_or_b32 exec_lo, exec_lo, s62
	s_delay_alu instid0(SALU_CYCLE_1)
	s_and_b32 s62, s63, exec_lo
.LBB53_208:                             ;   in Loop: Header=BB53_4 Depth=1
	s_or_b32 exec_lo, exec_lo, s61
	s_delay_alu instid0(SALU_CYCLE_1)
	s_and_b32 s61, s62, exec_lo
.LBB53_209:                             ;   in Loop: Header=BB53_4 Depth=1
	s_or_b32 exec_lo, exec_lo, s60
	s_delay_alu instid0(SALU_CYCLE_1)
	s_and_b32 s60, s61, exec_lo
.LBB53_210:                             ;   in Loop: Header=BB53_4 Depth=1
	s_or_b32 exec_lo, exec_lo, s59
	s_delay_alu instid0(SALU_CYCLE_1)
	s_and_b32 s59, s60, exec_lo
.LBB53_211:                             ;   in Loop: Header=BB53_4 Depth=1
	s_or_b32 exec_lo, exec_lo, s58
	s_delay_alu instid0(SALU_CYCLE_1)
	s_and_b32 s58, s59, exec_lo
.LBB53_212:                             ;   in Loop: Header=BB53_4 Depth=1
	s_or_b32 exec_lo, exec_lo, s57
	s_delay_alu instid0(SALU_CYCLE_1)
	s_and_b32 s57, s58, exec_lo
.LBB53_213:                             ;   in Loop: Header=BB53_4 Depth=1
	s_or_b32 exec_lo, exec_lo, s56
	s_delay_alu instid0(SALU_CYCLE_1)
	s_and_b32 s56, s57, exec_lo
.LBB53_214:                             ;   in Loop: Header=BB53_4 Depth=1
	s_or_b32 exec_lo, exec_lo, s55
	s_delay_alu instid0(SALU_CYCLE_1)
	s_and_b32 s55, s56, exec_lo
.LBB53_215:                             ;   in Loop: Header=BB53_4 Depth=1
	s_or_b32 exec_lo, exec_lo, s54
	s_delay_alu instid0(SALU_CYCLE_1)
	s_and_b32 s54, s55, exec_lo
.LBB53_216:                             ;   in Loop: Header=BB53_4 Depth=1
	s_or_b32 exec_lo, exec_lo, s53
	s_delay_alu instid0(SALU_CYCLE_1)
	s_and_b32 s53, s54, exec_lo
.LBB53_217:                             ;   in Loop: Header=BB53_4 Depth=1
	s_or_b32 exec_lo, exec_lo, s52
	s_delay_alu instid0(SALU_CYCLE_1)
	s_and_b32 s52, s53, exec_lo
.LBB53_218:                             ;   in Loop: Header=BB53_4 Depth=1
	s_or_b32 exec_lo, exec_lo, s51
	s_delay_alu instid0(SALU_CYCLE_1)
	s_and_b32 s51, s52, exec_lo
.LBB53_219:                             ;   in Loop: Header=BB53_4 Depth=1
	s_or_b32 exec_lo, exec_lo, s50
	s_delay_alu instid0(SALU_CYCLE_1)
	s_and_b32 s50, s51, exec_lo
.LBB53_220:                             ;   in Loop: Header=BB53_4 Depth=1
	s_or_b32 exec_lo, exec_lo, s49
	s_delay_alu instid0(SALU_CYCLE_1)
	s_and_b32 s49, s50, exec_lo
.LBB53_221:                             ;   in Loop: Header=BB53_4 Depth=1
	s_or_b32 exec_lo, exec_lo, s48
	s_delay_alu instid0(SALU_CYCLE_1)
	s_and_b32 s48, s49, exec_lo
.LBB53_222:                             ;   in Loop: Header=BB53_4 Depth=1
	s_or_b32 exec_lo, exec_lo, s47
	s_delay_alu instid0(SALU_CYCLE_1)
	s_and_b32 s47, s48, exec_lo
.LBB53_223:                             ;   in Loop: Header=BB53_4 Depth=1
	s_or_b32 exec_lo, exec_lo, s46
	s_delay_alu instid0(SALU_CYCLE_1)
	s_and_b32 s46, s47, exec_lo
.LBB53_224:                             ;   in Loop: Header=BB53_4 Depth=1
	s_or_b32 exec_lo, exec_lo, s45
	s_delay_alu instid0(SALU_CYCLE_1)
	s_and_b32 s45, s46, exec_lo
.LBB53_225:                             ;   in Loop: Header=BB53_4 Depth=1
	s_or_b32 exec_lo, exec_lo, s44
	s_delay_alu instid0(SALU_CYCLE_1)
	s_and_b32 s44, s45, exec_lo
.LBB53_226:                             ;   in Loop: Header=BB53_4 Depth=1
	s_or_b32 exec_lo, exec_lo, s43
	s_delay_alu instid0(SALU_CYCLE_1)
	s_and_b32 s43, s44, exec_lo
.LBB53_227:                             ;   in Loop: Header=BB53_4 Depth=1
	s_or_b32 exec_lo, exec_lo, s42
	s_delay_alu instid0(SALU_CYCLE_1)
	s_and_b32 s42, s43, exec_lo
.LBB53_228:                             ;   in Loop: Header=BB53_4 Depth=1
	s_or_b32 exec_lo, exec_lo, s41
	s_delay_alu instid0(SALU_CYCLE_1)
	s_and_b32 s41, s42, exec_lo
.LBB53_229:                             ;   in Loop: Header=BB53_4 Depth=1
	s_or_b32 exec_lo, exec_lo, s40
	s_delay_alu instid0(SALU_CYCLE_1)
	s_and_b32 s40, s41, exec_lo
.LBB53_230:                             ;   in Loop: Header=BB53_4 Depth=1
	s_or_b32 exec_lo, exec_lo, s39
	s_delay_alu instid0(SALU_CYCLE_1)
	s_and_b32 s39, s40, exec_lo
.LBB53_231:                             ;   in Loop: Header=BB53_4 Depth=1
	s_or_b32 exec_lo, exec_lo, s38
	s_delay_alu instid0(SALU_CYCLE_1)
	s_and_b32 s38, s39, exec_lo
.LBB53_232:                             ;   in Loop: Header=BB53_4 Depth=1
	s_or_b32 exec_lo, exec_lo, s37
	s_delay_alu instid0(SALU_CYCLE_1)
	s_and_b32 s37, s38, exec_lo
.LBB53_233:                             ;   in Loop: Header=BB53_4 Depth=1
	s_or_b32 exec_lo, exec_lo, s36
	s_delay_alu instid0(SALU_CYCLE_1)
	s_and_b32 s36, s37, exec_lo
.LBB53_234:                             ;   in Loop: Header=BB53_4 Depth=1
	s_or_b32 exec_lo, exec_lo, s35
	s_delay_alu instid0(SALU_CYCLE_1)
	s_and_b32 s35, s36, exec_lo
.LBB53_235:                             ;   in Loop: Header=BB53_4 Depth=1
	s_or_b32 exec_lo, exec_lo, s34
	s_delay_alu instid0(SALU_CYCLE_1)
	s_and_b32 s34, s35, exec_lo
.LBB53_236:                             ;   in Loop: Header=BB53_4 Depth=1
	s_or_b32 exec_lo, exec_lo, s33
	s_delay_alu instid0(SALU_CYCLE_1)
	s_and_b32 s33, s34, exec_lo
.LBB53_237:                             ;   in Loop: Header=BB53_4 Depth=1
	s_or_b32 exec_lo, exec_lo, s31
	s_delay_alu instid0(SALU_CYCLE_1)
	s_and_b32 s31, s33, exec_lo
.LBB53_238:                             ;   in Loop: Header=BB53_4 Depth=1
	s_or_b32 exec_lo, exec_lo, s30
	s_delay_alu instid0(SALU_CYCLE_1)
	s_and_b32 s30, s31, exec_lo
.LBB53_239:                             ;   in Loop: Header=BB53_4 Depth=1
	s_or_b32 exec_lo, exec_lo, s29
	s_delay_alu instid0(SALU_CYCLE_1)
	s_and_b32 s29, s30, exec_lo
.LBB53_240:                             ;   in Loop: Header=BB53_4 Depth=1
	s_or_b32 exec_lo, exec_lo, s28
	s_delay_alu instid0(SALU_CYCLE_1)
	s_and_b32 s28, s29, exec_lo
.LBB53_241:                             ;   in Loop: Header=BB53_4 Depth=1
	s_or_b32 exec_lo, exec_lo, s27
	s_delay_alu instid0(SALU_CYCLE_1)
	s_and_b32 s27, s28, exec_lo
.LBB53_242:                             ;   in Loop: Header=BB53_4 Depth=1
	s_or_b32 exec_lo, exec_lo, s26
	s_delay_alu instid0(SALU_CYCLE_1)
	s_and_b32 s26, s27, exec_lo
.LBB53_243:                             ;   in Loop: Header=BB53_4 Depth=1
	s_or_b32 exec_lo, exec_lo, s25
	s_delay_alu instid0(SALU_CYCLE_1)
	s_and_b32 s25, s26, exec_lo
.LBB53_244:                             ;   in Loop: Header=BB53_4 Depth=1
	s_or_b32 exec_lo, exec_lo, s24
	s_delay_alu instid0(SALU_CYCLE_1)
	s_and_b32 s24, s25, exec_lo
.LBB53_245:                             ;   in Loop: Header=BB53_4 Depth=1
	s_or_b32 exec_lo, exec_lo, s23
	s_delay_alu instid0(SALU_CYCLE_1)
	s_and_b32 s23, s24, exec_lo
.LBB53_246:                             ;   in Loop: Header=BB53_4 Depth=1
	s_or_b32 exec_lo, exec_lo, s22
	s_delay_alu instid0(SALU_CYCLE_1)
	s_and_b32 s22, s23, exec_lo
.LBB53_247:                             ;   in Loop: Header=BB53_4 Depth=1
	s_or_b32 exec_lo, exec_lo, s21
	s_delay_alu instid0(SALU_CYCLE_1)
	s_and_b32 s21, s22, exec_lo
.LBB53_248:                             ;   in Loop: Header=BB53_4 Depth=1
	s_or_b32 exec_lo, exec_lo, s20
	s_delay_alu instid0(SALU_CYCLE_1)
	s_and_b32 s20, s21, exec_lo
.LBB53_249:                             ;   in Loop: Header=BB53_4 Depth=1
	s_or_b32 exec_lo, exec_lo, s19
	s_delay_alu instid0(SALU_CYCLE_1)
	s_and_b32 s19, s20, exec_lo
.LBB53_250:                             ;   in Loop: Header=BB53_4 Depth=1
	s_or_b32 exec_lo, exec_lo, s18
	s_delay_alu instid0(SALU_CYCLE_1)
	s_and_b32 s18, s19, exec_lo
.LBB53_251:                             ;   in Loop: Header=BB53_4 Depth=1
	s_or_b32 exec_lo, exec_lo, s17
	s_delay_alu instid0(SALU_CYCLE_1)
	s_and_b32 s17, s18, exec_lo
.LBB53_252:                             ;   in Loop: Header=BB53_4 Depth=1
	s_or_b32 exec_lo, exec_lo, s16
	s_delay_alu instid0(SALU_CYCLE_1)
	s_and_b32 s16, s17, exec_lo
.LBB53_253:                             ;   in Loop: Header=BB53_4 Depth=1
	s_or_b32 exec_lo, exec_lo, s15
	s_delay_alu instid0(SALU_CYCLE_1)
	s_and_b32 s15, s16, exec_lo
.LBB53_254:                             ;   in Loop: Header=BB53_4 Depth=1
	s_or_b32 exec_lo, exec_lo, s14
	s_delay_alu instid0(SALU_CYCLE_1)
	s_and_b32 s14, s15, exec_lo
.LBB53_255:                             ;   in Loop: Header=BB53_4 Depth=1
	s_or_b32 exec_lo, exec_lo, s13
	s_delay_alu instid0(SALU_CYCLE_1)
	s_and_b32 s13, s14, exec_lo
.LBB53_256:                             ;   in Loop: Header=BB53_4 Depth=1
	s_or_b32 exec_lo, exec_lo, s10
	s_delay_alu instid0(SALU_CYCLE_1)
	s_and_b32 s10, s13, exec_lo
.LBB53_257:                             ;   in Loop: Header=BB53_4 Depth=1
	s_or_b32 exec_lo, exec_lo, s8
	v_cndmask_b32_e64 v3, 0, 1, s10
	s_mov_b32 s13, exec_lo
	s_delay_alu instid0(VALU_DEP_1)
	v_cmp_ne_u32_e32 vcc_lo, 0, v3
	s_and_saveexec_b32 s8, s0
	s_cbranch_execz .LBB53_3
; %bb.258:                              ;   in Loop: Header=BB53_4 Depth=1
	s_cmp_eq_u32 vcc_lo, s13
	s_cselect_b32 s10, -1, 0
	s_delay_alu instid0(SALU_CYCLE_1)
	v_cndmask_b32_e64 v3, 0, 1, s10
	ds_store_b32 v1, v3
	s_branch .LBB53_3
.LBB53_259:                             ;   in Loop: Header=BB53_4 Depth=1
	s_cbranch_execz .LBB53_4
.LBB53_260:
	s_mov_b32 s0, exec_lo
	v_cmpx_eq_u32_e32 0, v0
	s_cbranch_execz .LBB53_262
; %bb.261:
	s_mul_i32 s0, s11, s12
	v_mov_b32_e32 v1, s4
	s_add_co_i32 s0, s0, s1
	s_delay_alu instid0(SALU_CYCLE_1)
	v_mov_b32_e32 v0, s0
	global_store_b32 v0, v1, s[6:7] scale_offset
.LBB53_262:
	s_endpgm
	.section	.rodata,"a",@progbits
	.p2align	6, 0x0
	.amdhsa_kernel _ZL25flash_attn_mask_to_KV_maxILi64EEvPK7__half2Piiii
		.amdhsa_group_segment_fixed_size 128
		.amdhsa_private_segment_fixed_size 0
		.amdhsa_kernarg_size 288
		.amdhsa_user_sgpr_count 2
		.amdhsa_user_sgpr_dispatch_ptr 0
		.amdhsa_user_sgpr_queue_ptr 0
		.amdhsa_user_sgpr_kernarg_segment_ptr 1
		.amdhsa_user_sgpr_dispatch_id 0
		.amdhsa_user_sgpr_kernarg_preload_length 0
		.amdhsa_user_sgpr_kernarg_preload_offset 0
		.amdhsa_user_sgpr_private_segment_size 0
		.amdhsa_wavefront_size32 1
		.amdhsa_uses_dynamic_stack 0
		.amdhsa_enable_private_segment 0
		.amdhsa_system_sgpr_workgroup_id_x 1
		.amdhsa_system_sgpr_workgroup_id_y 1
		.amdhsa_system_sgpr_workgroup_id_z 0
		.amdhsa_system_sgpr_workgroup_info 0
		.amdhsa_system_vgpr_workitem_id 0
		.amdhsa_next_free_vgpr 8
		.amdhsa_next_free_sgpr 105
		.amdhsa_named_barrier_count 0
		.amdhsa_reserve_vcc 1
		.amdhsa_float_round_mode_32 0
		.amdhsa_float_round_mode_16_64 0
		.amdhsa_float_denorm_mode_32 3
		.amdhsa_float_denorm_mode_16_64 3
		.amdhsa_fp16_overflow 0
		.amdhsa_memory_ordered 1
		.amdhsa_forward_progress 1
		.amdhsa_inst_pref_size 59
		.amdhsa_round_robin_scheduling 0
		.amdhsa_exception_fp_ieee_invalid_op 0
		.amdhsa_exception_fp_denorm_src 0
		.amdhsa_exception_fp_ieee_div_zero 0
		.amdhsa_exception_fp_ieee_overflow 0
		.amdhsa_exception_fp_ieee_underflow 0
		.amdhsa_exception_fp_ieee_inexact 0
		.amdhsa_exception_int_div_zero 0
	.end_amdhsa_kernel
	.section	.text._ZL25flash_attn_mask_to_KV_maxILi64EEvPK7__half2Piiii,"axG",@progbits,_ZL25flash_attn_mask_to_KV_maxILi64EEvPK7__half2Piiii,comdat
.Lfunc_end53:
	.size	_ZL25flash_attn_mask_to_KV_maxILi64EEvPK7__half2Piiii, .Lfunc_end53-_ZL25flash_attn_mask_to_KV_maxILi64EEvPK7__half2Piiii
                                        ; -- End function
	.set _ZL25flash_attn_mask_to_KV_maxILi64EEvPK7__half2Piiii.num_vgpr, 8
	.set _ZL25flash_attn_mask_to_KV_maxILi64EEvPK7__half2Piiii.num_agpr, 0
	.set _ZL25flash_attn_mask_to_KV_maxILi64EEvPK7__half2Piiii.numbered_sgpr, 105
	.set _ZL25flash_attn_mask_to_KV_maxILi64EEvPK7__half2Piiii.num_named_barrier, 0
	.set _ZL25flash_attn_mask_to_KV_maxILi64EEvPK7__half2Piiii.private_seg_size, 0
	.set _ZL25flash_attn_mask_to_KV_maxILi64EEvPK7__half2Piiii.uses_vcc, 1
	.set _ZL25flash_attn_mask_to_KV_maxILi64EEvPK7__half2Piiii.uses_flat_scratch, 0
	.set _ZL25flash_attn_mask_to_KV_maxILi64EEvPK7__half2Piiii.has_dyn_sized_stack, 0
	.set _ZL25flash_attn_mask_to_KV_maxILi64EEvPK7__half2Piiii.has_recursion, 0
	.set _ZL25flash_attn_mask_to_KV_maxILi64EEvPK7__half2Piiii.has_indirect_call, 0
	.section	.AMDGPU.csdata,"",@progbits
; Kernel info:
; codeLenInByte = 7440
; TotalNumSgprs: 107
; NumVgprs: 8
; ScratchSize: 0
; MemoryBound: 0
; FloatMode: 240
; IeeeMode: 1
; LDSByteSize: 128 bytes/workgroup (compile time only)
; SGPRBlocks: 0
; VGPRBlocks: 0
; NumSGPRsForWavesPerEU: 107
; NumVGPRsForWavesPerEU: 8
; NamedBarCnt: 0
; Occupancy: 16
; WaveLimiterHint : 0
; COMPUTE_PGM_RSRC2:SCRATCH_EN: 0
; COMPUTE_PGM_RSRC2:USER_SGPR: 2
; COMPUTE_PGM_RSRC2:TRAP_HANDLER: 0
; COMPUTE_PGM_RSRC2:TGID_X_EN: 1
; COMPUTE_PGM_RSRC2:TGID_Y_EN: 1
; COMPUTE_PGM_RSRC2:TGID_Z_EN: 0
; COMPUTE_PGM_RSRC2:TIDIG_COMP_CNT: 0
	.section	.text._ZL33flash_attn_stream_k_fixup_uniformILi96ELi64ELi1EEvPfPK15HIP_vector_typeIfLj2EEiiiiiiS1_IjLj3EES5_S5_,"axG",@progbits,_ZL33flash_attn_stream_k_fixup_uniformILi96ELi64ELi1EEvPfPK15HIP_vector_typeIfLj2EEiiiiiiS1_IjLj3EES5_S5_,comdat
	.globl	_ZL33flash_attn_stream_k_fixup_uniformILi96ELi64ELi1EEvPfPK15HIP_vector_typeIfLj2EEiiiiiiS1_IjLj3EES5_S5_ ; -- Begin function _ZL33flash_attn_stream_k_fixup_uniformILi96ELi64ELi1EEvPfPK15HIP_vector_typeIfLj2EEiiiiiiS1_IjLj3EES5_S5_
	.p2align	8
	.type	_ZL33flash_attn_stream_k_fixup_uniformILi96ELi64ELi1EEvPfPK15HIP_vector_typeIfLj2EEiiiiiiS1_IjLj3EES5_S5_,@function
_ZL33flash_attn_stream_k_fixup_uniformILi96ELi64ELi1EEvPfPK15HIP_vector_typeIfLj2EEiiiiiiS1_IjLj3EES5_S5_: ; @_ZL33flash_attn_stream_k_fixup_uniformILi96ELi64ELi1EEvPfPK15HIP_vector_typeIfLj2EEiiiiiiS1_IjLj3EES5_S5_
; %bb.0:
	s_load_b256 s[4:11], s[0:1], 0x1c
	s_bfe_u32 s2, ttmp6, 0x40014
	s_lshr_b32 s3, ttmp7, 16
	s_add_co_i32 s2, s2, 1
	s_bfe_u32 s13, ttmp6, 0x40010
	s_mul_i32 s2, s3, s2
	s_bfe_u32 s12, ttmp6, 0x40008
	s_and_b32 s14, ttmp7, 0xffff
	s_add_co_i32 s13, s13, 1
	s_bfe_u32 s15, ttmp6, 0x4000c
	s_add_co_i32 s2, s12, s2
	s_mul_i32 s12, s14, s13
	s_bfe_u32 s13, ttmp6, 0x40004
	s_add_co_i32 s15, s15, 1
	s_add_co_i32 s13, s13, s12
	s_and_b32 s12, ttmp6, 15
	s_mul_i32 s15, ttmp9, s15
	s_getreg_b32 s20, hwreg(HW_REG_IB_STS2, 6, 4)
	s_add_co_i32 s12, s12, s15
	s_load_b128 s[16:19], s[0:1], 0x3c
	s_cmp_eq_u32 s20, 0
	s_cselect_b32 s12, ttmp9, s12
	s_cselect_b32 s13, s14, s13
	s_wait_kmcnt 0x0
	s_mul_hi_u32 s7, s7, s12
	s_cselect_b32 s14, s3, s2
	s_add_co_i32 s2, s12, s7
	s_delay_alu instid0(SALU_CYCLE_1) | instskip(NEXT) | instid1(SALU_CYCLE_1)
	s_lshr_b32 s7, s2, s8
	s_mul_i32 s2, s7, s9
	s_delay_alu instid0(SALU_CYCLE_1) | instskip(NEXT) | instid1(SALU_CYCLE_1)
	s_sub_co_i32 s8, s12, s2
	s_mul_hi_u32 s2, s8, s10
	s_delay_alu instid0(SALU_CYCLE_1) | instskip(SKIP_2) | instid1(SALU_CYCLE_1)
	s_add_co_i32 s9, s8, s2
	s_load_b64 s[2:3], s[0:1], 0x10
	s_lshr_b32 s15, s9, s11
	s_mul_i32 s9, s15, s16
	s_delay_alu instid0(SALU_CYCLE_1) | instskip(NEXT) | instid1(SALU_CYCLE_1)
	s_sub_co_i32 s8, s8, s9
	s_mul_hi_u32 s9, s8, s17
	s_delay_alu instid0(SALU_CYCLE_1) | instskip(NEXT) | instid1(SALU_CYCLE_1)
	s_add_co_i32 s9, s8, s9
	s_lshr_b32 s16, s9, s18
	s_delay_alu instid0(SALU_CYCLE_1) | instskip(NEXT) | instid1(SALU_CYCLE_1)
	s_mul_i32 s9, s16, s19
	s_sub_co_i32 s17, s8, s9
	s_delay_alu instid0(SALU_CYCLE_1) | instskip(NEXT) | instid1(SALU_CYCLE_1)
	s_lshl_b32 s8, s17, 6
	s_add_co_i32 s8, s8, s13
	s_wait_kmcnt 0x0
	s_cmp_lt_i32 s8, s2
	s_cselect_b32 s8, -1, 0
	s_add_co_i32 s16, s16, s14
	s_delay_alu instid0(SALU_CYCLE_1) | instskip(SKIP_1) | instid1(SALU_CYCLE_1)
	s_cmp_lt_i32 s16, s5
	s_cselect_b32 s9, -1, 0
	s_and_b32 s8, s8, s9
	s_delay_alu instid0(SALU_CYCLE_1)
	s_and_not1_b32 vcc_lo, exec_lo, s8
	s_cbranch_vccnz .LBB54_6
; %bb.1:
	s_load_b128 s[8:11], s[0:1], 0x0
	s_wait_xcnt 0x0
	s_mul_i32 s1, s3, s17
	s_mul_i32 s0, s7, s2
	s_mulk_i32 s1, 0x1800
	s_mul_i32 s15, s15, s5
	s_add_co_i32 s0, s0, s13
	v_or_b32_e32 v1, s1, v0
	s_mul_i32 s0, s0, s3
	s_add_co_i32 s1, s16, s15
	s_mul_i32 s7, s6, s12
	s_add_co_i32 s1, s1, s0
	s_add_co_i32 s5, s7, s6
	v_mad_u32 v4, 0x60, s1, v1
	s_add_co_i32 s13, s13, s14
	s_lshl_b32 s0, s5, 6
	s_add_co_i32 s2, s5, -2
	s_add_co_i32 s0, s13, s0
	s_delay_alu instid0(SALU_CYCLE_1) | instskip(NEXT) | instid1(SALU_CYCLE_1)
	s_sub_co_i32 s0, s0, 64
	s_ashr_i32 s1, s0, 31
	s_delay_alu instid0(SALU_CYCLE_1)
	s_lshl_b64 s[0:1], s[0:1], 3
	s_wait_kmcnt 0x0
	global_load_b32 v3, v4, s[8:9] scale_offset
	s_add_nc_u64 s[0:1], s[10:11], s[0:1]
	v_ashrrev_i32_e32 v5, 31, v4
	s_load_b32 s14, s[0:1], 0x4
	s_cmp_lt_i32 s2, s7
	s_cbranch_scc1 .LBB54_4
; %bb.2:
	s_wait_xcnt 0x0
	s_load_b32 s0, s[0:1], 0x0
	s_add_co_i32 s12, s12, 1
	s_lshl_b32 s2, s4, 8
	s_wait_xcnt 0x0
	s_mul_i32 s1, s6, s12
	s_mul_i32 s6, s13, 0x60
	s_lshl_b32 s12, s1, 6
	s_mulk_i32 s1, 0x1800
	s_ashr_i32 s3, s2, 31
	s_add_co_i32 s6, s6, s1
	s_add_co_i32 s12, s13, s12
	s_lshl_b32 s1, s4, 6
	v_add3_u32 v0, s6, v0, 0xffffd000
	s_wait_kmcnt 0x0
	v_mov_b32_e32 v2, s14
	s_lshl_b64 s[2:3], s[2:3], 2
	s_add_co_i32 s4, s12, s1
	s_add_nc_u64 s[2:3], s[10:11], s[2:3]
	s_add_co_i32 s1, s5, -1
	s_addk_co_i32 s4, 0xff80
.LBB54_3:                               ; =>This Inner Loop Header: Depth=1
	global_load_b32 v7, v0, s[2:3] scale_offset
	s_ashr_i32 s5, s4, 31
	v_max_num_f32_e64 v1, s0, s0
	s_lshl_b64 s[12:13], s[4:5], 3
	s_delay_alu instid0(SALU_CYCLE_1) | instskip(SKIP_1) | instid1(VALU_DEP_1)
	s_add_nc_u64 s[12:13], s[10:11], s[12:13]
	s_load_b64 s[12:13], s[12:13], 0x0
	v_readfirstlane_b32 s5, v1
	v_add_nc_u32_e32 v0, 0xffffe800, v0
	s_wait_kmcnt 0x0
	v_max_num_f32_e64 v1, s12, s12
	s_delay_alu instid0(VALU_DEP_1) | instskip(SKIP_1) | instid1(SALU_CYCLE_3)
	v_readfirstlane_b32 s6, v1
	s_max_num_f32 s5, s5, s6
	s_sub_f32 s0, s0, s5
	s_sub_f32 s6, s12, s5
	s_delay_alu instid0(SALU_CYCLE_2) | instskip(NEXT) | instid1(SALU_CYCLE_2)
	s_mul_f32 s12, s0, 0x3fb8aa3b
	s_mul_f32 s14, s6, 0x3fb8aa3b
	s_delay_alu instid0(SALU_CYCLE_2)
	s_xor_b32 s15, s12, 0x80000000
	s_rndne_f32 s16, s12
	s_fmamk_f32 s15, s0, 0x3fb8aa3b, s15
	s_cmp_nlt_f32 s0, 0xc2ce8ed0
	s_rndne_f32 s17, s14
	s_sub_f32 s12, s12, s16
	s_fmamk_f32 s15, s0, 0x32a5705f, s15
	s_cselect_b32 vcc_lo, -1, 0
	s_cmp_ngt_f32 s0, 0x42b17218
	s_delay_alu instid0(SALU_CYCLE_1) | instskip(SKIP_2) | instid1(SALU_CYCLE_1)
	s_add_f32 s12, s12, s15
	s_cvt_i32_f32 s15, s16
	s_sub_f32 s16, s14, s17
	v_s_exp_f32 s12, s12
	v_nop
	s_delay_alu instid0(TRANS32_DEP_1) | instskip(SKIP_1) | instid1(VALU_DEP_1)
	v_ldexp_f32 v1, s12, s15
	s_cvt_i32_f32 s12, s17
	v_cndmask_b32_e32 v1, 0, v1, vcc_lo
	s_cselect_b32 vcc_lo, -1, 0
	s_cmp_ge_f32 s0, 0xc1a00000
	s_delay_alu instid0(VALU_DEP_1)
	v_cndmask_b32_e32 v1, 0x7f800000, v1, vcc_lo
	s_cselect_b32 vcc_lo, -1, 0
	s_xor_b32 s0, s14, 0x80000000
	s_cmp_nlt_f32 s6, 0xc2ce8ed0
	s_fmamk_f32 s0, s6, 0x3fb8aa3b, s0
	v_cndmask_b32_e32 v10, 0, v1, vcc_lo
	s_delay_alu instid0(SALU_CYCLE_2) | instskip(NEXT) | instid1(SALU_CYCLE_3)
	s_fmamk_f32 s0, s6, 0x32a5705f, s0
	s_add_f32 s0, s16, s0
	s_delay_alu instid0(SALU_CYCLE_3) | instskip(SKIP_1) | instid1(TRANS32_DEP_1)
	v_s_exp_f32 s0, s0
	v_nop
	v_ldexp_f32 v6, s0, s12
	s_cselect_b32 s0, -1, 0
	s_cmp_ngt_f32 s6, 0x42b17218
	s_delay_alu instid0(VALU_DEP_1) | instskip(SKIP_2) | instid1(VALU_DEP_1)
	v_cndmask_b32_e64 v6, 0, v6, s0
	s_cselect_b32 s0, -1, 0
	s_cmp_ge_f32 s6, 0xc1a00000
	v_cndmask_b32_e64 v8, 0x7f800000, v6, s0
	s_cselect_b32 s0, -1, 0
	v_mov_b32_e32 v6, s13
	s_add_co_i32 s1, s1, -1
	s_sub_co_i32 s4, s4, 64
	v_cndmask_b32_e64 v8, 0, v8, s0
	s_cmp_le_i32 s1, s7
	s_mov_b32 s0, s5
	s_wait_loadcnt 0x0
	s_delay_alu instid0(VALU_DEP_1) | instskip(NEXT) | instid1(VALU_DEP_1)
	v_pk_mul_f32 v[6:7], v[6:7], v[8:9] op_sel_hi:[1,0]
	v_pk_fma_f32 v[2:3], v[2:3], v[10:11], v[6:7] op_sel_hi:[1,0,1]
	s_cbranch_scc0 .LBB54_3
	s_branch .LBB54_5
.LBB54_4:
	s_wait_kmcnt 0x0
	v_mov_b32_e32 v2, s14
.LBB54_5:
	v_lshl_add_u64 v[0:1], v[4:5], 2, s[8:9]
	s_wait_loadcnt 0x0
	s_delay_alu instid0(VALU_DEP_2) | instskip(NEXT) | instid1(VALU_DEP_1)
	v_div_scale_f32 v4, null, v2, v2, v3
	v_rcp_f32_e32 v5, v4
	v_nop
	s_delay_alu instid0(TRANS32_DEP_1) | instskip(NEXT) | instid1(VALU_DEP_1)
	v_fma_f32 v6, -v4, v5, 1.0
	v_fmac_f32_e32 v5, v6, v5
	v_div_scale_f32 v6, vcc_lo, v3, v2, v3
	s_delay_alu instid0(VALU_DEP_1) | instskip(NEXT) | instid1(VALU_DEP_1)
	v_mul_f32_e32 v7, v6, v5
	v_fma_f32 v8, -v4, v7, v6
	s_delay_alu instid0(VALU_DEP_1) | instskip(NEXT) | instid1(VALU_DEP_1)
	v_fmac_f32_e32 v7, v8, v5
	v_fma_f32 v4, -v4, v7, v6
	s_delay_alu instid0(VALU_DEP_1) | instskip(NEXT) | instid1(VALU_DEP_1)
	v_div_fmas_f32 v4, v4, v5, v7
	v_div_fixup_f32 v2, v4, v2, v3
	global_store_b32 v[0:1], v2, off
.LBB54_6:
	s_endpgm
	.section	.rodata,"a",@progbits
	.p2align	6, 0x0
	.amdhsa_kernel _ZL33flash_attn_stream_k_fixup_uniformILi96ELi64ELi1EEvPfPK15HIP_vector_typeIfLj2EEiiiiiiS1_IjLj3EES5_S5_
		.amdhsa_group_segment_fixed_size 0
		.amdhsa_private_segment_fixed_size 0
		.amdhsa_kernarg_size 76
		.amdhsa_user_sgpr_count 2
		.amdhsa_user_sgpr_dispatch_ptr 0
		.amdhsa_user_sgpr_queue_ptr 0
		.amdhsa_user_sgpr_kernarg_segment_ptr 1
		.amdhsa_user_sgpr_dispatch_id 0
		.amdhsa_user_sgpr_kernarg_preload_length 0
		.amdhsa_user_sgpr_kernarg_preload_offset 0
		.amdhsa_user_sgpr_private_segment_size 0
		.amdhsa_wavefront_size32 1
		.amdhsa_uses_dynamic_stack 0
		.amdhsa_enable_private_segment 0
		.amdhsa_system_sgpr_workgroup_id_x 1
		.amdhsa_system_sgpr_workgroup_id_y 1
		.amdhsa_system_sgpr_workgroup_id_z 1
		.amdhsa_system_sgpr_workgroup_info 0
		.amdhsa_system_vgpr_workitem_id 0
		.amdhsa_next_free_vgpr 12
		.amdhsa_next_free_sgpr 21
		.amdhsa_named_barrier_count 0
		.amdhsa_reserve_vcc 1
		.amdhsa_float_round_mode_32 0
		.amdhsa_float_round_mode_16_64 0
		.amdhsa_float_denorm_mode_32 3
		.amdhsa_float_denorm_mode_16_64 3
		.amdhsa_fp16_overflow 0
		.amdhsa_memory_ordered 1
		.amdhsa_forward_progress 1
		.amdhsa_inst_pref_size 9
		.amdhsa_round_robin_scheduling 0
		.amdhsa_exception_fp_ieee_invalid_op 0
		.amdhsa_exception_fp_denorm_src 0
		.amdhsa_exception_fp_ieee_div_zero 0
		.amdhsa_exception_fp_ieee_overflow 0
		.amdhsa_exception_fp_ieee_underflow 0
		.amdhsa_exception_fp_ieee_inexact 0
		.amdhsa_exception_int_div_zero 0
	.end_amdhsa_kernel
	.section	.text._ZL33flash_attn_stream_k_fixup_uniformILi96ELi64ELi1EEvPfPK15HIP_vector_typeIfLj2EEiiiiiiS1_IjLj3EES5_S5_,"axG",@progbits,_ZL33flash_attn_stream_k_fixup_uniformILi96ELi64ELi1EEvPfPK15HIP_vector_typeIfLj2EEiiiiiiS1_IjLj3EES5_S5_,comdat
.Lfunc_end54:
	.size	_ZL33flash_attn_stream_k_fixup_uniformILi96ELi64ELi1EEvPfPK15HIP_vector_typeIfLj2EEiiiiiiS1_IjLj3EES5_S5_, .Lfunc_end54-_ZL33flash_attn_stream_k_fixup_uniformILi96ELi64ELi1EEvPfPK15HIP_vector_typeIfLj2EEiiiiiiS1_IjLj3EES5_S5_
                                        ; -- End function
	.set _ZL33flash_attn_stream_k_fixup_uniformILi96ELi64ELi1EEvPfPK15HIP_vector_typeIfLj2EEiiiiiiS1_IjLj3EES5_S5_.num_vgpr, 12
	.set _ZL33flash_attn_stream_k_fixup_uniformILi96ELi64ELi1EEvPfPK15HIP_vector_typeIfLj2EEiiiiiiS1_IjLj3EES5_S5_.num_agpr, 0
	.set _ZL33flash_attn_stream_k_fixup_uniformILi96ELi64ELi1EEvPfPK15HIP_vector_typeIfLj2EEiiiiiiS1_IjLj3EES5_S5_.numbered_sgpr, 21
	.set _ZL33flash_attn_stream_k_fixup_uniformILi96ELi64ELi1EEvPfPK15HIP_vector_typeIfLj2EEiiiiiiS1_IjLj3EES5_S5_.num_named_barrier, 0
	.set _ZL33flash_attn_stream_k_fixup_uniformILi96ELi64ELi1EEvPfPK15HIP_vector_typeIfLj2EEiiiiiiS1_IjLj3EES5_S5_.private_seg_size, 0
	.set _ZL33flash_attn_stream_k_fixup_uniformILi96ELi64ELi1EEvPfPK15HIP_vector_typeIfLj2EEiiiiiiS1_IjLj3EES5_S5_.uses_vcc, 1
	.set _ZL33flash_attn_stream_k_fixup_uniformILi96ELi64ELi1EEvPfPK15HIP_vector_typeIfLj2EEiiiiiiS1_IjLj3EES5_S5_.uses_flat_scratch, 0
	.set _ZL33flash_attn_stream_k_fixup_uniformILi96ELi64ELi1EEvPfPK15HIP_vector_typeIfLj2EEiiiiiiS1_IjLj3EES5_S5_.has_dyn_sized_stack, 0
	.set _ZL33flash_attn_stream_k_fixup_uniformILi96ELi64ELi1EEvPfPK15HIP_vector_typeIfLj2EEiiiiiiS1_IjLj3EES5_S5_.has_recursion, 0
	.set _ZL33flash_attn_stream_k_fixup_uniformILi96ELi64ELi1EEvPfPK15HIP_vector_typeIfLj2EEiiiiiiS1_IjLj3EES5_S5_.has_indirect_call, 0
	.section	.AMDGPU.csdata,"",@progbits
; Kernel info:
; codeLenInByte = 1080
; TotalNumSgprs: 23
; NumVgprs: 12
; ScratchSize: 0
; MemoryBound: 0
; FloatMode: 240
; IeeeMode: 1
; LDSByteSize: 0 bytes/workgroup (compile time only)
; SGPRBlocks: 0
; VGPRBlocks: 0
; NumSGPRsForWavesPerEU: 23
; NumVGPRsForWavesPerEU: 12
; NamedBarCnt: 0
; Occupancy: 16
; WaveLimiterHint : 0
; COMPUTE_PGM_RSRC2:SCRATCH_EN: 0
; COMPUTE_PGM_RSRC2:USER_SGPR: 2
; COMPUTE_PGM_RSRC2:TRAP_HANDLER: 0
; COMPUTE_PGM_RSRC2:TGID_X_EN: 1
; COMPUTE_PGM_RSRC2:TGID_Y_EN: 1
; COMPUTE_PGM_RSRC2:TGID_Z_EN: 1
; COMPUTE_PGM_RSRC2:TIDIG_COMP_CNT: 0
	.section	.text._ZL33flash_attn_stream_k_fixup_generalILi96ELi64ELi1EEvPfPK15HIP_vector_typeIfLj2EEiiiiS1_IjLj3EES5_S5_S5_,"axG",@progbits,_ZL33flash_attn_stream_k_fixup_generalILi96ELi64ELi1EEvPfPK15HIP_vector_typeIfLj2EEiiiiS1_IjLj3EES5_S5_S5_,comdat
	.globl	_ZL33flash_attn_stream_k_fixup_generalILi96ELi64ELi1EEvPfPK15HIP_vector_typeIfLj2EEiiiiS1_IjLj3EES5_S5_S5_ ; -- Begin function _ZL33flash_attn_stream_k_fixup_generalILi96ELi64ELi1EEvPfPK15HIP_vector_typeIfLj2EEiiiiS1_IjLj3EES5_S5_S5_
	.p2align	8
	.type	_ZL33flash_attn_stream_k_fixup_generalILi96ELi64ELi1EEvPfPK15HIP_vector_typeIfLj2EEiiiiS1_IjLj3EES5_S5_S5_,@function
_ZL33flash_attn_stream_k_fixup_generalILi96ELi64ELi1EEvPfPK15HIP_vector_typeIfLj2EEiiiiS1_IjLj3EES5_S5_S5_: ; @_ZL33flash_attn_stream_k_fixup_generalILi96ELi64ELi1EEvPfPK15HIP_vector_typeIfLj2EEiiiiS1_IjLj3EES5_S5_S5_
; %bb.0:
	s_clause 0x1
	s_load_b128 s[4:7], s[0:1], 0x10
	s_load_b32 s16, s[0:1], 0x50
	s_bfe_u32 s2, ttmp6, 0x4000c
	s_and_b32 s3, ttmp6, 15
	s_add_co_i32 s2, s2, 1
	s_getreg_b32 s15, hwreg(HW_REG_IB_STS2, 6, 4)
	s_mul_i32 s2, ttmp9, s2
	s_mov_b32 s17, 0
	s_add_co_i32 s3, s3, s2
	s_cmp_eq_u32 s15, 0
	s_cselect_b32 s2, ttmp9, s3
	s_delay_alu instid0(SALU_CYCLE_1) | instskip(SKIP_3) | instid1(SALU_CYCLE_1)
	s_ashr_i32 s3, s2, 31
	s_wait_kmcnt 0x0
	s_ashr_i32 s19, s7, 31
	s_mov_b32 s18, s7
	s_mul_u64 s[8:9], s[18:19], s[2:3]
	s_delay_alu instid0(SALU_CYCLE_1) | instskip(NEXT) | instid1(SALU_CYCLE_1)
	s_and_b64 s[10:11], s[8:9], 0xffffffff00000000
	s_cmp_lg_u64 s[10:11], 0
	s_cbranch_scc0 .LBB55_21
; %bb.1:
	s_add_nc_u64 s[10:11], s[16:17], 0
	s_mov_b32 s23, s17
	s_xor_b64 s[10:11], s[10:11], 0
	s_mov_b32 s27, s17
	s_cvt_f32_u32 s3, s10
	s_cvt_f32_u32 s7, s11
	s_sub_nc_u64 s[20:21], 0, s[10:11]
	s_delay_alu instid0(SALU_CYCLE_2) | instskip(NEXT) | instid1(SALU_CYCLE_3)
	s_fmamk_f32 s3, s7, 0x4f800000, s3
	v_s_rcp_f32 s3, s3
	s_delay_alu instid0(TRANS32_DEP_1) | instskip(NEXT) | instid1(SALU_CYCLE_3)
	s_mul_f32 s3, s3, 0x5f7ffffc
	s_mul_f32 s7, s3, 0x2f800000
	s_delay_alu instid0(SALU_CYCLE_3) | instskip(NEXT) | instid1(SALU_CYCLE_3)
	s_trunc_f32 s7, s7
	s_fmamk_f32 s3, s7, 0xcf800000, s3
	s_cvt_u32_f32 s13, s7
	s_delay_alu instid0(SALU_CYCLE_2) | instskip(NEXT) | instid1(SALU_CYCLE_3)
	s_cvt_u32_f32 s12, s3
	s_mul_u64 s[24:25], s[20:21], s[12:13]
	s_delay_alu instid0(SALU_CYCLE_1)
	s_mul_hi_u32 s29, s12, s25
	s_mul_i32 s28, s12, s25
	s_mul_hi_u32 s22, s12, s24
	s_mul_i32 s7, s13, s24
	s_add_nc_u64 s[22:23], s[22:23], s[28:29]
	s_mul_hi_u32 s3, s13, s24
	s_mul_hi_u32 s14, s13, s25
	s_add_co_u32 s7, s22, s7
	s_add_co_ci_u32 s26, s23, s3
	s_mul_i32 s24, s13, s25
	s_add_co_ci_u32 s25, s14, 0
	s_delay_alu instid0(SALU_CYCLE_1) | instskip(SKIP_3) | instid1(SALU_CYCLE_1)
	s_add_nc_u64 s[22:23], s[26:27], s[24:25]
	s_mov_b32 s25, s17
	s_add_co_u32 s12, s12, s22
	s_cselect_b32 s3, -1, 0
	s_cmp_lg_u32 s3, 0
	s_add_co_ci_u32 s13, s13, s23
	s_mov_b32 s23, s17
	s_mul_u64 s[20:21], s[20:21], s[12:13]
	s_delay_alu instid0(SALU_CYCLE_1)
	s_mul_hi_u32 s27, s12, s21
	s_mul_i32 s26, s12, s21
	s_mul_hi_u32 s22, s12, s20
	s_mul_i32 s7, s13, s20
	s_add_nc_u64 s[22:23], s[22:23], s[26:27]
	s_mul_hi_u32 s3, s13, s20
	s_mul_hi_u32 s14, s13, s21
	s_add_co_u32 s7, s22, s7
	s_add_co_ci_u32 s24, s23, s3
	s_mul_i32 s20, s13, s21
	s_add_co_ci_u32 s21, s14, 0
	s_mov_b32 s23, s17
	s_add_nc_u64 s[20:21], s[24:25], s[20:21]
	s_delay_alu instid0(SALU_CYCLE_1) | instskip(SKIP_1) | instid1(SALU_CYCLE_1)
	s_add_co_u32 s3, s12, s20
	s_cselect_b32 s7, -1, 0
	s_cmp_lg_u32 s7, 0
	s_add_co_ci_u32 s7, s13, s21
	s_ashr_i32 s12, s9, 31
	s_delay_alu instid0(SALU_CYCLE_1) | instskip(NEXT) | instid1(SALU_CYCLE_1)
	s_mov_b32 s13, s12
	s_add_nc_u64 s[20:21], s[8:9], s[12:13]
	s_delay_alu instid0(SALU_CYCLE_1) | instskip(NEXT) | instid1(SALU_CYCLE_1)
	s_xor_b64 s[20:21], s[20:21], s[12:13]
	s_mul_hi_u32 s27, s20, s7
	s_mul_i32 s26, s20, s7
	s_mul_hi_u32 s22, s20, s3
	s_mul_hi_u32 s14, s21, s3
	s_mul_i32 s3, s21, s3
	s_add_nc_u64 s[22:23], s[22:23], s[26:27]
	s_mul_hi_u32 s9, s21, s7
	s_add_co_u32 s3, s22, s3
	s_add_co_ci_u32 s24, s23, s14
	s_mul_i32 s26, s21, s7
	s_add_co_ci_u32 s27, s9, 0
	s_delay_alu instid0(SALU_CYCLE_1) | instskip(NEXT) | instid1(SALU_CYCLE_1)
	s_add_nc_u64 s[22:23], s[24:25], s[26:27]
	s_and_b64 s[24:25], s[22:23], 0xffffffff00000000
	s_delay_alu instid0(SALU_CYCLE_1) | instskip(NEXT) | instid1(SALU_CYCLE_1)
	s_or_b32 s24, s24, s22
	s_mul_u64 s[22:23], s[10:11], s[24:25]
	s_add_nc_u64 s[26:27], s[24:25], 1
	s_sub_co_u32 s3, s20, s22
	s_cselect_b32 s7, -1, 0
	s_sub_co_i32 s9, s21, s23
	s_cmp_lg_u32 s7, 0
	s_add_nc_u64 s[28:29], s[24:25], 2
	s_sub_co_ci_u32 s9, s9, s11
	s_sub_co_u32 s14, s3, s10
	s_cselect_b32 s20, -1, 0
	s_delay_alu instid0(SALU_CYCLE_1) | instskip(SKIP_1) | instid1(SALU_CYCLE_1)
	s_cmp_lg_u32 s20, 0
	s_sub_co_ci_u32 s9, s9, 0
	s_cmp_ge_u32 s9, s11
	s_cselect_b32 s20, -1, 0
	s_cmp_ge_u32 s14, s10
	s_cselect_b32 s14, -1, 0
	s_cmp_eq_u32 s9, s11
	s_cselect_b32 s9, s14, s20
	s_delay_alu instid0(SALU_CYCLE_1) | instskip(SKIP_4) | instid1(SALU_CYCLE_1)
	s_cmp_lg_u32 s9, 0
	s_cselect_b32 s9, s28, s26
	s_cselect_b32 s14, s29, s27
	s_cmp_lg_u32 s7, 0
	s_sub_co_ci_u32 s7, s21, s23
	s_cmp_ge_u32 s7, s11
	s_cselect_b32 s20, -1, 0
	s_cmp_ge_u32 s3, s10
	s_cselect_b32 s3, -1, 0
	s_cmp_eq_u32 s7, s11
	s_cselect_b32 s3, s3, s20
	s_delay_alu instid0(SALU_CYCLE_1) | instskip(SKIP_4) | instid1(SALU_CYCLE_1)
	s_cmp_lg_u32 s3, 0
	s_mov_b32 s3, s17
	s_cselect_b32 s11, s14, s25
	s_cselect_b32 s10, s9, s24
	s_xor_b64 s[12:13], s[12:13], 0
	s_xor_b64 s[10:11], s[10:11], s[12:13]
	s_delay_alu instid0(SALU_CYCLE_1)
	s_sub_nc_u64 s[20:21], s[10:11], s[12:13]
	s_and_not1_b32 vcc_lo, exec_lo, s3
	s_cbranch_vccnz .LBB55_3
.LBB55_2:
	v_cvt_f32_u32_e32 v1, s16
	s_sub_co_i32 s7, 0, s16
	s_mov_b32 s21, 0
	s_delay_alu instid0(VALU_DEP_1) | instskip(SKIP_1) | instid1(TRANS32_DEP_1)
	v_rcp_iflag_f32_e32 v1, v1
	v_nop
	v_mul_f32_e32 v1, 0x4f7ffffe, v1
	s_delay_alu instid0(VALU_DEP_1) | instskip(NEXT) | instid1(VALU_DEP_1)
	v_cvt_u32_f32_e32 v1, v1
	v_readfirstlane_b32 s3, v1
	s_mul_i32 s7, s7, s3
	s_delay_alu instid0(SALU_CYCLE_1) | instskip(NEXT) | instid1(SALU_CYCLE_1)
	s_mul_hi_u32 s7, s3, s7
	s_add_co_i32 s3, s3, s7
	s_delay_alu instid0(SALU_CYCLE_1) | instskip(NEXT) | instid1(SALU_CYCLE_1)
	s_mul_hi_u32 s3, s8, s3
	s_mul_i32 s7, s3, s16
	s_delay_alu instid0(SALU_CYCLE_1)
	s_sub_co_i32 s7, s8, s7
	s_add_co_i32 s8, s3, 1
	s_sub_co_i32 s9, s7, s16
	s_cmp_ge_u32 s7, s16
	s_cselect_b32 s3, s8, s3
	s_cselect_b32 s7, s9, s7
	s_add_co_i32 s8, s3, 1
	s_cmp_ge_u32 s7, s16
	s_cselect_b32 s20, s8, s3
.LBB55_3:
	s_add_co_i32 s8, s2, 1
	s_delay_alu instid0(SALU_CYCLE_1) | instskip(NEXT) | instid1(SALU_CYCLE_1)
	s_ashr_i32 s9, s8, 31
	s_mul_u64 s[8:9], s[18:19], s[8:9]
	s_delay_alu instid0(SALU_CYCLE_1) | instskip(NEXT) | instid1(SALU_CYCLE_1)
	s_and_b64 s[10:11], s[8:9], 0xffffffff00000000
	s_cmp_lg_u64 s[10:11], 0
	s_cbranch_scc0 .LBB55_22
; %bb.4:
	s_add_nc_u64 s[10:11], s[16:17], 0
	s_delay_alu instid0(SALU_CYCLE_1) | instskip(SKIP_4) | instid1(SALU_CYCLE_2)
	s_xor_b64 s[12:13], s[10:11], 0
	s_mov_b32 s11, 0
	s_cvt_f32_u32 s3, s12
	s_cvt_f32_u32 s7, s13
	s_sub_nc_u64 s[24:25], 0, s[12:13]
	s_fmamk_f32 s3, s7, 0x4f800000, s3
	s_delay_alu instid0(SALU_CYCLE_3) | instskip(NEXT) | instid1(TRANS32_DEP_1)
	v_s_rcp_f32 s3, s3
	s_mul_f32 s3, s3, 0x5f7ffffc
	s_delay_alu instid0(SALU_CYCLE_3) | instskip(NEXT) | instid1(SALU_CYCLE_3)
	s_mul_f32 s7, s3, 0x2f800000
	s_trunc_f32 s7, s7
	s_delay_alu instid0(SALU_CYCLE_3) | instskip(SKIP_1) | instid1(SALU_CYCLE_2)
	s_fmamk_f32 s3, s7, 0xcf800000, s3
	s_cvt_u32_f32 s23, s7
	s_cvt_u32_f32 s22, s3
	s_delay_alu instid0(SALU_CYCLE_3) | instskip(NEXT) | instid1(SALU_CYCLE_1)
	s_mul_u64 s[26:27], s[24:25], s[22:23]
	s_mul_hi_u32 s29, s22, s27
	s_mul_i32 s28, s22, s27
	s_mul_hi_u32 s10, s22, s26
	s_mul_i32 s7, s23, s26
	s_add_nc_u64 s[28:29], s[10:11], s[28:29]
	s_mul_hi_u32 s3, s23, s26
	s_mul_hi_u32 s14, s23, s27
	s_add_co_u32 s7, s28, s7
	s_add_co_ci_u32 s10, s29, s3
	s_mul_i32 s26, s23, s27
	s_add_co_ci_u32 s27, s14, 0
	s_delay_alu instid0(SALU_CYCLE_1) | instskip(NEXT) | instid1(SALU_CYCLE_1)
	s_add_nc_u64 s[26:27], s[10:11], s[26:27]
	s_add_co_u32 s22, s22, s26
	s_cselect_b32 s3, -1, 0
	s_delay_alu instid0(SALU_CYCLE_1) | instskip(SKIP_1) | instid1(SALU_CYCLE_1)
	s_cmp_lg_u32 s3, 0
	s_add_co_ci_u32 s23, s23, s27
	s_mul_u64 s[24:25], s[24:25], s[22:23]
	s_delay_alu instid0(SALU_CYCLE_1)
	s_mul_hi_u32 s27, s22, s25
	s_mul_i32 s26, s22, s25
	s_mul_hi_u32 s10, s22, s24
	s_mul_i32 s7, s23, s24
	s_add_nc_u64 s[26:27], s[10:11], s[26:27]
	s_mul_hi_u32 s3, s23, s24
	s_mul_hi_u32 s14, s23, s25
	s_add_co_u32 s7, s26, s7
	s_add_co_ci_u32 s10, s27, s3
	s_mul_i32 s24, s23, s25
	s_add_co_ci_u32 s25, s14, 0
	s_delay_alu instid0(SALU_CYCLE_1) | instskip(NEXT) | instid1(SALU_CYCLE_1)
	s_add_nc_u64 s[24:25], s[10:11], s[24:25]
	s_add_co_u32 s3, s22, s24
	s_cselect_b32 s7, -1, 0
	s_delay_alu instid0(SALU_CYCLE_1) | instskip(SKIP_2) | instid1(SALU_CYCLE_1)
	s_cmp_lg_u32 s7, 0
	s_add_co_ci_u32 s7, s23, s25
	s_ashr_i32 s22, s9, 31
	s_mov_b32 s23, s22
	s_delay_alu instid0(SALU_CYCLE_1) | instskip(NEXT) | instid1(SALU_CYCLE_1)
	s_add_nc_u64 s[24:25], s[8:9], s[22:23]
	s_xor_b64 s[24:25], s[24:25], s[22:23]
	s_delay_alu instid0(SALU_CYCLE_1)
	s_mul_hi_u32 s27, s24, s7
	s_mul_i32 s26, s24, s7
	s_mul_hi_u32 s10, s24, s3
	s_mul_hi_u32 s14, s25, s3
	s_mul_i32 s3, s25, s3
	s_add_nc_u64 s[26:27], s[10:11], s[26:27]
	s_mul_hi_u32 s9, s25, s7
	s_add_co_u32 s3, s26, s3
	s_add_co_ci_u32 s10, s27, s14
	s_mul_i32 s28, s25, s7
	s_add_co_ci_u32 s29, s9, 0
	s_delay_alu instid0(SALU_CYCLE_1) | instskip(NEXT) | instid1(SALU_CYCLE_1)
	s_add_nc_u64 s[26:27], s[10:11], s[28:29]
	s_and_b64 s[28:29], s[26:27], 0xffffffff00000000
	s_delay_alu instid0(SALU_CYCLE_1) | instskip(NEXT) | instid1(SALU_CYCLE_1)
	s_or_b32 s28, s28, s26
	s_mul_u64 s[26:27], s[12:13], s[28:29]
	s_add_nc_u64 s[30:31], s[28:29], 1
	s_sub_co_u32 s3, s24, s26
	s_cselect_b32 s7, -1, 0
	s_sub_co_i32 s9, s25, s27
	s_cmp_lg_u32 s7, 0
	s_add_nc_u64 s[34:35], s[28:29], 2
	s_sub_co_ci_u32 s9, s9, s13
	s_sub_co_u32 s10, s3, s12
	s_cselect_b32 s14, -1, 0
	s_delay_alu instid0(SALU_CYCLE_1) | instskip(SKIP_1) | instid1(SALU_CYCLE_1)
	s_cmp_lg_u32 s14, 0
	s_sub_co_ci_u32 s9, s9, 0
	s_cmp_ge_u32 s9, s13
	s_cselect_b32 s14, -1, 0
	s_cmp_ge_u32 s10, s12
	s_cselect_b32 s10, -1, 0
	s_cmp_eq_u32 s9, s13
	s_cselect_b32 s9, s10, s14
	s_delay_alu instid0(SALU_CYCLE_1) | instskip(SKIP_4) | instid1(SALU_CYCLE_1)
	s_cmp_lg_u32 s9, 0
	s_cselect_b32 s9, s34, s30
	s_cselect_b32 s10, s35, s31
	s_cmp_lg_u32 s7, 0
	s_sub_co_ci_u32 s7, s25, s27
	s_cmp_ge_u32 s7, s13
	s_cselect_b32 s14, -1, 0
	s_cmp_ge_u32 s3, s12
	s_cselect_b32 s3, -1, 0
	s_cmp_eq_u32 s7, s13
	s_cselect_b32 s3, s3, s14
	s_delay_alu instid0(SALU_CYCLE_1) | instskip(SKIP_3) | instid1(SALU_CYCLE_1)
	s_cmp_lg_u32 s3, 0
	s_cselect_b32 s13, s10, s29
	s_cselect_b32 s12, s9, s28
	s_xor_b64 s[22:23], s[22:23], 0
	s_xor_b64 s[12:13], s[12:13], s[22:23]
	s_delay_alu instid0(SALU_CYCLE_1)
	s_sub_nc_u64 s[24:25], s[12:13], s[22:23]
	s_load_b96 s[12:14], s[0:1], 0x44
	s_cbranch_execnz .LBB55_6
.LBB55_5:
	v_cvt_f32_u32_e32 v1, s16
	s_sub_co_i32 s7, 0, s16
	s_delay_alu instid0(VALU_DEP_1) | instskip(SKIP_1) | instid1(TRANS32_DEP_1)
	v_rcp_iflag_f32_e32 v1, v1
	v_nop
	v_mul_f32_e32 v1, 0x4f7ffffe, v1
	s_delay_alu instid0(VALU_DEP_1) | instskip(NEXT) | instid1(VALU_DEP_1)
	v_cvt_u32_f32_e32 v1, v1
	v_readfirstlane_b32 s3, v1
	s_mul_i32 s7, s7, s3
	s_delay_alu instid0(SALU_CYCLE_1) | instskip(NEXT) | instid1(SALU_CYCLE_1)
	s_mul_hi_u32 s7, s3, s7
	s_add_co_i32 s3, s3, s7
	s_delay_alu instid0(SALU_CYCLE_1) | instskip(NEXT) | instid1(SALU_CYCLE_1)
	s_mul_hi_u32 s3, s8, s3
	s_mul_i32 s7, s3, s16
	s_delay_alu instid0(SALU_CYCLE_1)
	s_sub_co_i32 s7, s8, s7
	s_add_co_i32 s8, s3, 1
	s_sub_co_i32 s9, s7, s16
	s_cmp_ge_u32 s7, s16
	s_cselect_b32 s3, s8, s3
	s_cselect_b32 s7, s9, s7
	s_add_co_i32 s8, s3, 1
	s_cmp_ge_u32 s7, s16
	s_cselect_b32 s24, s8, s3
.LBB55_6:
	s_delay_alu instid0(SALU_CYCLE_1)
	s_cmp_eq_u32 s20, s24
	s_mov_b64 s[8:9], 0xffffffff
	s_cselect_b32 s3, -1, 0
	s_and_b64 s[8:9], s[20:21], s[8:9]
	s_mov_b32 s23, 0
	s_wait_kmcnt 0x0
	s_mov_b32 s22, s12
	s_mov_b32 s25, s23
	s_mul_u64 s[10:11], s[8:9], s[22:23]
	s_delay_alu instid0(SALU_CYCLE_1) | instskip(SKIP_2) | instid1(SALU_CYCLE_1)
	s_add_co_i32 s7, s11, s20
	s_mul_u64 s[10:11], s[24:25], s[22:23]
	s_lshr_b32 s12, s7, s13
	s_mul_i32 s7, s12, s14
	s_delay_alu instid0(SALU_CYCLE_1) | instskip(SKIP_2) | instid1(SALU_CYCLE_1)
	s_cmp_eq_u32 s7, s20
	s_cselect_b32 s7, -1, 0
	s_add_co_i32 s10, s11, s24
	s_lshr_b32 s10, s10, s13
	s_delay_alu instid0(SALU_CYCLE_1)
	s_cmp_eq_u32 s12, s10
	s_mul_i32 s10, s10, s14
	s_cselect_b32 s11, -1, 0
	s_cmp_lg_u32 s10, s24
	s_cselect_b32 s10, -1, 0
	s_or_b32 s3, s3, s7
	s_and_b32 s10, s11, s10
	s_delay_alu instid0(SALU_CYCLE_1) | instskip(NEXT) | instid1(SALU_CYCLE_1)
	s_or_b32 s3, s3, s10
	s_and_b32 vcc_lo, exec_lo, s3
	s_cbranch_vccnz .LBB55_24
; %bb.7:
	s_load_b256 s[24:31], s[0:1], 0x20
	s_bfe_u32 s7, ttmp6, 0x40014
	s_bfe_u32 s33, ttmp6, 0x40010
	s_lshr_b32 s3, ttmp7, 16
	s_add_co_i32 s7, s7, 1
	s_and_b32 s21, ttmp7, 0xffff
	s_add_co_i32 s33, s33, 1
	s_bfe_u32 s10, ttmp6, 0x40008
	s_mul_i32 s7, s3, s7
	s_bfe_u32 s34, ttmp6, 0x40004
	s_mul_i32 s33, s21, s33
	s_mov_b32 s11, s23
	s_add_co_i32 s7, s10, s7
	s_add_co_i32 s34, s34, s33
	s_cmp_eq_u32 s15, 0
	s_cselect_b32 s15, s21, s34
	s_cselect_b32 s3, s3, s7
	s_wait_kmcnt 0x0
	s_mov_b32 s10, s24
	s_delay_alu instid0(SALU_CYCLE_1) | instskip(SKIP_2) | instid1(SALU_CYCLE_1)
	s_mul_u64 s[8:9], s[8:9], s[10:11]
	s_load_b32 s8, s[0:1], 0x40
	s_add_co_i32 s7, s9, s20
	s_lshr_b32 s7, s7, s25
	s_delay_alu instid0(SALU_CYCLE_1) | instskip(NEXT) | instid1(SALU_CYCLE_1)
	s_mul_i32 s9, s7, s26
	s_sub_co_i32 s9, s20, s9
	s_delay_alu instid0(SALU_CYCLE_1) | instskip(NEXT) | instid1(SALU_CYCLE_1)
	s_mul_hi_u32 s10, s9, s27
	s_add_co_i32 s10, s9, s10
	s_delay_alu instid0(SALU_CYCLE_1) | instskip(NEXT) | instid1(SALU_CYCLE_1)
	s_lshr_b32 s21, s10, s28
	s_mul_i32 s10, s21, s29
	s_delay_alu instid0(SALU_CYCLE_1) | instskip(NEXT) | instid1(SALU_CYCLE_1)
	s_sub_co_i32 s10, s9, s10
	s_mul_hi_u32 s9, s10, s30
	s_delay_alu instid0(SALU_CYCLE_1) | instskip(NEXT) | instid1(SALU_CYCLE_1)
	s_add_co_i32 s9, s10, s9
	s_lshr_b32 s25, s9, s31
	s_mov_b32 s9, s23
	s_wait_kmcnt 0x0
	s_mul_i32 s8, s25, s8
	s_delay_alu instid0(SALU_CYCLE_1) | instskip(NEXT) | instid1(SALU_CYCLE_1)
	s_sub_co_i32 s8, s10, s8
	s_mul_u64 s[10:11], s[8:9], s[22:23]
	s_delay_alu instid0(SALU_CYCLE_1) | instskip(NEXT) | instid1(SALU_CYCLE_1)
	s_add_co_i32 s8, s8, s11
	s_lshr_b32 s24, s8, s13
	s_delay_alu instid0(SALU_CYCLE_1) | instskip(NEXT) | instid1(SALU_CYCLE_1)
	s_lshl_b32 s8, s24, 6
	s_add_co_i32 s8, s8, s15
	s_delay_alu instid0(SALU_CYCLE_1) | instskip(SKIP_2) | instid1(SALU_CYCLE_1)
	s_cmp_lt_i32 s8, s4
	s_cselect_b32 s8, -1, 0
	s_add_co_i32 s25, s25, s3
	s_cmp_lt_i32 s25, s6
	s_cselect_b32 s9, -1, 0
	s_delay_alu instid0(SALU_CYCLE_1) | instskip(NEXT) | instid1(SALU_CYCLE_1)
	s_and_b32 s8, s8, s9
	s_and_not1_b32 vcc_lo, exec_lo, s8
	s_cbranch_vccnz .LBB55_24
; %bb.8:
	s_load_b128 s[8:11], s[0:1], 0x0
	s_wait_xcnt 0x0
	s_mul_i32 s0, s7, s4
	s_mul_i32 s21, s21, s6
	s_add_co_i32 s0, s0, s15
	s_add_co_i32 s1, s25, s21
	s_mul_i32 s0, s0, s5
	s_mul_i32 s4, s5, s24
	s_add_co_i32 s0, s1, s0
	s_mulk_i32 s4, 0x1800
	s_mulk_i32 s0, 0x60
	s_add_co_i32 s15, s15, s3
	v_add3_u32 v2, s4, s0, v0
	s_add_nc_u64 s[0:1], s[16:17], 0
	v_cvt_f32_u32_e32 v4, s16
	s_xor_b64 s[6:7], s[0:1], 0
	s_lshl_b32 s0, s2, 6
	s_cvt_f32_u32 s3, s6
	s_cvt_f32_u32 s4, s7
	s_add_co_i32 s0, s0, s15
	v_rcp_iflag_f32_e32 v4, v4
	s_wait_kmcnt 0x0
	global_load_b32 v1, v2, s[8:9] scale_offset
	s_fmamk_f32 s3, s4, 0x4f800000, s3
	s_ashr_i32 s1, s0, 31
	s_lshl_b32 s24, s16, 8
	s_lshl_b64 s[0:1], s[0:1], 3
	v_s_rcp_f32 s3, s3
	s_add_nc_u64 s[0:1], s[10:11], s[0:1]
	s_mov_b32 s25, 0
	s_load_b64 s[28:29], s[0:1], 0x0
	v_mad_u32 v6, 0x60, s15, v0
	v_dual_mul_f32 v4, 0x4f7ffffe, v4 :: v_dual_ashrrev_i32 v3, 31, v2
	s_wait_xcnt 0x0
	s_lshl_b64 s[0:1], s[24:25], 2
	s_mul_f32 s3, s3, 0x5f7ffffc
	s_add_nc_u64 s[26:27], s[10:11], s[0:1]
	v_lshl_add_u64 v[2:3], v[2:3], 2, s[8:9]
	v_cvt_u32_f32_e32 v7, v4
	s_mul_f32 s4, s3, 0x2f800000
	s_mov_b64 s[8:9], 0xffffffff
	s_add_co_i32 s36, s2, -1
	s_sub_nc_u64 s[34:35], 0, s[6:7]
	s_trunc_f32 s4, s4
	s_delay_alu instid0(SALU_CYCLE_3)
	s_fmamk_f32 s0, s4, 0xcf800000, s3
	s_cvt_u32_f32 s31, s4
	s_wait_kmcnt 0x0
	v_mov_b32_e32 v0, s29
	s_cvt_u32_f32 s30, s0
.LBB55_9:                               ; =>This Inner Loop Header: Depth=1
	s_ashr_i32 s37, s36, 31
                                        ; implicit-def: $sgpr40_sgpr41
	s_delay_alu instid0(SALU_CYCLE_1) | instskip(NEXT) | instid1(SALU_CYCLE_1)
	s_mul_u64 s[0:1], s[36:37], s[18:19]
	s_and_b64 s[2:3], s[0:1], 0xffffffff00000000
	s_delay_alu instid0(SALU_CYCLE_1)
	s_cmp_lg_u64 s[2:3], 0
	s_mov_b32 s2, -1
	s_cbranch_scc0 .LBB55_11
; %bb.10:                               ;   in Loop: Header=BB55_9 Depth=1
	s_mul_u64 s[2:3], s[34:35], s[30:31]
	s_delay_alu instid0(SALU_CYCLE_1)
	s_mul_hi_u32 s5, s30, s3
	s_mul_i32 s4, s30, s3
	s_mul_hi_u32 s24, s30, s2
	s_mul_hi_u32 s17, s31, s2
	s_add_nc_u64 s[4:5], s[24:25], s[4:5]
	s_mul_i32 s2, s31, s2
	s_mul_hi_u32 s21, s31, s3
	s_add_co_u32 s2, s4, s2
	s_add_co_ci_u32 s24, s5, s17
	s_add_co_ci_u32 s5, s21, 0
	s_mul_i32 s4, s31, s3
	s_delay_alu instid0(SALU_CYCLE_1) | instskip(NEXT) | instid1(SALU_CYCLE_1)
	s_add_nc_u64 s[2:3], s[24:25], s[4:5]
	s_add_co_u32 s2, s30, s2
	s_cselect_b32 s4, -1, 0
	s_delay_alu instid0(SALU_CYCLE_1) | instskip(SKIP_1) | instid1(SALU_CYCLE_1)
	s_cmp_lg_u32 s4, 0
	s_add_co_ci_u32 s3, s31, s3
	s_mul_u64 s[4:5], s[34:35], s[2:3]
	s_delay_alu instid0(SALU_CYCLE_1)
	s_mul_hi_u32 s39, s2, s5
	s_mul_i32 s38, s2, s5
	s_mul_hi_u32 s24, s2, s4
	s_mul_hi_u32 s17, s3, s4
	s_mul_i32 s4, s3, s4
	s_add_nc_u64 s[38:39], s[24:25], s[38:39]
	s_mul_hi_u32 s21, s3, s5
	s_add_co_u32 s4, s38, s4
	s_add_co_ci_u32 s24, s39, s17
	s_mul_i32 s4, s3, s5
	s_add_co_ci_u32 s5, s21, 0
	s_delay_alu instid0(SALU_CYCLE_1) | instskip(NEXT) | instid1(SALU_CYCLE_1)
	s_add_nc_u64 s[4:5], s[24:25], s[4:5]
	s_add_co_u32 s17, s2, s4
	s_cselect_b32 s2, -1, 0
	s_delay_alu instid0(SALU_CYCLE_1) | instskip(SKIP_2) | instid1(SALU_CYCLE_1)
	s_cmp_lg_u32 s2, 0
	s_add_co_ci_u32 s21, s3, s5
	s_ashr_i32 s2, s1, 31
	s_mov_b32 s3, s2
	s_delay_alu instid0(SALU_CYCLE_1) | instskip(NEXT) | instid1(SALU_CYCLE_1)
	s_add_nc_u64 s[4:5], s[0:1], s[2:3]
	s_xor_b64 s[4:5], s[4:5], s[2:3]
	s_delay_alu instid0(SALU_CYCLE_1)
	s_mul_hi_u32 s39, s4, s21
	s_mul_i32 s38, s4, s21
	s_mul_hi_u32 s24, s4, s17
	s_mul_hi_u32 s29, s5, s17
	s_mul_i32 s17, s5, s17
	s_add_nc_u64 s[38:39], s[24:25], s[38:39]
	s_mul_hi_u32 s1, s5, s21
	s_add_co_u32 s17, s38, s17
	s_add_co_ci_u32 s24, s39, s29
	s_mul_i32 s40, s5, s21
	s_add_co_ci_u32 s41, s1, 0
	s_delay_alu instid0(SALU_CYCLE_1) | instskip(NEXT) | instid1(SALU_CYCLE_1)
	s_add_nc_u64 s[38:39], s[24:25], s[40:41]
	s_and_b64 s[40:41], s[38:39], 0xffffffff00000000
	s_delay_alu instid0(SALU_CYCLE_1) | instskip(NEXT) | instid1(SALU_CYCLE_1)
	s_or_b32 s40, s40, s38
	s_mul_u64 s[38:39], s[6:7], s[40:41]
	s_add_nc_u64 s[42:43], s[40:41], 1
	s_sub_co_u32 s1, s4, s38
	s_cselect_b32 s4, -1, 0
	s_sub_co_i32 s17, s5, s39
	s_cmp_lg_u32 s4, 0
	s_add_nc_u64 s[44:45], s[40:41], 2
	s_sub_co_ci_u32 s17, s17, s7
	s_sub_co_u32 s21, s1, s6
	s_cselect_b32 s24, -1, 0
	s_delay_alu instid0(SALU_CYCLE_1) | instskip(SKIP_1) | instid1(SALU_CYCLE_1)
	s_cmp_lg_u32 s24, 0
	s_sub_co_ci_u32 s17, s17, 0
	s_cmp_ge_u32 s17, s7
	s_cselect_b32 s24, -1, 0
	s_cmp_ge_u32 s21, s6
	s_cselect_b32 s21, -1, 0
	s_cmp_eq_u32 s17, s7
	s_cselect_b32 s17, s21, s24
	s_delay_alu instid0(SALU_CYCLE_1) | instskip(SKIP_4) | instid1(SALU_CYCLE_1)
	s_cmp_lg_u32 s17, 0
	s_cselect_b32 s17, s44, s42
	s_cselect_b32 s21, s45, s43
	s_cmp_lg_u32 s4, 0
	s_sub_co_ci_u32 s4, s5, s39
	s_cmp_ge_u32 s4, s7
	s_cselect_b32 s5, -1, 0
	s_cmp_ge_u32 s1, s6
	s_cselect_b32 s1, -1, 0
	s_cmp_eq_u32 s4, s7
	s_cselect_b32 s1, s1, s5
	s_delay_alu instid0(SALU_CYCLE_1) | instskip(SKIP_3) | instid1(SALU_CYCLE_1)
	s_cmp_lg_u32 s1, 0
	s_cselect_b32 s5, s21, s41
	s_cselect_b32 s4, s17, s40
	s_xor_b64 s[2:3], s[2:3], 0
	s_xor_b64 s[4:5], s[4:5], s[2:3]
	s_delay_alu instid0(SALU_CYCLE_1)
	s_sub_nc_u64 s[40:41], s[4:5], s[2:3]
	s_mov_b32 s2, 0
.LBB55_11:                              ;   in Loop: Header=BB55_9 Depth=1
	s_delay_alu instid0(SALU_CYCLE_1)
	s_and_not1_b32 vcc_lo, exec_lo, s2
	s_cbranch_vccnz .LBB55_13
; %bb.12:                               ;   in Loop: Header=BB55_9 Depth=1
	v_readfirstlane_b32 s1, v7
	s_sub_co_i32 s2, 0, s16
	s_delay_alu instid0(SALU_CYCLE_1) | instskip(NEXT) | instid1(SALU_CYCLE_1)
	s_mul_i32 s2, s2, s1
	s_mul_hi_u32 s2, s1, s2
	s_delay_alu instid0(SALU_CYCLE_1) | instskip(NEXT) | instid1(SALU_CYCLE_1)
	s_add_co_i32 s1, s1, s2
	s_mul_hi_u32 s1, s0, s1
	s_delay_alu instid0(SALU_CYCLE_1) | instskip(NEXT) | instid1(SALU_CYCLE_1)
	s_mul_i32 s2, s1, s16
	s_sub_co_i32 s0, s0, s2
	s_add_co_i32 s2, s1, 1
	s_sub_co_i32 s3, s0, s16
	s_cmp_ge_u32 s0, s16
	s_cselect_b32 s1, s2, s1
	s_cselect_b32 s0, s3, s0
	s_add_co_i32 s2, s1, 1
	s_cmp_ge_u32 s0, s16
	s_cselect_b32 s24, s2, s1
	s_delay_alu instid0(SALU_CYCLE_1)
	s_mov_b64 s[40:41], s[24:25]
.LBB55_13:                              ;   in Loop: Header=BB55_9 Depth=1
	s_delay_alu instid0(SALU_CYCLE_1)
	s_cmp_lg_u32 s20, s40
	s_mov_b32 s0, -1
                                        ; implicit-def: $vgpr4_vgpr5
                                        ; implicit-def: $sgpr24
                                        ; implicit-def: $sgpr17
                                        ; implicit-def: $sgpr21
                                        ; implicit-def: $sgpr29
	s_cbranch_scc0 .LBB55_18
; %bb.14:                               ;   in Loop: Header=BB55_9 Depth=1
	s_add_co_i32 s0, s36, s16
	v_max_num_f32_e64 v4, s28, s28
	s_lshl_b32 s0, s0, 6
	s_mov_b32 s29, s20
	s_add_co_i32 s0, s0, s15
	s_load_b64 s[38:39], s[10:11], s0 offset:0x0 scale_offset
	s_wait_xcnt 0x0
	v_readfirstlane_b32 s0, v4
	s_wait_kmcnt 0x0
	v_max_num_f32_e64 v5, s38, s38
	s_delay_alu instid0(VALU_DEP_1) | instskip(SKIP_1) | instid1(SALU_CYCLE_3)
	v_readfirstlane_b32 s1, v5
	s_max_num_f32 s17, s0, s1
	s_sub_f32 s33, s28, s17
	s_sub_f32 s37, s38, s17
	s_delay_alu instid0(SALU_CYCLE_2)
	s_cmp_nlt_f32 s33, 0xc2ce8ed0
	s_cselect_b32 s1, -1, 0
	s_cmp_ngt_f32 s33, 0x42b17218
	s_cselect_b32 s2, -1, 0
	s_cmp_ge_f32 s33, 0xc1a00000
	s_cselect_b32 s0, -1, 0
	s_cmp_nlt_f32 s37, 0xc2ce8ed0
	s_cselect_b32 s3, -1, 0
	s_cmp_ngt_f32 s37, 0x42b17218
	s_cselect_b32 s4, -1, 0
	s_cmp_ge_f32 s37, 0xc1a00000
	s_cselect_b32 s5, -1, 0
	s_and_b64 s[42:43], s[40:41], s[8:9]
	s_delay_alu instid0(SALU_CYCLE_1) | instskip(NEXT) | instid1(SALU_CYCLE_1)
	s_mul_u64 s[42:43], s[42:43], s[22:23]
	s_add_co_i32 s21, s43, s40
	s_delay_alu instid0(SALU_CYCLE_1) | instskip(NEXT) | instid1(SALU_CYCLE_1)
	s_lshr_b32 s21, s21, s13
	s_mul_i32 s24, s21, s14
	s_delay_alu instid0(SALU_CYCLE_1) | instskip(SKIP_3) | instid1(SALU_CYCLE_1)
	s_cmp_eq_u32 s24, s40
	s_cselect_b32 s24, -1, 0
	s_cmp_lt_u32 s21, s12
	s_cselect_b32 s21, -1, 0
	s_or_b32 s21, s21, s24
	s_mov_b32 s24, -1
	s_and_b32 vcc_lo, exec_lo, s21
	s_mov_b32 s21, s36
	s_cbranch_vccnz .LBB55_16
; %bb.15:                               ;   in Loop: Header=BB55_9 Depth=1
	s_add_co_i32 s21, s36, -1
	s_mov_b32 s24, 0
	s_mov_b32 s29, s40
.LBB55_16:                              ;   in Loop: Header=BB55_9 Depth=1
	v_mad_u32 v4, 0x1800, s36, v6
	s_mul_f32 s40, s33, 0x3fb8aa3b
	s_mul_f32 s38, s37, 0x3fb8aa3b
	s_delay_alu instid0(SALU_CYCLE_2)
	s_xor_b32 s42, s40, 0x80000000
	s_rndne_f32 s44, s40
	s_fmamk_f32 s42, s33, 0x3fb8aa3b, s42
	s_xor_b32 s41, s38, 0x80000000
	s_rndne_f32 s43, s38
	s_sub_f32 s40, s40, s44
	global_load_b32 v5, v4, s[26:27] scale_offset
	s_fmamk_f32 s33, s33, 0x32a5705f, s42
	s_fmamk_f32 s41, s37, 0x3fb8aa3b, s41
	s_sub_f32 s38, s38, s43
	s_delay_alu instid0(SALU_CYCLE_1) | instskip(NEXT) | instid1(SALU_CYCLE_1)
	s_add_f32 s33, s40, s33
	s_fmamk_f32 s37, s37, 0x32a5705f, s41
	s_cvt_i32_f32 s40, s44
	s_delay_alu instid0(SALU_CYCLE_1) | instskip(NEXT) | instid1(SALU_CYCLE_1)
	v_s_exp_f32 s33, s33
	s_add_f32 s37, s38, s37
	s_cvt_i32_f32 s38, s43
	s_delay_alu instid0(SALU_CYCLE_2) | instskip(NEXT) | instid1(TRANS32_DEP_2)
	v_s_exp_f32 s37, s37
	v_ldexp_f32 v8, s33, s40
	s_wait_xcnt 0x0
	s_delay_alu instid0(TRANS32_DEP_1) | instskip(NEXT) | instid1(VALU_DEP_2)
	v_ldexp_f32 v4, s37, s38
	v_cndmask_b32_e64 v8, 0, v8, s1
	s_delay_alu instid0(VALU_DEP_1) | instskip(NEXT) | instid1(VALU_DEP_1)
	v_cndmask_b32_e64 v9, 0x7f800000, v8, s2
	v_dual_cndmask_b32 v4, 0, v4, s3 :: v_dual_cndmask_b32 v10, 0, v9, s0
	s_delay_alu instid0(VALU_DEP_1) | instskip(NEXT) | instid1(VALU_DEP_1)
	v_cndmask_b32_e64 v4, 0x7f800000, v4, s4
	v_dual_cndmask_b32 v8, 0, v4, s5 :: v_dual_mov_b32 v4, s39
	s_wait_loadcnt 0x0
	s_delay_alu instid0(VALU_DEP_1) | instskip(NEXT) | instid1(VALU_DEP_1)
	v_pk_mul_f32 v[4:5], v[4:5], v[8:9] op_sel_hi:[1,0]
	v_pk_fma_f32 v[4:5], v[0:1], v[10:11], v[4:5] op_sel_hi:[1,0,1]
	s_cbranch_execz .LBB55_19
.LBB55_17:                              ;   in Loop: Header=BB55_9 Depth=1
	s_and_not1_b32 vcc_lo, exec_lo, s24
	s_cbranch_vccnz .LBB55_20
	s_branch .LBB55_23
.LBB55_18:                              ;   in Loop: Header=BB55_9 Depth=1
	s_and_not1_b32 vcc_lo, exec_lo, s0
	s_cbranch_vccnz .LBB55_17
.LBB55_19:                              ;   in Loop: Header=BB55_9 Depth=1
	s_wait_loadcnt 0x0
	v_mov_b64_e32 v[4:5], v[0:1]
	s_add_co_i32 s21, s36, -1
	s_mov_b32 s29, s20
	s_mov_b32 s17, s28
	s_cbranch_execz .LBB55_23
.LBB55_20:                              ;   in Loop: Header=BB55_9 Depth=1
	s_wait_loadcnt 0x0
	s_delay_alu instid0(VALU_DEP_1)
	v_mov_b64_e32 v[0:1], v[4:5]
	s_mov_b32 s20, s29
	s_mov_b32 s36, s21
	;; [unrolled: 1-line block ×3, first 2 shown]
	s_branch .LBB55_9
.LBB55_21:
                                        ; implicit-def: $sgpr20_sgpr21
	s_branch .LBB55_2
.LBB55_22:
                                        ; implicit-def: $sgpr24_sgpr25
	s_load_b96 s[12:14], s[0:1], 0x44
	s_branch .LBB55_5
.LBB55_23:
	s_delay_alu instid0(VALU_DEP_1) | instskip(SKIP_1) | instid1(VALU_DEP_1)
	v_div_scale_f32 v0, null, v4, v4, v5
	s_wait_loadcnt 0x0
	v_rcp_f32_e32 v1, v0
	v_nop
	s_delay_alu instid0(TRANS32_DEP_1) | instskip(NEXT) | instid1(VALU_DEP_1)
	v_fma_f32 v6, -v0, v1, 1.0
	v_fmac_f32_e32 v1, v6, v1
	v_div_scale_f32 v6, vcc_lo, v5, v4, v5
	s_delay_alu instid0(VALU_DEP_1) | instskip(NEXT) | instid1(VALU_DEP_1)
	v_mul_f32_e32 v7, v6, v1
	v_fma_f32 v8, -v0, v7, v6
	s_delay_alu instid0(VALU_DEP_1) | instskip(NEXT) | instid1(VALU_DEP_1)
	v_fmac_f32_e32 v7, v8, v1
	v_fma_f32 v0, -v0, v7, v6
	s_delay_alu instid0(VALU_DEP_1) | instskip(NEXT) | instid1(VALU_DEP_1)
	v_div_fmas_f32 v0, v0, v1, v7
	v_div_fixup_f32 v0, v0, v4, v5
	global_store_b32 v[2:3], v0, off
.LBB55_24:
	s_endpgm
	.section	.rodata,"a",@progbits
	.p2align	6, 0x0
	.amdhsa_kernel _ZL33flash_attn_stream_k_fixup_generalILi96ELi64ELi1EEvPfPK15HIP_vector_typeIfLj2EEiiiiS1_IjLj3EES5_S5_S5_
		.amdhsa_group_segment_fixed_size 0
		.amdhsa_private_segment_fixed_size 0
		.amdhsa_kernarg_size 336
		.amdhsa_user_sgpr_count 2
		.amdhsa_user_sgpr_dispatch_ptr 0
		.amdhsa_user_sgpr_queue_ptr 0
		.amdhsa_user_sgpr_kernarg_segment_ptr 1
		.amdhsa_user_sgpr_dispatch_id 0
		.amdhsa_user_sgpr_kernarg_preload_length 0
		.amdhsa_user_sgpr_kernarg_preload_offset 0
		.amdhsa_user_sgpr_private_segment_size 0
		.amdhsa_wavefront_size32 1
		.amdhsa_uses_dynamic_stack 0
		.amdhsa_enable_private_segment 0
		.amdhsa_system_sgpr_workgroup_id_x 1
		.amdhsa_system_sgpr_workgroup_id_y 1
		.amdhsa_system_sgpr_workgroup_id_z 1
		.amdhsa_system_sgpr_workgroup_info 0
		.amdhsa_system_vgpr_workitem_id 0
		.amdhsa_next_free_vgpr 12
		.amdhsa_next_free_sgpr 46
		.amdhsa_named_barrier_count 0
		.amdhsa_reserve_vcc 1
		.amdhsa_float_round_mode_32 0
		.amdhsa_float_round_mode_16_64 0
		.amdhsa_float_denorm_mode_32 3
		.amdhsa_float_denorm_mode_16_64 3
		.amdhsa_fp16_overflow 0
		.amdhsa_memory_ordered 1
		.amdhsa_forward_progress 1
		.amdhsa_inst_pref_size 27
		.amdhsa_round_robin_scheduling 0
		.amdhsa_exception_fp_ieee_invalid_op 0
		.amdhsa_exception_fp_denorm_src 0
		.amdhsa_exception_fp_ieee_div_zero 0
		.amdhsa_exception_fp_ieee_overflow 0
		.amdhsa_exception_fp_ieee_underflow 0
		.amdhsa_exception_fp_ieee_inexact 0
		.amdhsa_exception_int_div_zero 0
	.end_amdhsa_kernel
	.section	.text._ZL33flash_attn_stream_k_fixup_generalILi96ELi64ELi1EEvPfPK15HIP_vector_typeIfLj2EEiiiiS1_IjLj3EES5_S5_S5_,"axG",@progbits,_ZL33flash_attn_stream_k_fixup_generalILi96ELi64ELi1EEvPfPK15HIP_vector_typeIfLj2EEiiiiS1_IjLj3EES5_S5_S5_,comdat
.Lfunc_end55:
	.size	_ZL33flash_attn_stream_k_fixup_generalILi96ELi64ELi1EEvPfPK15HIP_vector_typeIfLj2EEiiiiS1_IjLj3EES5_S5_S5_, .Lfunc_end55-_ZL33flash_attn_stream_k_fixup_generalILi96ELi64ELi1EEvPfPK15HIP_vector_typeIfLj2EEiiiiS1_IjLj3EES5_S5_S5_
                                        ; -- End function
	.set _ZL33flash_attn_stream_k_fixup_generalILi96ELi64ELi1EEvPfPK15HIP_vector_typeIfLj2EEiiiiS1_IjLj3EES5_S5_S5_.num_vgpr, 12
	.set _ZL33flash_attn_stream_k_fixup_generalILi96ELi64ELi1EEvPfPK15HIP_vector_typeIfLj2EEiiiiS1_IjLj3EES5_S5_S5_.num_agpr, 0
	.set _ZL33flash_attn_stream_k_fixup_generalILi96ELi64ELi1EEvPfPK15HIP_vector_typeIfLj2EEiiiiS1_IjLj3EES5_S5_S5_.numbered_sgpr, 46
	.set _ZL33flash_attn_stream_k_fixup_generalILi96ELi64ELi1EEvPfPK15HIP_vector_typeIfLj2EEiiiiS1_IjLj3EES5_S5_S5_.num_named_barrier, 0
	.set _ZL33flash_attn_stream_k_fixup_generalILi96ELi64ELi1EEvPfPK15HIP_vector_typeIfLj2EEiiiiS1_IjLj3EES5_S5_S5_.private_seg_size, 0
	.set _ZL33flash_attn_stream_k_fixup_generalILi96ELi64ELi1EEvPfPK15HIP_vector_typeIfLj2EEiiiiS1_IjLj3EES5_S5_S5_.uses_vcc, 1
	.set _ZL33flash_attn_stream_k_fixup_generalILi96ELi64ELi1EEvPfPK15HIP_vector_typeIfLj2EEiiiiS1_IjLj3EES5_S5_S5_.uses_flat_scratch, 0
	.set _ZL33flash_attn_stream_k_fixup_generalILi96ELi64ELi1EEvPfPK15HIP_vector_typeIfLj2EEiiiiS1_IjLj3EES5_S5_S5_.has_dyn_sized_stack, 0
	.set _ZL33flash_attn_stream_k_fixup_generalILi96ELi64ELi1EEvPfPK15HIP_vector_typeIfLj2EEiiiiS1_IjLj3EES5_S5_S5_.has_recursion, 0
	.set _ZL33flash_attn_stream_k_fixup_generalILi96ELi64ELi1EEvPfPK15HIP_vector_typeIfLj2EEiiiiS1_IjLj3EES5_S5_S5_.has_indirect_call, 0
	.section	.AMDGPU.csdata,"",@progbits
; Kernel info:
; codeLenInByte = 3344
; TotalNumSgprs: 48
; NumVgprs: 12
; ScratchSize: 0
; MemoryBound: 0
; FloatMode: 240
; IeeeMode: 1
; LDSByteSize: 0 bytes/workgroup (compile time only)
; SGPRBlocks: 0
; VGPRBlocks: 0
; NumSGPRsForWavesPerEU: 48
; NumVGPRsForWavesPerEU: 12
; NamedBarCnt: 0
; Occupancy: 16
; WaveLimiterHint : 0
; COMPUTE_PGM_RSRC2:SCRATCH_EN: 0
; COMPUTE_PGM_RSRC2:USER_SGPR: 2
; COMPUTE_PGM_RSRC2:TRAP_HANDLER: 0
; COMPUTE_PGM_RSRC2:TGID_X_EN: 1
; COMPUTE_PGM_RSRC2:TGID_Y_EN: 1
; COMPUTE_PGM_RSRC2:TGID_Z_EN: 1
; COMPUTE_PGM_RSRC2:TIDIG_COMP_CNT: 0
	.section	.text._ZL15flash_attn_tileILi96ELi96ELi32ELi1ELb0EEvPKcS1_S1_S1_S1_PKiPfP15HIP_vector_typeIfLj2EEffffjfiS5_IjLj3EEiiiiiiiiiiiliiliiiiil,"axG",@progbits,_ZL15flash_attn_tileILi96ELi96ELi32ELi1ELb0EEvPKcS1_S1_S1_S1_PKiPfP15HIP_vector_typeIfLj2EEffffjfiS5_IjLj3EEiiiiiiiiiiiliiliiiiil,comdat
	.globl	_ZL15flash_attn_tileILi96ELi96ELi32ELi1ELb0EEvPKcS1_S1_S1_S1_PKiPfP15HIP_vector_typeIfLj2EEffffjfiS5_IjLj3EEiiiiiiiiiiiliiliiiiil ; -- Begin function _ZL15flash_attn_tileILi96ELi96ELi32ELi1ELb0EEvPKcS1_S1_S1_S1_PKiPfP15HIP_vector_typeIfLj2EEffffjfiS5_IjLj3EEiiiiiiiiiiiliiliiiiil
	.p2align	8
	.type	_ZL15flash_attn_tileILi96ELi96ELi32ELi1ELb0EEvPKcS1_S1_S1_S1_PKiPfP15HIP_vector_typeIfLj2EEffffjfiS5_IjLj3EEiiiiiiiiiiiliiliiiiil,@function
_ZL15flash_attn_tileILi96ELi96ELi32ELi1ELb0EEvPKcS1_S1_S1_S1_PKiPfP15HIP_vector_typeIfLj2EEffffjfiS5_IjLj3EEiiiiiiiiiiiliiliiiiil: ; @_ZL15flash_attn_tileILi96ELi96ELi32ELi1ELb0EEvPKcS1_S1_S1_S1_PKiPfP15HIP_vector_typeIfLj2EEffffjfiS5_IjLj3EEiiiiiiiiiiiliiliiiiil
; %bb.0:
	s_clause 0x1
	s_load_b128 s[24:27], s[0:1], 0x5c
	s_load_b64 s[38:39], s[0:1], 0x80
	s_bfe_u32 s4, ttmp6, 0x40014
	s_lshr_b32 s3, ttmp7, 16
	s_add_co_i32 s4, s4, 1
	s_bfe_u32 s5, ttmp6, 0x40008
	s_mul_i32 s4, s3, s4
	s_getreg_b32 s42, hwreg(HW_REG_IB_STS2, 6, 4)
	s_add_co_i32 s5, s5, s4
	s_load_b512 s[8:23], s[0:1], 0x0
	s_mov_b32 s41, 0
	s_mov_b64 s[36:37], 0
	s_wait_kmcnt 0x0
	s_cvt_f32_u32 s2, s27
	s_sub_co_i32 s6, 0, s27
	s_delay_alu instid0(SALU_CYCLE_2) | instskip(SKIP_1) | instid1(TRANS32_DEP_1)
	v_rcp_iflag_f32_e32 v1, s2
	v_nop
	v_readfirstlane_b32 s2, v1
	s_mul_f32 s2, s2, 0x4f7ffffe
	s_delay_alu instid0(SALU_CYCLE_3) | instskip(NEXT) | instid1(SALU_CYCLE_3)
	s_cvt_u32_f32 s2, s2
	s_mul_i32 s6, s6, s2
	s_delay_alu instid0(SALU_CYCLE_1) | instskip(NEXT) | instid1(SALU_CYCLE_1)
	s_mul_hi_u32 s6, s2, s6
	s_add_co_i32 s2, s2, s6
	s_cmp_eq_u32 s42, 0
	s_cselect_b32 s28, s3, s5
	s_delay_alu instid0(SALU_CYCLE_1) | instskip(NEXT) | instid1(SALU_CYCLE_1)
	s_mul_hi_u32 s2, s28, s2
	s_mul_i32 s3, s2, s27
	s_add_co_i32 s4, s2, 1
	s_sub_co_i32 s3, s28, s3
	s_delay_alu instid0(SALU_CYCLE_1)
	s_sub_co_i32 s5, s3, s27
	s_cmp_ge_u32 s3, s27
	s_cselect_b32 s2, s4, s2
	s_cselect_b32 s3, s5, s3
	s_add_co_i32 s4, s2, 1
	s_cmp_ge_u32 s3, s27
	s_cselect_b32 s34, s4, s2
	s_abs_i32 s2, s39
	s_abs_i32 s5, s27
	s_cvt_f32_u32 s3, s2
	s_sub_co_i32 s4, 0, s2
	s_mul_i32 s30, s34, s27
	s_delay_alu instid0(SALU_CYCLE_1) | instskip(SKIP_1) | instid1(TRANS32_DEP_1)
	v_rcp_iflag_f32_e32 v1, s3
	v_nop
	v_readfirstlane_b32 s3, v1
	s_mul_f32 s3, s3, 0x4f7ffffe
	s_delay_alu instid0(SALU_CYCLE_3) | instskip(NEXT) | instid1(SALU_CYCLE_3)
	s_cvt_u32_f32 s3, s3
	s_mul_i32 s4, s4, s3
	s_delay_alu instid0(SALU_CYCLE_1) | instskip(NEXT) | instid1(SALU_CYCLE_1)
	s_mul_hi_u32 s4, s3, s4
	s_add_co_i32 s3, s3, s4
	s_xor_b32 s4, s27, s39
	s_mul_hi_u32 s3, s5, s3
	s_ashr_i32 s4, s4, 31
	s_mul_i32 s6, s3, s2
	s_delay_alu instid0(SALU_CYCLE_1)
	s_sub_co_i32 s5, s5, s6
	s_add_co_i32 s6, s3, 1
	s_sub_co_i32 s7, s5, s2
	s_cmp_ge_u32 s5, s2
	s_cselect_b32 s3, s6, s3
	s_cselect_b32 s5, s7, s5
	s_add_co_i32 s6, s3, 1
	s_cmp_ge_u32 s5, s2
	s_cselect_b32 s2, s6, s3
	s_delay_alu instid0(SALU_CYCLE_1) | instskip(NEXT) | instid1(SALU_CYCLE_1)
	s_xor_b32 s2, s2, s4
	s_sub_co_i32 s35, s2, s4
	s_load_b64 s[2:3], s[0:1], 0xb8
	s_abs_i32 s43, s35
	s_cmp_eq_u64 s[14:15], 0
	s_cvt_f32_u32 s4, s43
	s_delay_alu instid0(SALU_CYCLE_3) | instskip(SKIP_1) | instid1(TRANS32_DEP_1)
	v_rcp_iflag_f32_e32 v1, s4
	v_nop
	v_readfirstlane_b32 s4, v1
	s_mul_f32 s29, s4, 0x4f7ffffe
	s_cbranch_scc1 .LBB56_2
; %bb.1:
	s_wait_kmcnt 0x0
	s_abs_i32 s2, s2
	s_abs_i32 s6, s34
	s_cvt_f32_u32 s4, s2
	s_sub_co_i32 s5, 0, s2
	s_delay_alu instid0(SALU_CYCLE_2) | instskip(SKIP_1) | instid1(TRANS32_DEP_1)
	v_rcp_iflag_f32_e32 v1, s4
	v_nop
	v_readfirstlane_b32 s4, v1
	s_mul_f32 s4, s4, 0x4f7ffffe
	s_delay_alu instid0(SALU_CYCLE_3) | instskip(NEXT) | instid1(SALU_CYCLE_3)
	s_cvt_u32_f32 s4, s4
	s_mul_i32 s5, s5, s4
	s_delay_alu instid0(SALU_CYCLE_1) | instskip(NEXT) | instid1(SALU_CYCLE_1)
	s_mul_hi_u32 s5, s4, s5
	s_add_co_i32 s4, s4, s5
	s_delay_alu instid0(SALU_CYCLE_1) | instskip(SKIP_2) | instid1(SALU_CYCLE_1)
	s_mul_hi_u32 s7, s6, s4
	s_load_b64 s[4:5], s[0:1], 0xc8
	s_mul_i32 s7, s7, s2
	s_sub_co_i32 s6, s6, s7
	s_ashr_i32 s7, s34, 31
	s_sub_co_i32 s31, s6, s2
	s_cmp_ge_u32 s6, s2
	s_cselect_b32 s6, s31, s6
	s_delay_alu instid0(SALU_CYCLE_1) | instskip(SKIP_2) | instid1(SALU_CYCLE_1)
	s_sub_co_i32 s31, s6, s2
	s_cmp_ge_u32 s6, s2
	s_cselect_b32 s2, s31, s6
	s_xor_b32 s2, s2, s7
	s_delay_alu instid0(SALU_CYCLE_1) | instskip(NEXT) | instid1(SALU_CYCLE_1)
	s_sub_co_i32 s6, s2, s7
	s_ashr_i32 s7, s6, 31
	s_wait_kmcnt 0x0
	s_mul_u64 s[4:5], s[4:5], s[6:7]
	s_delay_alu instid0(SALU_CYCLE_1)
	s_add_nc_u64 s[36:37], s[14:15], s[4:5]
.LBB56_2:
	s_clause 0x1
	s_load_b128 s[4:7], s[0:1], 0x40
	s_load_b32 s14, s[0:1], 0x50
	s_wait_kmcnt 0x0
	s_sub_co_i32 s2, 0, s43
	s_sub_co_i32 s33, s28, s30
	v_mov_b32_e32 v113, 1.0
	s_cmp_le_f32 s5, 0
	s_cvt_u32_f32 s5, s29
	s_cbranch_scc1 .LBB56_4
; %bb.3:
	v_sub_co_u32 v1, s14, s33, s14
	s_and_b32 s28, s14, exec_lo
	s_cselect_b32 s6, s6, s7
	v_readfirstlane_b32 s15, v1
	s_lshl_b32 s7, s15, 1
	s_add_co_i32 s15, s33, 1
	s_or_b32 s7, s7, 1
	s_and_b32 s14, s14, exec_lo
	s_cselect_b32 s7, s15, s7
	s_cmp_neq_f32 s6, 1.0
	s_cvt_f32_i32 s7, s7
	s_delay_alu instid0(SALU_CYCLE_3) | instskip(NEXT) | instid1(SALU_CYCLE_1)
	s_cselect_b32 s7, s7, 1.0
	s_cmp_neq_f32 s7, 0
	s_cselect_b32 s6, s6, 1.0
	s_delay_alu instid0(SALU_CYCLE_1) | instskip(NEXT) | instid1(VALU_DEP_1)
	v_cvt_f64_f32_e64 v[2:3], |s6|
	v_frexp_exp_i32_f64_e32 v1, v[2:3]
	v_frexp_mant_f32_e64 v2, |s6|
	s_delay_alu instid0(VALU_DEP_1) | instskip(SKIP_2) | instid1(SALU_CYCLE_1)
	v_readfirstlane_b32 s14, v2
	s_cmp_lt_f32 s14, 0x3f2aaaab
	s_cselect_b32 vcc_lo, -1, 0
	s_and_b32 s15, vcc_lo, exec_lo
	s_cselect_b32 s15, 2.0, 1.0
	s_delay_alu instid0(SALU_CYCLE_1) | instskip(NEXT) | instid1(SALU_CYCLE_3)
	s_mul_f32 s14, s14, s15
	s_add_f32 s15, s14, 1.0
	s_add_f32 s29, s14, -1.0
	s_delay_alu instid0(SALU_CYCLE_2) | instskip(SKIP_2) | instid1(SALU_CYCLE_2)
	v_s_rcp_f32 s28, s15
	s_add_f32 s39, s15, -1.0
	v_subrev_co_ci_u32_e64 v1, null, 0, v1, vcc_lo
	s_sub_f32 s14, s14, s39
	s_delay_alu instid0(TRANS32_DEP_1) | instskip(SKIP_1) | instid1(SALU_CYCLE_2)
	s_mul_f32 s30, s29, s28
	v_cvt_f32_i32_e32 v1, v1
	s_mul_f32 s31, s15, s30
	s_delay_alu instid0(SALU_CYCLE_3) | instskip(SKIP_1) | instid1(SALU_CYCLE_1)
	v_dual_mov_b32 v3, s29 :: v_dual_mov_b32 v4, s31
	s_xor_b32 s40, s31, 0x80000000
	s_fmac_f32 s40, s30, s15
	s_delay_alu instid0(SALU_CYCLE_3) | instskip(NEXT) | instid1(SALU_CYCLE_3)
	s_fmac_f32 s40, s30, s14
	s_add_f32 s14, s31, s40
	v_mov_b32_e32 v6, s40
	s_mov_b32 s31, 0x3e76c4e1
	s_delay_alu instid0(SALU_CYCLE_1) | instskip(SKIP_1) | instid1(SALU_CYCLE_2)
	s_sub_f32 s15, s29, s14
	v_dual_mov_b32 v2, s14 :: v_dual_mov_b32 v7, s14
	v_mov_b32_e32 v5, s15
	s_delay_alu instid0(VALU_DEP_1) | instskip(NEXT) | instid1(VALU_DEP_1)
	v_pk_add_f32 v[2:3], v[2:3], v[4:5] neg_lo:[0,1] neg_hi:[0,1]
	v_pk_add_f32 v[2:3], v[2:3], v[6:7] neg_lo:[0,1] neg_hi:[0,1]
	s_delay_alu instid0(VALU_DEP_1) | instskip(NEXT) | instid1(VALU_DEP_2)
	v_readfirstlane_b32 s14, v3
	v_readfirstlane_b32 s29, v2
	s_add_f32 s14, s29, s14
	s_delay_alu instid0(SALU_CYCLE_3) | instskip(NEXT) | instid1(SALU_CYCLE_3)
	s_add_f32 s14, s15, s14
	s_mul_f32 s15, s28, s14
	s_delay_alu instid0(SALU_CYCLE_3) | instskip(NEXT) | instid1(SALU_CYCLE_3)
	s_add_f32 s14, s30, s15
	s_sub_f32 s28, s14, s30
	s_mul_f32 s29, s14, s14
	s_delay_alu instid0(SALU_CYCLE_2) | instskip(NEXT) | instid1(SALU_CYCLE_2)
	s_sub_f32 s30, s15, s28
	s_xor_b32 s15, s29, 0x80000000
	s_delay_alu instid0(SALU_CYCLE_1) | instskip(NEXT) | instid1(SALU_CYCLE_1)
	s_fmac_f32 s15, s14, s14
	s_add_f32 s28, s30, s30
	s_delay_alu instid0(SALU_CYCLE_3) | instskip(NEXT) | instid1(SALU_CYCLE_3)
	s_fmac_f32 s15, s14, s28
	s_add_f32 s28, s29, s15
	s_delay_alu instid0(SALU_CYCLE_3) | instskip(SKIP_1) | instid1(SALU_CYCLE_2)
	s_fmaak_f32 s31, s28, s31, 0x3e91f4c4
	s_sub_f32 s29, s28, s29
	s_fmaak_f32 s31, s28, s31, 0x3ecccdef
	s_delay_alu instid0(SALU_CYCLE_2) | instskip(NEXT) | instid1(SALU_CYCLE_2)
	s_sub_f32 s44, s15, s29
	s_mul_f32 s39, s28, s31
	s_delay_alu instid0(SALU_CYCLE_3) | instskip(NEXT) | instid1(SALU_CYCLE_1)
	s_xor_b32 s40, s39, 0x80000000
	s_fmac_f32 s40, s28, s31
	s_delay_alu instid0(SALU_CYCLE_3) | instskip(NEXT) | instid1(SALU_CYCLE_3)
	s_fmac_f32 s40, s44, s31
	s_add_f32 s29, s39, s40
	s_delay_alu instid0(SALU_CYCLE_3) | instskip(SKIP_1) | instid1(SALU_CYCLE_2)
	s_sub_f32 s15, s29, s39
	s_add_f32 s31, s29, 0x3f2aaaaa
	s_sub_f32 s15, s40, s15
	s_delay_alu instid0(SALU_CYCLE_2) | instskip(NEXT) | instid1(SALU_CYCLE_2)
	s_add_f32 s39, s31, 0xbf2aaaaa
	s_add_f32 s15, s15, 0x31739010
	s_delay_alu instid0(SALU_CYCLE_2) | instskip(NEXT) | instid1(SALU_CYCLE_2)
	s_sub_f32 s29, s29, s39
	v_mov_b64_e32 v[2:3], s[14:15]
	s_delay_alu instid0(SALU_CYCLE_2) | instskip(NEXT) | instid1(VALU_DEP_1)
	v_mov_b64_e32 v[4:5], s[28:29]
	v_pk_mul_f32 v[6:7], v[2:3], v[4:5]
	v_pk_add_f32 v[2:3], v[2:3], v[4:5]
	v_mov_b32_e32 v9, s31
	s_delay_alu instid0(VALU_DEP_3) | instskip(NEXT) | instid1(VALU_DEP_3)
	v_xor_b32_e32 v8, 0x80000000, v6
	v_mov_b32_e32 v7, v3
	s_delay_alu instid0(VALU_DEP_2) | instskip(NEXT) | instid1(VALU_DEP_1)
	v_fmac_f32_e64 v8, s28, s14
	v_fmac_f32_e64 v8, s28, s30
	s_delay_alu instid0(VALU_DEP_1) | instskip(NEXT) | instid1(VALU_DEP_1)
	v_fmac_f32_e64 v8, s44, s14
	v_pk_add_f32 v[4:5], v[6:7], v[8:9]
	s_delay_alu instid0(VALU_DEP_1) | instskip(SKIP_1) | instid1(VALU_DEP_2)
	v_dual_mov_b32 v2, v5 :: v_dual_sub_f32 v7, s31, v5
	v_mul_f32_e32 v12, 0x3f317218, v1
	v_pk_mul_f32 v[10:11], v[4:5], v[2:3]
	s_delay_alu instid0(VALU_DEP_3) | instskip(NEXT) | instid1(VALU_DEP_3)
	v_add_f32_e32 v3, v3, v7
	v_xor_b32_e32 v7, 0x80000000, v12
	s_delay_alu instid0(VALU_DEP_3) | instskip(NEXT) | instid1(VALU_DEP_2)
	v_xor_b32_e32 v2, 0x80000000, v10
	v_dual_sub_f32 v6, v4, v6 :: v_dual_fmac_f32 v7, 0x3f317218, v1
	s_delay_alu instid0(VALU_DEP_2) | instskip(NEXT) | instid1(VALU_DEP_2)
	v_fmac_f32_e32 v2, v4, v5
	v_sub_f32_e32 v6, v8, v6
	s_delay_alu instid0(VALU_DEP_2) | instskip(NEXT) | instid1(VALU_DEP_1)
	v_fmac_f32_e32 v2, v4, v3
	v_fmac_f32_e32 v2, v6, v5
	v_fmamk_f32 v4, v1, 0xb102e308, v7
	v_ldexp_f32 v5, s14, 1
	v_ldexp_f32 v1, s30, 1
	s_delay_alu instid0(VALU_DEP_2) | instskip(NEXT) | instid1(VALU_DEP_1)
	v_dual_add_f32 v13, v10, v2 :: v_dual_mov_b32 v11, v5
	v_pk_add_f32 v[6:7], v[12:13], v[4:5]
	v_dual_mov_b32 v8, v13 :: v_dual_mov_b32 v3, v13
	s_delay_alu instid0(VALU_DEP_2) | instskip(SKIP_1) | instid1(VALU_DEP_2)
	v_dual_mov_b32 v9, v7 :: v_dual_mov_b32 v5, v6
	v_mov_b32_e32 v14, v7
	v_pk_add_f32 v[8:9], v[8:9], v[10:11] neg_lo:[0,1] neg_hi:[0,1]
	s_delay_alu instid0(VALU_DEP_1) | instskip(NEXT) | instid1(VALU_DEP_1)
	v_pk_add_f32 v[2:3], v[2:3], v[8:9] neg_lo:[0,1] neg_hi:[0,1]
	v_add_f32_e32 v1, v1, v2
	s_delay_alu instid0(VALU_DEP_1) | instskip(NEXT) | instid1(VALU_DEP_1)
	v_add_f32_e32 v13, v1, v3
	v_pk_add_f32 v[2:3], v[6:7], v[12:13]
	v_pk_add_f32 v[8:9], v[6:7], v[12:13] neg_lo:[0,1] neg_hi:[0,1]
	s_delay_alu instid0(VALU_DEP_2) | instskip(NEXT) | instid1(VALU_DEP_1)
	v_mov_b32_e32 v9, v3
	v_pk_add_f32 v[10:11], v[4:5], v[8:9]
	v_pk_add_f32 v[4:5], v[4:5], v[8:9] neg_lo:[0,1] neg_hi:[0,1]
	v_dual_mov_b32 v16, v3 :: v_dual_mov_b32 v5, v6
	s_delay_alu instid0(VALU_DEP_3) | instskip(NEXT) | instid1(VALU_DEP_3)
	v_dual_mov_b32 v12, v11 :: v_dual_mov_b32 v17, v11
	v_readfirstlane_b32 s14, v4
	s_delay_alu instid0(VALU_DEP_2) | instskip(NEXT) | instid1(VALU_DEP_2)
	v_pk_add_f32 v[8:9], v[12:13], v[6:7] neg_lo:[0,1] neg_hi:[0,1]
	v_dual_mov_b32 v4, v13 :: v_dual_mov_b32 v10, s14
	s_delay_alu instid0(VALU_DEP_2) | instskip(NEXT) | instid1(VALU_DEP_1)
	v_dual_mov_b32 v15, v8 :: v_dual_mov_b32 v1, v8
	v_pk_add_f32 v[6:7], v[16:17], v[14:15] neg_lo:[0,1] neg_hi:[0,1]
	s_delay_alu instid0(VALU_DEP_2) | instskip(SKIP_1) | instid1(VALU_DEP_3)
	v_pk_add_f32 v[2:3], v[2:3], v[0:1] neg_lo:[0,1] neg_hi:[0,1]
	v_mov_b32_e32 v2, s14
	v_pk_add_f32 v[4:5], v[4:5], v[6:7] neg_lo:[0,1] neg_hi:[0,1]
	s_delay_alu instid0(VALU_DEP_1) | instskip(NEXT) | instid1(VALU_DEP_1)
	v_pk_add_f32 v[2:3], v[2:3], v[4:5]
	v_readfirstlane_b32 s15, v2
	s_delay_alu instid0(VALU_DEP_2) | instskip(NEXT) | instid1(VALU_DEP_1)
	v_mov_b32_e32 v6, v3
	v_pk_add_f32 v[6:7], v[2:3], v[6:7]
	s_delay_alu instid0(VALU_DEP_3) | instskip(NEXT) | instid1(VALU_DEP_2)
	v_mov_b32_e32 v2, s15
	v_pk_add_f32 v[8:9], v[12:13], v[6:7]
	v_mov_b32_e32 v5, v6
	s_delay_alu instid0(VALU_DEP_2) | instskip(NEXT) | instid1(VALU_DEP_1)
	v_readfirstlane_b32 s28, v8
	v_mov_b32_e32 v3, s28
	s_delay_alu instid0(VALU_DEP_1) | instskip(NEXT) | instid1(VALU_DEP_1)
	v_pk_add_f32 v[2:3], v[2:3], v[10:11] neg_lo:[0,1] neg_hi:[0,1]
	v_readfirstlane_b32 s29, v2
	s_delay_alu instid0(VALU_DEP_2) | instskip(SKIP_1) | instid1(VALU_DEP_1)
	v_pk_add_f32 v[2:3], v[4:5], v[2:3] neg_lo:[0,1] neg_hi:[0,1]
	s_sub_f32 s15, s15, s29
	v_readfirstlane_b32 s29, v2
	s_delay_alu instid0(SALU_CYCLE_2) | instskip(SKIP_1) | instid1(SALU_CYCLE_2)
	s_sub_f32 s14, s14, s15
	v_readfirstlane_b32 s15, v3
	s_add_f32 s14, s29, s14
	s_delay_alu instid0(SALU_CYCLE_3) | instskip(NEXT) | instid1(SALU_CYCLE_3)
	s_add_f32 s14, s14, s15
	s_add_f32 s15, s28, s14
	s_delay_alu instid0(SALU_CYCLE_3) | instskip(SKIP_1) | instid1(SALU_CYCLE_2)
	s_mul_f32 s29, s7, s15
	s_sub_f32 s28, s15, s28
	s_xor_b32 s30, s29, 0x80000000
	s_delay_alu instid0(SALU_CYCLE_2) | instskip(SKIP_1) | instid1(SALU_CYCLE_3)
	s_sub_f32 s14, s14, s28
	s_fmac_f32 s30, s7, s15
	s_fmac_f32 s30, s7, s14
	v_cmp_class_f32_e64 s14, s29, 0x204
	s_delay_alu instid0(SALU_CYCLE_2) | instskip(SKIP_1) | instid1(SALU_CYCLE_2)
	s_add_f32 s15, s29, s30
	s_and_b32 s14, s14, exec_lo
	s_sub_f32 s14, s15, s29
	s_cselect_b32 s15, s29, s15
	s_delay_alu instid0(SALU_CYCLE_1) | instskip(NEXT) | instid1(SALU_CYCLE_1)
	s_and_b32 s28, s15, 0x7fffffff
	s_sub_f32 s14, s30, s14
	s_cmp_neq_f32 s28, 0x7f800000
	s_delay_alu instid0(SALU_CYCLE_2) | instskip(SKIP_2) | instid1(SALU_CYCLE_1)
	s_cselect_b32 s14, s14, 0
	s_cmp_eq_f32 s15, 0x42b17218
	s_cselect_b32 s28, 0x37000000, 0
	s_sub_f32 s15, s15, s28
	s_add_f32 s14, s28, s14
	s_delay_alu instid0(SALU_CYCLE_2) | instskip(NEXT) | instid1(SALU_CYCLE_3)
	s_mul_f32 s29, s15, 0x3fb8aa3b
	s_xor_b32 s30, s29, 0x80000000
	s_rndne_f32 s31, s29
	s_fmamk_f32 s30, s15, 0x3fb8aa3b, s30
	s_cmp_nlt_f32 s15, 0xc2ce8ed0
	s_delay_alu instid0(SALU_CYCLE_1) | instskip(NEXT) | instid1(SALU_CYCLE_1)
	s_sub_f32 s29, s29, s31
	s_fmamk_f32 s30, s15, 0x32a5705f, s30
	s_cselect_b32 vcc_lo, -1, 0
	s_cmp_ngt_f32 s15, 0x42b17218
	s_trunc_f32 s15, s7
	s_add_f32 s29, s29, s30
	s_cvt_i32_f32 s30, s31
	s_delay_alu instid0(SALU_CYCLE_2)
	v_s_exp_f32 s29, s29
	v_nop
	s_delay_alu instid0(TRANS32_DEP_1) | instid1(SALU_CYCLE_1)
	v_ldexp_f32 v1, s29, s30
	s_mul_f32 s29, s7, 0.5
	s_delay_alu instid0(VALU_DEP_1) | instskip(SKIP_3) | instid1(VALU_DEP_1)
	v_cndmask_b32_e32 v1, 0, v1, vcc_lo
	s_cselect_b32 vcc_lo, -1, 0
	s_cmp_eq_f32 s15, s7
	s_trunc_f32 s30, s29
	v_cndmask_b32_e32 v1, 0x7f800000, v1, vcc_lo
	s_cselect_b32 s31, -1, 0
	s_delay_alu instid0(SALU_CYCLE_1) | instskip(NEXT) | instid1(VALU_DEP_1)
	s_cmp_neq_f32 s30, s29
	v_fma_f32 v2, s14, v1, v1
	v_cmp_class_f32_e64 vcc_lo, v1, 0x204
	s_cselect_b32 s28, -1, 0
	s_delay_alu instid0(SALU_CYCLE_1)
	s_and_b32 s14, s31, s28
	v_cndmask_b32_e32 v1, v2, v1, vcc_lo
	s_and_b32 s28, s14, exec_lo
	s_cselect_b32 s28, s6, 1.0
	s_cmp_eq_f32 s15, s7
	v_cmp_class_f32_e64 s15, s6, 0x204
	v_bfi_b32 v1, 0x7fffffff, v1, s28
	s_cselect_b32 vcc_lo, -1, 0
	s_cmp_lt_f32 s6, 0
	s_delay_alu instid0(VALU_DEP_1) | instskip(SKIP_2) | instid1(VALU_DEP_1)
	v_cndmask_b32_e32 v2, 0x7fc00000, v1, vcc_lo
	s_cselect_b32 vcc_lo, -1, 0
	s_cmp_eq_f32 s6, 0
	v_cndmask_b32_e32 v1, v1, v2, vcc_lo
	s_cselect_b32 s28, -1, 0
	s_delay_alu instid0(SALU_CYCLE_1) | instskip(SKIP_2) | instid1(SALU_CYCLE_1)
	s_or_b32 vcc_lo, s28, s15
	s_cmp_lt_f32 s7, 0
	s_cselect_b32 s7, -1, 0
	s_xor_b32 s7, s7, s28
	s_delay_alu instid0(SALU_CYCLE_1)
	s_and_b32 s7, s7, exec_lo
	s_cselect_b32 s7, 0, 0x7f800000
	s_and_b32 s14, s14, exec_lo
	s_cselect_b32 s14, s6, 0
	s_cmp_o_f32 s6, s6
	v_mov_b32_e32 v2, s14
	s_delay_alu instid0(VALU_DEP_1) | instskip(NEXT) | instid1(VALU_DEP_1)
	v_bfi_b32 v2, 0x7fffffff, s7, v2
	v_cndmask_b32_e32 v1, v1, v2, vcc_lo
	s_cselect_b32 vcc_lo, -1, 0
	s_delay_alu instid0(VALU_DEP_1)
	v_cndmask_b32_e32 v113, 0x7fc00000, v1, vcc_lo
.LBB56_4:
	s_load_b96 s[28:30], s[0:1], 0x70
	s_bfe_u32 s6, ttmp6, 0x4000c
	s_mul_i32 s15, s2, s5
	s_add_co_i32 s6, s6, 1
	s_and_b32 s2, ttmp6, 15
	s_mul_i32 s6, ttmp9, s6
	v_and_b32_e32 v79, 0x3ff, v0
	s_add_co_i32 s2, s2, s6
	v_bfe_u32 v117, v0, 10, 10
	s_cmp_eq_u32 s42, 0
	s_delay_alu instid0(VALU_DEP_2) | instskip(SKIP_1) | instid1(VALU_DEP_2)
	v_dual_mov_b32 v75, 0 :: v_dual_lshlrev_b32 v74, 4, v79
	s_cselect_b32 s14, ttmp9, s2
	v_dual_lshlrev_b32 v101, 2, v117 :: v_dual_lshlrev_b32 v102, 3, v79
	s_lshl_b32 s39, s14, 5
	v_cmp_gt_u32_e64 s2, 24, v79
	s_mov_b32 s31, 0
	s_wait_kmcnt 0x0
	s_mul_i32 s6, s34, s30
	s_mul_i32 s44, s33, s29
	s_ashr_i32 s7, s6, 31
	s_ashr_i32 s45, s44, 31
	s_add_nc_u64 s[6:7], s[8:9], s[6:7]
	s_ashr_i32 s29, s28, 31
	s_add_nc_u64 s[6:7], s[6:7], s[44:45]
	s_mov_b32 s30, s24
	v_add_nc_u64_e32 v[0:1], s[6:7], v[74:75]
	v_add_nc_u32_e32 v74, s39, v101
	s_lshr_b64 s[6:7], s[28:29], 2
	s_and_saveexec_b32 s8, s2
	s_cbranch_execz .LBB56_6
; %bb.5:
	s_delay_alu instid0(VALU_DEP_1) | instskip(NEXT) | instid1(VALU_DEP_1)
	v_mul_u64_e32 v[2:3], s[30:31], v[74:75]
	v_dual_mov_b32 v3, v75 :: v_dual_add_nc_u32 v2, v74, v3
	s_delay_alu instid0(VALU_DEP_1) | instskip(NEXT) | instid1(VALU_DEP_1)
	v_lshrrev_b32_e32 v2, s25, v2
	v_mul_lo_u32 v2, v2, s26
	s_delay_alu instid0(VALU_DEP_1) | instskip(NEXT) | instid1(VALU_DEP_1)
	v_sub_nc_u32_e32 v2, v74, v2
	v_mul_u64_e32 v[2:3], s[6:7], v[2:3]
	s_delay_alu instid0(VALU_DEP_1) | instskip(SKIP_4) | instid1(VALU_DEP_1)
	v_lshl_add_u64 v[2:3], v[2:3], 2, v[0:1]
	global_load_b128 v[2:5], v[2:3], off
	s_wait_loadcnt 0x0
	v_fma_mixlo_f16 v6, s4, v2, 0
	v_mov_b32_e32 v2, v5
	v_pk_mul_f32 v[2:3], s[4:5], v[2:3] op_sel_hi:[0,1]
	s_delay_alu instid0(VALU_DEP_1) | instskip(SKIP_2) | instid1(VALU_DEP_3)
	v_cvt_pk_f16_f32 v2, v2, v3
	v_fma_mixlo_f16 v3, s4, v4, 0
	v_and_b32_e32 v4, 0xffff, v6
	v_and_b32_e32 v5, 0xffff0000, v2
	s_delay_alu instid0(VALU_DEP_3) | instskip(NEXT) | instid1(VALU_DEP_2)
	v_and_b32_e32 v3, 0xffff, v3
	v_dual_lshlrev_b32 v2, 16, v2 :: v_dual_bitop2_b32 v4, v5, v4 bitop3:0x54
	v_mad_u32_u24 v5, 0x300, v117, v102
	s_delay_alu instid0(VALU_DEP_2) | instskip(NEXT) | instid1(VALU_DEP_3)
	v_or3_b32 v3, v2, v3, 0
	v_or3_b32 v2, 0, 0, v4
	ds_store_b64 v5, v[2:3]
.LBB56_6:
	s_or_b32 exec_lo, exec_lo, s8
	v_or_b32_e32 v81, 1, v101
	s_mul_hi_u32 s8, s5, s15
	s_delay_alu instid0(VALU_DEP_1)
	v_add_nc_u32_e32 v72, s39, v81
	s_and_saveexec_b32 s9, s2
	s_cbranch_execz .LBB56_8
; %bb.7:
	v_mov_b32_e32 v73, 0
	s_delay_alu instid0(VALU_DEP_1) | instskip(NEXT) | instid1(VALU_DEP_1)
	v_mul_u64_e32 v[2:3], s[30:31], v[72:73]
	v_dual_mov_b32 v3, v73 :: v_dual_add_nc_u32 v2, v72, v3
	s_delay_alu instid0(VALU_DEP_1) | instskip(NEXT) | instid1(VALU_DEP_1)
	v_lshrrev_b32_e32 v2, s25, v2
	v_mul_lo_u32 v2, v2, s26
	s_delay_alu instid0(VALU_DEP_1) | instskip(NEXT) | instid1(VALU_DEP_1)
	v_sub_nc_u32_e32 v2, v72, v2
	v_mul_u64_e32 v[2:3], s[6:7], v[2:3]
	s_delay_alu instid0(VALU_DEP_1) | instskip(SKIP_4) | instid1(VALU_DEP_1)
	v_lshl_add_u64 v[2:3], v[2:3], 2, v[0:1]
	global_load_b128 v[2:5], v[2:3], off
	s_wait_loadcnt 0x0
	v_fma_mixlo_f16 v6, s4, v2, 0
	v_mov_b32_e32 v2, v5
	v_pk_mul_f32 v[2:3], s[4:5], v[2:3] op_sel_hi:[0,1]
	s_delay_alu instid0(VALU_DEP_1) | instskip(SKIP_2) | instid1(VALU_DEP_3)
	v_cvt_pk_f16_f32 v2, v2, v3
	v_fma_mixlo_f16 v3, s4, v4, 0
	v_and_b32_e32 v4, 0xffff, v6
	v_and_b32_e32 v5, 0xffff0000, v2
	s_delay_alu instid0(VALU_DEP_3) | instskip(NEXT) | instid1(VALU_DEP_2)
	v_and_b32_e32 v3, 0xffff, v3
	v_dual_lshlrev_b32 v2, 16, v2 :: v_dual_bitop2_b32 v4, v5, v4 bitop3:0x54
	v_mad_u32_u24 v5, 0xc0, v81, v102
	s_delay_alu instid0(VALU_DEP_2) | instskip(NEXT) | instid1(VALU_DEP_3)
	v_or3_b32 v3, v2, v3, 0
	v_or3_b32 v2, 0, 0, v4
	ds_store_b64 v5, v[2:3]
.LBB56_8:
	s_or_b32 exec_lo, exec_lo, s9
	v_or_b32_e32 v77, 2, v101
	s_abs_i32 s40, s33
	s_add_co_i32 s8, s5, s8
	s_and_saveexec_b32 s5, s2
	s_cbranch_execz .LBB56_10
; %bb.9:
	v_dual_mov_b32 v3, 0 :: v_dual_add_nc_u32 v2, s39, v77
	s_delay_alu instid0(VALU_DEP_1) | instskip(NEXT) | instid1(VALU_DEP_1)
	v_mul_u64_e32 v[4:5], s[30:31], v[2:3]
	v_add_nc_u32_e32 v4, v2, v5
	s_delay_alu instid0(VALU_DEP_1) | instskip(NEXT) | instid1(VALU_DEP_1)
	v_lshrrev_b32_e32 v4, s25, v4
	v_mul_lo_u32 v4, v4, s26
	s_delay_alu instid0(VALU_DEP_1) | instskip(NEXT) | instid1(VALU_DEP_1)
	v_sub_nc_u32_e32 v2, v2, v4
	v_mul_u64_e32 v[2:3], s[6:7], v[2:3]
	s_delay_alu instid0(VALU_DEP_1) | instskip(SKIP_4) | instid1(VALU_DEP_1)
	v_lshl_add_u64 v[2:3], v[2:3], 2, v[0:1]
	global_load_b128 v[2:5], v[2:3], off
	s_wait_loadcnt 0x0
	v_fma_mixlo_f16 v6, s4, v2, 0
	v_mov_b32_e32 v2, v5
	v_pk_mul_f32 v[2:3], s[4:5], v[2:3] op_sel_hi:[0,1]
	s_delay_alu instid0(VALU_DEP_1) | instskip(SKIP_2) | instid1(VALU_DEP_3)
	v_cvt_pk_f16_f32 v2, v2, v3
	v_fma_mixlo_f16 v3, s4, v4, 0
	v_and_b32_e32 v4, 0xffff, v6
	v_and_b32_e32 v5, 0xffff0000, v2
	s_delay_alu instid0(VALU_DEP_3) | instskip(NEXT) | instid1(VALU_DEP_2)
	v_and_b32_e32 v3, 0xffff, v3
	v_dual_lshlrev_b32 v2, 16, v2 :: v_dual_bitop2_b32 v4, v5, v4 bitop3:0x54
	v_mad_u32_u24 v5, 0xc0, v77, v102
	s_delay_alu instid0(VALU_DEP_2) | instskip(NEXT) | instid1(VALU_DEP_3)
	v_or3_b32 v3, v2, v3, 0
	v_or3_b32 v2, 0, 0, v4
	ds_store_b64 v5, v[2:3]
.LBB56_10:
	s_or_b32 exec_lo, exec_lo, s5
	v_or_b32_e32 v73, 3, v101
	s_mov_b32 s9, s41
	s_and_saveexec_b32 s5, s2
	s_cbranch_execz .LBB56_12
; %bb.11:
	s_delay_alu instid0(VALU_DEP_1) | instskip(NEXT) | instid1(VALU_DEP_1)
	v_dual_mov_b32 v3, 0 :: v_dual_add_nc_u32 v2, s39, v73
	v_mul_u64_e32 v[4:5], s[30:31], v[2:3]
	s_delay_alu instid0(VALU_DEP_1) | instskip(NEXT) | instid1(VALU_DEP_1)
	v_add_nc_u32_e32 v4, v2, v5
	v_lshrrev_b32_e32 v4, s25, v4
	s_delay_alu instid0(VALU_DEP_1) | instskip(NEXT) | instid1(VALU_DEP_1)
	v_mul_lo_u32 v4, v4, s26
	v_sub_nc_u32_e32 v2, v2, v4
	s_delay_alu instid0(VALU_DEP_1) | instskip(NEXT) | instid1(VALU_DEP_1)
	v_mul_u64_e32 v[2:3], s[6:7], v[2:3]
	v_lshl_add_u64 v[0:1], v[2:3], 2, v[0:1]
	global_load_b128 v[0:3], v[0:1], off
	s_wait_loadcnt 0x0
	v_fma_mixlo_f16 v4, s4, v0, 0
	v_mov_b32_e32 v0, v3
	s_delay_alu instid0(VALU_DEP_1) | instskip(NEXT) | instid1(VALU_DEP_1)
	v_pk_mul_f32 v[0:1], s[4:5], v[0:1] op_sel_hi:[0,1]
	v_cvt_pk_f16_f32 v0, v0, v1
	v_fma_mixlo_f16 v1, s4, v2, 0
	v_and_b32_e32 v2, 0xffff, v4
	s_delay_alu instid0(VALU_DEP_3) | instskip(NEXT) | instid1(VALU_DEP_3)
	v_and_b32_e32 v3, 0xffff0000, v0
	v_and_b32_e32 v1, 0xffff, v1
	s_delay_alu instid0(VALU_DEP_2) | instskip(SKIP_1) | instid1(VALU_DEP_2)
	v_dual_lshlrev_b32 v0, 16, v0 :: v_dual_bitop2_b32 v2, v3, v2 bitop3:0x54
	v_mad_u32_u24 v3, 0xc0, v73, v102
	v_or3_b32 v1, v0, v1, 0
	s_delay_alu instid0(VALU_DEP_3)
	v_or3_b32 v0, 0, 0, v2
	ds_store_b64 v3, v[0:1]
.LBB56_12:
	s_or_b32 exec_lo, exec_lo, s5
	s_ashr_i32 s15, s33, 31
	s_ashr_i32 s24, s35, 31
	s_mul_u64 s[8:9], s[40:41], s[8:9]
	s_cmp_eq_u64 s[18:19], 0
	s_wait_dscnt 0x0
	s_barrier_signal -1
	s_barrier_wait -1
	s_cbranch_scc1 .LBB56_14
; %bb.13:
	s_load_b32 s4, s[0:1], 0xd0
	s_wait_kmcnt 0x0
	s_mul_i32 s4, s4, s34
	s_delay_alu instid0(SALU_CYCLE_1)
	s_add_co_i32 s4, s4, s14
	s_load_b32 s38, s[18:19], s4 offset:0x0 scale_offset
.LBB56_14:
	s_wait_xcnt 0x0
	s_clause 0x2
	s_load_b64 s[18:19], s[0:1], 0x8c
	s_load_b128 s[4:7], s[0:1], 0x98
	s_load_b64 s[28:29], s[0:1], 0xa8
	s_mul_i32 s8, s9, s43
	s_ashr_i32 s48, s3, 1
	s_sub_co_i32 s8, s40, s8
	s_ashr_i32 s35, s34, 31
	s_xor_b32 s3, s15, s24
	s_add_co_i32 s15, s9, 1
	s_sub_co_i32 s24, s8, s43
	v_dual_lshlrev_b32 v100, 2, v79 :: v_dual_lshrrev_b32 v119, 1, v79
	v_lshrrev_b32_e32 v118, 2, v79
	v_mul_u32_u24_e32 v115, 0x70, v79
	v_mul_u32_u24_e32 v116, 0x300, v117
	s_delay_alu instid0(VALU_DEP_4)
	v_and_b32_e32 v80, 4, v100
	v_dual_lshrrev_b32 v114, 3, v79 :: v_dual_bitop2_b32 v78, 12, v100 bitop3:0x40
	v_lshl_add_u32 v104, v117, 8, 0x2680
	v_and_b32_e32 v76, 28, v100
	s_wait_kmcnt 0x0
	s_ashr_i32 s40, s18, 2
	s_ashr_i32 s14, s6, 2
	s_cmp_ge_u32 s8, s43
	s_mul_u64 s[4:5], s[4:5], s[34:35]
	s_cselect_b32 s6, s15, s9
	s_cselect_b32 s8, s24, s8
	s_add_co_i32 s9, s6, 1
	s_cmp_ge_u32 s8, s43
	s_add_nc_u64 s[4:5], s[10:11], s[4:5]
	s_cselect_b32 s6, s9, s6
	s_bfe_u32 s8, ttmp6, 0x40010
	s_xor_b32 s6, s6, s3
	s_and_b32 s10, ttmp7, 0xffff
	s_add_co_i32 s8, s8, 1
	s_sub_co_i32 s3, s6, s3
	s_bfe_u32 s9, ttmp6, 0x40004
	s_mul_i32 s11, s10, s8
	s_mul_i32 s6, s3, s19
	;; [unrolled: 1-line block ×3, first 2 shown]
	s_add_co_i32 s3, s9, s11
	s_ashr_i32 s7, s6, 31
	s_ashr_i32 s9, s8, 31
	s_cmp_eq_u32 s42, 0
	s_mul_u64 s[44:45], s[28:29], s[34:35]
	s_cselect_b32 s24, s10, s3
	v_mbcnt_lo_u32_b32 v103, -1, 0
	s_add_nc_u64 s[42:43], s[4:5], s[6:7]
	s_sub_co_i32 s35, s38, 32
	s_lshl_b32 s28, s24, 5
	s_add_nc_u64 s[4:5], s[12:13], s[44:45]
	s_cmp_ge_i32 s28, s35
	s_add_nc_u64 s[18:19], s[4:5], s[8:9]
	s_cbranch_scc1 .LBB56_42
; %bb.15:
	v_dual_mov_b32 v83, 0 :: v_dual_bitop2_b32 v82, 1, v74 bitop3:0x54
	v_dual_lshlrev_b32 v6, 2, v80 :: v_dual_add_nc_u32 v9, v114, v101
	v_dual_lshlrev_b32 v10, 2, v76 :: v_dual_lshlrev_b32 v84, 2, v78
	s_delay_alu instid0(VALU_DEP_3) | instskip(SKIP_1) | instid1(VALU_DEP_3)
	v_mul_u64_e32 v[0:1], s[30:31], v[82:83]
	s_ashr_i32 s41, s40, 31
	v_mul_lo_u32 v92, s14, v9
	v_cmp_gt_u32_e64 s6, 16, v9
	v_dual_mov_b32 v106, v83 :: v_dual_mov_b32 v105, v83
	v_dual_mov_b32 v109, v83 :: v_dual_mov_b32 v112, v83
	;; [unrolled: 1-line block ×3, first 2 shown]
	s_cmp_lg_u64 s[36:37], 0
	s_add_nc_u64 s[44:45], s[0:1], 0xd0
	s_cselect_b32 s49, -1, 0
	s_ashr_i32 s15, s14, 31
	v_dual_mov_b32 v75, v83 :: v_dual_lshlrev_b32 v7, 2, v78
	v_dual_mov_b32 v111, v83 :: v_dual_mov_b32 v108, v83
	v_dual_mov_b32 v107, v83 :: v_dual_add_nc_u32 v0, v82, v1
	s_delay_alu instid0(VALU_DEP_1) | instskip(NEXT) | instid1(VALU_DEP_1)
	v_lshrrev_b32_e32 v0, s25, v0
	v_mul_lo_u32 v0, v0, s26
	s_delay_alu instid0(VALU_DEP_1) | instskip(NEXT) | instid1(VALU_DEP_1)
	v_dual_sub_nc_u32 v4, v82, v0 :: v_dual_bitop2_b32 v82, 2, v74 bitop3:0x54
	v_mul_u64_e32 v[0:1], s[30:31], v[82:83]
	s_delay_alu instid0(VALU_DEP_1) | instskip(NEXT) | instid1(VALU_DEP_3)
	v_add_nc_u32_e32 v0, v82, v1
	v_mul_lo_u32 v124, v4, s48
	s_delay_alu instid0(VALU_DEP_2) | instskip(NEXT) | instid1(VALU_DEP_1)
	v_lshrrev_b32_e32 v0, s25, v0
	v_mul_lo_u32 v0, v0, s26
	s_delay_alu instid0(VALU_DEP_1) | instskip(SKIP_3) | instid1(VALU_DEP_4)
	v_dual_sub_nc_u32 v5, v82, v0 :: v_dual_bitop2_b32 v82, 3, v74 bitop3:0x54
	v_mul_u64_e32 v[0:1], s[30:31], v[74:75]
	v_mov_b32_e32 v8, 0xfeffffff
	v_lshl_add_u32 v0, v117, 4, v119
	v_mul_lo_u32 v126, v5, s48
	v_mul_u64_e32 v[2:3], s[30:31], v[82:83]
	v_lshl_add_u32 v2, v117, 3, v118
	v_mbcnt_lo_u32_b32 v75, -1, 0
	v_cmp_gt_u32_e64 s3, 32, v0
	v_mul_u32_u24_e32 v11, 0x70, v0
	v_mul_lo_u32 v86, s40, v0
	v_mul_lo_u32 v90, s14, v2
	v_mul_u32_u24_e32 v0, 0x70, v2
	v_mul_lo_u32 v88, s40, v2
	v_mul_u32_u24_e32 v12, 0xc0, v2
	v_cmp_gt_u32_e64 s4, 32, v2
	v_cmp_gt_u32_e64 s5, 16, v2
	v_add3_u32 v121, v0, v7, 0x1800
	v_mul_u32_u24_e32 v2, 0xc0, v9
	v_or_b32_e32 v9, v12, v7
	v_add3_u32 v120, v11, v6, 0x1840
	v_ashrrev_i32_e32 v87, 31, v86
	v_ashrrev_i32_e32 v91, 31, v90
	v_add3_u32 v122, v2, v10, 0x1800
	v_add_nc_u32_e32 v123, 0x1880, v9
	v_ashrrev_i32_e32 v89, 31, v88
	v_dual_mov_b32 v9, 0xfeffffff :: v_dual_mov_b32 v2, v83
	v_add_nc_u32_e32 v1, v74, v1
	s_delay_alu instid0(VALU_DEP_1) | instskip(NEXT) | instid1(VALU_DEP_1)
	v_dual_add_nc_u32 v3, v82, v3 :: v_dual_lshrrev_b32 v1, s25, v1
	v_dual_mov_b32 v110, v83 :: v_dual_lshrrev_b32 v3, s25, v3
	s_delay_alu instid0(VALU_DEP_2) | instskip(NEXT) | instid1(VALU_DEP_2)
	v_mul_lo_u32 v1, v1, s26
	v_mul_lo_u32 v3, v3, s26
	s_delay_alu instid0(VALU_DEP_2) | instskip(NEXT) | instid1(VALU_DEP_2)
	v_dual_ashrrev_i32 v93, 31, v92 :: v_dual_sub_nc_u32 v0, v74, v1
	v_sub_nc_u32_e32 v1, v82, v3
	s_delay_alu instid0(VALU_DEP_2) | instskip(SKIP_2) | instid1(VALU_DEP_4)
	v_mul_lo_u32 v125, v0, s48
	v_dual_lshlrev_b32 v82, 2, v80 :: v_dual_mov_b32 v0, v83
	v_mov_b32_e32 v3, v83
	v_mul_lo_u32 v127, v1, s48
	v_mov_b32_e32 v1, v83
.LBB56_16:                              ; =>This Inner Loop Header: Depth=1
	s_ashr_i32 s29, s28, 31
	s_delay_alu instid0(SALU_CYCLE_1) | instskip(NEXT) | instid1(SALU_CYCLE_1)
	s_mul_u64 s[8:9], s[28:29], s[40:41]
	s_lshl_b64 s[8:9], s[8:9], 2
	s_delay_alu instid0(SALU_CYCLE_1) | instskip(NEXT) | instid1(SALU_CYCLE_1)
	s_add_nc_u64 s[8:9], s[42:43], s[8:9]
	v_lshl_add_u64 v[4:5], v[86:87], 2, s[8:9]
	s_and_saveexec_b32 s7, s3
	s_cbranch_execz .LBB56_18
; %bb.17:                               ;   in Loop: Header=BB56_16 Depth=1
	s_delay_alu instid0(VALU_DEP_1)
	v_add_nc_u64_e32 v[6:7], v[4:5], v[82:83]
	global_load_b128 v[10:13], v[6:7], off offset:64
	s_wait_loadcnt 0x0
	ds_store_b128 v120, v[10:13]
.LBB56_18:                              ;   in Loop: Header=BB56_16 Depth=1
	s_or_b32 exec_lo, exec_lo, s7
	v_lshl_add_u64 v[6:7], v[88:89], 2, s[8:9]
	s_and_saveexec_b32 s7, s4
	s_cbranch_execz .LBB56_20
; %bb.19:                               ;   in Loop: Header=BB56_16 Depth=1
	v_mov_b32_e32 v85, v83
	s_delay_alu instid0(VALU_DEP_1)
	v_add_nc_u64_e32 v[10:11], v[6:7], v[84:85]
	global_load_b128 v[10:13], v[10:11], off
	s_wait_loadcnt 0x0
	ds_store_b128 v121, v[10:13]
.LBB56_20:                              ;   in Loop: Header=BB56_16 Depth=1
	s_or_b32 exec_lo, exec_lo, s7
	s_wait_dscnt 0x0
	s_barrier_signal -1
	s_barrier_wait -1
	ds_load_b128 v[12:15], v115 offset:6144
	ds_load_b128 v[24:27], v116
	ds_load_b128 v[28:31], v116 offset:192
	ds_load_b128 v[32:35], v116 offset:384
	;; [unrolled: 1-line block ×3, first 2 shown]
	v_dual_mov_b32 v11, 0 :: v_dual_mov_b32 v16, 0
	v_dual_mov_b32 v20, 0 :: v_dual_mov_b32 v22, 0
	s_wait_dscnt 0x3
	;;#ASMSTART
	v_dot2_f32_f16 v11, v12, v24, v11
	;;#ASMEND
	;;#ASMSTART
	v_dot2_f32_f16 v11, v13, v25, v11
	;;#ASMEND
	;;#ASMSTART
	v_dot2_f32_f16 v11, v14, v26, v11
	;;#ASMEND
	;;#ASMSTART
	v_dot2_f32_f16 v11, v15, v27, v11
	;;#ASMEND
	s_wait_dscnt 0x2
	;;#ASMSTART
	v_dot2_f32_f16 v16, v12, v28, v16
	;;#ASMEND
	;;#ASMSTART
	v_dot2_f32_f16 v16, v13, v29, v16
	;;#ASMEND
	;;#ASMSTART
	v_dot2_f32_f16 v16, v14, v30, v16
	;;#ASMEND
	;;#ASMSTART
	v_dot2_f32_f16 v16, v15, v31, v16
	;;#ASMEND
	s_wait_dscnt 0x1
	;;#ASMSTART
	v_dot2_f32_f16 v20, v12, v32, v20
	;;#ASMEND
	;;#ASMSTART
	v_dot2_f32_f16 v20, v13, v33, v20
	;;#ASMEND
	;;#ASMSTART
	v_dot2_f32_f16 v20, v14, v34, v20
	;;#ASMEND
	;;#ASMSTART
	v_dot2_f32_f16 v20, v15, v35, v20
	;;#ASMEND
	s_wait_dscnt 0x0
	;;#ASMSTART
	v_dot2_f32_f16 v22, v12, v36, v22
	;;#ASMEND
	;;#ASMSTART
	v_dot2_f32_f16 v22, v13, v37, v22
	;;#ASMEND
	;;#ASMSTART
	v_dot2_f32_f16 v22, v14, v38, v22
	;;#ASMEND
	;;#ASMSTART
	v_dot2_f32_f16 v22, v15, v39, v22
	;;#ASMEND
	ds_load_b128 v[12:15], v115 offset:6160
	ds_load_b128 v[24:27], v116 offset:16
	ds_load_b128 v[28:31], v116 offset:208
	ds_load_b128 v[32:35], v116 offset:400
	ds_load_b128 v[36:39], v116 offset:592
	s_wait_dscnt 0x3
	;;#ASMSTART
	v_dot2_f32_f16 v11, v12, v24, v11
	;;#ASMEND
	;;#ASMSTART
	v_dot2_f32_f16 v11, v13, v25, v11
	;;#ASMEND
	;;#ASMSTART
	v_dot2_f32_f16 v11, v14, v26, v11
	;;#ASMEND
	;;#ASMSTART
	v_dot2_f32_f16 v11, v15, v27, v11
	;;#ASMEND
	s_wait_dscnt 0x2
	;;#ASMSTART
	v_dot2_f32_f16 v16, v12, v28, v16
	;;#ASMEND
	;;#ASMSTART
	v_dot2_f32_f16 v16, v13, v29, v16
	;;#ASMEND
	;;#ASMSTART
	v_dot2_f32_f16 v16, v14, v30, v16
	;;#ASMEND
	;;#ASMSTART
	v_dot2_f32_f16 v16, v15, v31, v16
	;;#ASMEND
	s_wait_dscnt 0x1
	;;#ASMSTART
	v_dot2_f32_f16 v20, v12, v32, v20
	;;#ASMEND
	;;#ASMSTART
	v_dot2_f32_f16 v20, v13, v33, v20
	;;#ASMEND
	;;#ASMSTART
	v_dot2_f32_f16 v20, v14, v34, v20
	;;#ASMEND
	;;#ASMSTART
	v_dot2_f32_f16 v20, v15, v35, v20
	;;#ASMEND
	s_wait_dscnt 0x0
	;;#ASMSTART
	v_dot2_f32_f16 v22, v12, v36, v22
	;;#ASMEND
	;;#ASMSTART
	v_dot2_f32_f16 v22, v13, v37, v22
	;;#ASMEND
	;;#ASMSTART
	v_dot2_f32_f16 v22, v14, v38, v22
	;;#ASMEND
	;;#ASMSTART
	v_dot2_f32_f16 v22, v15, v39, v22
	;;#ASMEND
	ds_load_b128 v[12:15], v115 offset:6176
	ds_load_b128 v[24:27], v116 offset:32
	ds_load_b128 v[28:31], v116 offset:224
	ds_load_b128 v[32:35], v116 offset:416
	ds_load_b128 v[36:39], v116 offset:608
	s_wait_dscnt 0x3
	;;#ASMSTART
	v_dot2_f32_f16 v11, v12, v24, v11
	;;#ASMEND
	;;#ASMSTART
	v_dot2_f32_f16 v11, v13, v25, v11
	;;#ASMEND
	;;#ASMSTART
	v_dot2_f32_f16 v11, v14, v26, v11
	;;#ASMEND
	;;#ASMSTART
	v_dot2_f32_f16 v11, v15, v27, v11
	;;#ASMEND
	s_wait_dscnt 0x2
	;;#ASMSTART
	v_dot2_f32_f16 v16, v12, v28, v16
	;;#ASMEND
	;;#ASMSTART
	v_dot2_f32_f16 v16, v13, v29, v16
	;;#ASMEND
	;;#ASMSTART
	v_dot2_f32_f16 v16, v14, v30, v16
	;;#ASMEND
	;;#ASMSTART
	v_dot2_f32_f16 v16, v15, v31, v16
	;;#ASMEND
	s_wait_dscnt 0x1
	;;#ASMSTART
	v_dot2_f32_f16 v20, v12, v32, v20
	;;#ASMEND
	;;#ASMSTART
	v_dot2_f32_f16 v20, v13, v33, v20
	;;#ASMEND
	;;#ASMSTART
	v_dot2_f32_f16 v20, v14, v34, v20
	;;#ASMEND
	;;#ASMSTART
	v_dot2_f32_f16 v20, v15, v35, v20
	;;#ASMEND
	s_wait_dscnt 0x0
	;;#ASMSTART
	v_dot2_f32_f16 v22, v12, v36, v22
	;;#ASMEND
	;;#ASMSTART
	v_dot2_f32_f16 v22, v13, v37, v22
	;;#ASMEND
	;;#ASMSTART
	v_dot2_f32_f16 v22, v14, v38, v22
	;;#ASMEND
	;;#ASMSTART
	v_dot2_f32_f16 v22, v15, v39, v22
	;;#ASMEND
	ds_load_b128 v[12:15], v115 offset:6192
	ds_load_b128 v[24:27], v116 offset:48
	ds_load_b128 v[28:31], v116 offset:240
	ds_load_b128 v[32:35], v116 offset:432
	ds_load_b128 v[36:39], v116 offset:624
	s_wait_dscnt 0x3
	;;#ASMSTART
	v_dot2_f32_f16 v11, v12, v24, v11
	;;#ASMEND
	;;#ASMSTART
	v_dot2_f32_f16 v11, v13, v25, v11
	;;#ASMEND
	;;#ASMSTART
	v_dot2_f32_f16 v11, v14, v26, v11
	;;#ASMEND
	;;#ASMSTART
	v_dot2_f32_f16 v11, v15, v27, v11
	;;#ASMEND
	s_wait_dscnt 0x2
	;;#ASMSTART
	v_dot2_f32_f16 v16, v12, v28, v16
	;;#ASMEND
	;;#ASMSTART
	v_dot2_f32_f16 v16, v13, v29, v16
	;;#ASMEND
	;;#ASMSTART
	v_dot2_f32_f16 v16, v14, v30, v16
	;;#ASMEND
	;;#ASMSTART
	v_dot2_f32_f16 v16, v15, v31, v16
	;;#ASMEND
	s_wait_dscnt 0x1
	;;#ASMSTART
	v_dot2_f32_f16 v20, v12, v32, v20
	;;#ASMEND
	;;#ASMSTART
	v_dot2_f32_f16 v20, v13, v33, v20
	;;#ASMEND
	;;#ASMSTART
	v_dot2_f32_f16 v20, v14, v34, v20
	;;#ASMEND
	;;#ASMSTART
	v_dot2_f32_f16 v20, v15, v35, v20
	;;#ASMEND
	s_wait_dscnt 0x0
	;;#ASMSTART
	v_dot2_f32_f16 v22, v12, v36, v22
	;;#ASMEND
	;;#ASMSTART
	v_dot2_f32_f16 v22, v13, v37, v22
	;;#ASMEND
	;;#ASMSTART
	v_dot2_f32_f16 v22, v14, v38, v22
	;;#ASMEND
	;;#ASMSTART
	v_dot2_f32_f16 v22, v15, v39, v22
	;;#ASMEND
	ds_load_b128 v[12:15], v115 offset:6208
	ds_load_b128 v[24:27], v116 offset:64
	ds_load_b128 v[28:31], v116 offset:256
	ds_load_b128 v[32:35], v116 offset:448
	ds_load_b128 v[36:39], v116 offset:640
	s_wait_dscnt 0x3
	;;#ASMSTART
	v_dot2_f32_f16 v11, v12, v24, v11
	;;#ASMEND
	;;#ASMSTART
	v_dot2_f32_f16 v11, v13, v25, v11
	;;#ASMEND
	;;#ASMSTART
	v_dot2_f32_f16 v11, v14, v26, v11
	;;#ASMEND
	;;#ASMSTART
	v_dot2_f32_f16 v11, v15, v27, v11
	;;#ASMEND
	s_wait_dscnt 0x2
	;;#ASMSTART
	v_dot2_f32_f16 v16, v12, v28, v16
	;;#ASMEND
	;;#ASMSTART
	v_dot2_f32_f16 v16, v13, v29, v16
	;;#ASMEND
	;;#ASMSTART
	v_dot2_f32_f16 v16, v14, v30, v16
	;;#ASMEND
	;;#ASMSTART
	v_dot2_f32_f16 v16, v15, v31, v16
	;;#ASMEND
	s_wait_dscnt 0x1
	;;#ASMSTART
	v_dot2_f32_f16 v20, v12, v32, v20
	;;#ASMEND
	;;#ASMSTART
	v_dot2_f32_f16 v20, v13, v33, v20
	;;#ASMEND
	;;#ASMSTART
	v_dot2_f32_f16 v20, v14, v34, v20
	;;#ASMEND
	;;#ASMSTART
	v_dot2_f32_f16 v20, v15, v35, v20
	;;#ASMEND
	s_wait_dscnt 0x0
	;;#ASMSTART
	v_dot2_f32_f16 v22, v12, v36, v22
	;;#ASMEND
	;;#ASMSTART
	v_dot2_f32_f16 v22, v13, v37, v22
	;;#ASMEND
	;;#ASMSTART
	v_dot2_f32_f16 v22, v14, v38, v22
	;;#ASMEND
	;;#ASMSTART
	v_dot2_f32_f16 v22, v15, v39, v22
	;;#ASMEND
	ds_load_b128 v[12:15], v115 offset:6224
	ds_load_b128 v[24:27], v116 offset:80
	ds_load_b128 v[28:31], v116 offset:272
	ds_load_b128 v[32:35], v116 offset:464
	ds_load_b128 v[36:39], v116 offset:656
	s_wait_dscnt 0x3
	;;#ASMSTART
	v_dot2_f32_f16 v11, v12, v24, v11
	;;#ASMEND
	;;#ASMSTART
	v_dot2_f32_f16 v11, v13, v25, v11
	;;#ASMEND
	;;#ASMSTART
	v_dot2_f32_f16 v11, v14, v26, v11
	;;#ASMEND
	;;#ASMSTART
	v_dot2_f32_f16 v11, v15, v27, v11
	;;#ASMEND
	s_wait_dscnt 0x2
	;;#ASMSTART
	v_dot2_f32_f16 v16, v12, v28, v16
	;;#ASMEND
	;;#ASMSTART
	v_dot2_f32_f16 v16, v13, v29, v16
	;;#ASMEND
	;;#ASMSTART
	v_dot2_f32_f16 v16, v14, v30, v16
	;;#ASMEND
	;;#ASMSTART
	v_dot2_f32_f16 v16, v15, v31, v16
	;;#ASMEND
	s_wait_dscnt 0x1
	;;#ASMSTART
	v_dot2_f32_f16 v20, v12, v32, v20
	;;#ASMEND
	;;#ASMSTART
	v_dot2_f32_f16 v20, v13, v33, v20
	;;#ASMEND
	;;#ASMSTART
	v_dot2_f32_f16 v20, v14, v34, v20
	;;#ASMEND
	;;#ASMSTART
	v_dot2_f32_f16 v20, v15, v35, v20
	;;#ASMEND
	s_wait_dscnt 0x0
	;;#ASMSTART
	v_dot2_f32_f16 v22, v12, v36, v22
	;;#ASMEND
	;;#ASMSTART
	v_dot2_f32_f16 v22, v13, v37, v22
	;;#ASMEND
	;;#ASMSTART
	v_dot2_f32_f16 v22, v14, v38, v22
	;;#ASMEND
	;;#ASMSTART
	v_dot2_f32_f16 v22, v15, v39, v22
	;;#ASMEND
	s_barrier_signal -1
	s_barrier_wait -1
	s_and_saveexec_b32 s7, s3
	s_cbranch_execz .LBB56_22
; %bb.21:                               ;   in Loop: Header=BB56_16 Depth=1
	v_add_nc_u64_e32 v[4:5], v[4:5], v[82:83]
	global_load_b128 v[12:15], v[4:5], off offset:160
	s_wait_loadcnt 0x0
	ds_store_b128 v120, v[12:15]
.LBB56_22:                              ;   in Loop: Header=BB56_16 Depth=1
	s_or_b32 exec_lo, exec_lo, s7
	s_and_saveexec_b32 s7, s4
	s_cbranch_execz .LBB56_24
; %bb.23:                               ;   in Loop: Header=BB56_16 Depth=1
	v_mov_b32_e32 v85, v83
	s_delay_alu instid0(VALU_DEP_1)
	v_add_nc_u64_e32 v[4:5], v[6:7], v[84:85]
	global_load_b128 v[4:7], v[4:5], off offset:96
	s_wait_loadcnt 0x0
	ds_store_b128 v121, v[4:7]
.LBB56_24:                              ;   in Loop: Header=BB56_16 Depth=1
	s_or_b32 exec_lo, exec_lo, s7
	s_wait_dscnt 0x0
	s_barrier_signal -1
	s_barrier_wait -1
	ds_load_b128 v[4:7], v115 offset:6144
	ds_load_b128 v[12:15], v116 offset:96
	;; [unrolled: 1-line block ×5, first 2 shown]
	s_and_not1_b32 vcc_lo, exec_lo, s49
	s_wait_dscnt 0x3
	;;#ASMSTART
	v_dot2_f32_f16 v11, v4, v12, v11
	;;#ASMEND
	;;#ASMSTART
	v_dot2_f32_f16 v11, v5, v13, v11
	;;#ASMEND
	;;#ASMSTART
	v_dot2_f32_f16 v11, v6, v14, v11
	;;#ASMEND
	;;#ASMSTART
	v_dot2_f32_f16 v11, v7, v15, v11
	;;#ASMEND
	s_wait_dscnt 0x2
	;;#ASMSTART
	v_dot2_f32_f16 v16, v4, v24, v16
	;;#ASMEND
	;;#ASMSTART
	v_dot2_f32_f16 v16, v5, v25, v16
	;;#ASMEND
	;;#ASMSTART
	v_dot2_f32_f16 v16, v6, v26, v16
	;;#ASMEND
	;;#ASMSTART
	v_dot2_f32_f16 v16, v7, v27, v16
	;;#ASMEND
	s_wait_dscnt 0x1
	;;#ASMSTART
	v_dot2_f32_f16 v20, v4, v28, v20
	;;#ASMEND
	;;#ASMSTART
	v_dot2_f32_f16 v20, v5, v29, v20
	;;#ASMEND
	;;#ASMSTART
	v_dot2_f32_f16 v20, v6, v30, v20
	;;#ASMEND
	;;#ASMSTART
	v_dot2_f32_f16 v20, v7, v31, v20
	;;#ASMEND
	s_wait_dscnt 0x0
	;;#ASMSTART
	v_dot2_f32_f16 v22, v4, v32, v22
	;;#ASMEND
	;;#ASMSTART
	v_dot2_f32_f16 v22, v5, v33, v22
	;;#ASMEND
	;;#ASMSTART
	v_dot2_f32_f16 v22, v6, v34, v22
	;;#ASMEND
	;;#ASMSTART
	v_dot2_f32_f16 v22, v7, v35, v22
	;;#ASMEND
	ds_load_b128 v[4:7], v115 offset:6160
	ds_load_b128 v[12:15], v116 offset:112
	ds_load_b128 v[24:27], v116 offset:304
	ds_load_b128 v[28:31], v116 offset:496
	ds_load_b128 v[32:35], v116 offset:688
	s_wait_dscnt 0x3
	;;#ASMSTART
	v_dot2_f32_f16 v11, v4, v12, v11
	;;#ASMEND
	;;#ASMSTART
	v_dot2_f32_f16 v11, v5, v13, v11
	;;#ASMEND
	;;#ASMSTART
	v_dot2_f32_f16 v11, v6, v14, v11
	;;#ASMEND
	;;#ASMSTART
	v_dot2_f32_f16 v11, v7, v15, v11
	;;#ASMEND
	s_wait_dscnt 0x2
	;;#ASMSTART
	v_dot2_f32_f16 v16, v4, v24, v16
	;;#ASMEND
	;;#ASMSTART
	v_dot2_f32_f16 v16, v5, v25, v16
	;;#ASMEND
	;;#ASMSTART
	v_dot2_f32_f16 v16, v6, v26, v16
	;;#ASMEND
	;;#ASMSTART
	v_dot2_f32_f16 v16, v7, v27, v16
	;;#ASMEND
	s_wait_dscnt 0x1
	;;#ASMSTART
	v_dot2_f32_f16 v20, v4, v28, v20
	;;#ASMEND
	;;#ASMSTART
	v_dot2_f32_f16 v20, v5, v29, v20
	;;#ASMEND
	;;#ASMSTART
	v_dot2_f32_f16 v20, v6, v30, v20
	;;#ASMEND
	;;#ASMSTART
	v_dot2_f32_f16 v20, v7, v31, v20
	;;#ASMEND
	s_wait_dscnt 0x0
	;;#ASMSTART
	v_dot2_f32_f16 v22, v4, v32, v22
	;;#ASMEND
	;;#ASMSTART
	v_dot2_f32_f16 v22, v5, v33, v22
	;;#ASMEND
	;;#ASMSTART
	v_dot2_f32_f16 v22, v6, v34, v22
	;;#ASMEND
	;;#ASMSTART
	v_dot2_f32_f16 v22, v7, v35, v22
	;;#ASMEND
	ds_load_b128 v[4:7], v115 offset:6176
	ds_load_b128 v[12:15], v116 offset:128
	ds_load_b128 v[24:27], v116 offset:320
	ds_load_b128 v[28:31], v116 offset:512
	ds_load_b128 v[32:35], v116 offset:704
	;; [unrolled: 57-line block ×5, first 2 shown]
	s_wait_dscnt 0x3
	;;#ASMSTART
	v_dot2_f32_f16 v11, v12, v24, v11
	;;#ASMEND
	;;#ASMSTART
	v_dot2_f32_f16 v11, v13, v25, v11
	;;#ASMEND
	;;#ASMSTART
	v_dot2_f32_f16 v11, v14, v26, v11
	;;#ASMEND
	;;#ASMSTART
	v_dot2_f32_f16 v11, v15, v27, v11
	;;#ASMEND
	s_wait_dscnt 0x2
	;;#ASMSTART
	v_dot2_f32_f16 v16, v12, v28, v16
	;;#ASMEND
	;;#ASMSTART
	v_dot2_f32_f16 v16, v13, v29, v16
	;;#ASMEND
	;; [unrolled: 3-line block ×4, first 2 shown]
	s_wait_dscnt 0x1
	;;#ASMSTART
	v_dot2_f32_f16 v20, v12, v32, v20
	;;#ASMEND
	v_dual_add_nc_u32 v4, s28, v79 :: v_dual_mov_b32 v10, 0
	v_mov_b32_e32 v5, 0
	;;#ASMSTART
	v_dot2_f32_f16 v20, v13, v33, v20
	;;#ASMEND
	;;#ASMSTART
	v_dot2_f32_f16 v20, v14, v34, v20
	;;#ASMEND
	;; [unrolled: 3-line block ×3, first 2 shown]
	s_wait_dscnt 0x0
	;;#ASMSTART
	v_dot2_f32_f16 v22, v12, v36, v22
	;;#ASMEND
	;;#ASMSTART
	v_dot2_f32_f16 v22, v13, v37, v22
	;;#ASMEND
	;; [unrolled: 3-line block ×4, first 2 shown]
	s_cbranch_vccnz .LBB56_26
; %bb.25:                               ;   in Loop: Header=BB56_16 Depth=1
	v_add_nc_u32_e32 v5, v4, v125
	global_load_u16 v5, v5, s[36:37] scale_offset
	s_wait_loadcnt 0x0
	v_cvt_f32_f16_e32 v5, v5
	s_delay_alu instid0(VALU_DEP_1)
	v_mul_f32_e32 v5, v113, v5
.LBB56_26:                              ;   in Loop: Header=BB56_16 Depth=1
	s_delay_alu instid0(VALU_DEP_1) | instskip(SKIP_1) | instid1(VALU_DEP_2)
	v_dual_add_f32 v7, v11, v5 :: v_dual_bitop2_b32 v6, 16, v75 bitop3:0x14
	v_xor_b32_e32 v12, 8, v75
	v_cmp_gt_i32_e32 vcc_lo, 32, v6
	v_dual_max_num_f32 v11, v8, v8 :: v_dual_cndmask_b32 v5, v75, v6, vcc_lo
	s_delay_alu instid0(VALU_DEP_4) | instskip(NEXT) | instid1(VALU_DEP_4)
	v_add_f32_e32 v6, 0x40051340, v7
	v_cmp_gt_i32_e32 vcc_lo, 32, v12
	s_delay_alu instid0(VALU_DEP_2) | instskip(SKIP_3) | instid1(VALU_DEP_1)
	v_dual_lshlrev_b32 v5, 2, v5 :: v_dual_max_num_f32 v11, v11, v6
	ds_bpermute_b32 v6, v5, v11
	s_wait_dscnt 0x0
	v_dual_cndmask_b32 v12, v75, v12 :: v_dual_max_num_f32 v13, v6, v6
	v_dual_lshlrev_b32 v6, 2, v12 :: v_dual_max_num_f32 v12, v11, v13
	v_xor_b32_e32 v13, 4, v75
	ds_bpermute_b32 v11, v6, v12
	v_cmp_gt_i32_e32 vcc_lo, 32, v13
	v_cndmask_b32_e32 v13, v75, v13, vcc_lo
	s_wait_dscnt 0x0
	s_delay_alu instid0(VALU_DEP_1) | instskip(NEXT) | instid1(VALU_DEP_1)
	v_dual_max_num_f32 v14, v11, v11 :: v_dual_lshlrev_b32 v11, 2, v13
	v_dual_max_num_f32 v13, v12, v14 :: v_dual_bitop2_b32 v14, 2, v75 bitop3:0x14
	ds_bpermute_b32 v12, v11, v13
	v_cmp_gt_i32_e32 vcc_lo, 32, v14
	s_wait_dscnt 0x0
	v_dual_cndmask_b32 v14, v75, v14 :: v_dual_max_num_f32 v15, v12, v12
	s_delay_alu instid0(VALU_DEP_1) | instskip(SKIP_3) | instid1(VALU_DEP_1)
	v_dual_max_num_f32 v13, v13, v15 :: v_dual_lshlrev_b32 v12, 2, v14
	ds_bpermute_b32 v14, v12, v13
	s_wait_dscnt 0x0
	v_dual_max_num_f32 v17, v14, v14 :: v_dual_bitop2_b32 v15, 1, v75 bitop3:0x14
	v_cmp_gt_i32_e32 vcc_lo, 32, v15
	s_delay_alu instid0(VALU_DEP_2) | instskip(SKIP_1) | instid1(VALU_DEP_1)
	v_dual_max_num_f32 v13, v13, v17 :: v_dual_cndmask_b32 v15, v75, v15, vcc_lo
	s_and_not1_b32 vcc_lo, exec_lo, s49
	v_lshlrev_b32_e32 v14, 2, v15
	ds_bpermute_b32 v15, v14, v13
	s_cbranch_vccnz .LBB56_28
; %bb.27:                               ;   in Loop: Header=BB56_16 Depth=1
	v_add_nc_u32_e32 v10, v4, v124
	global_load_u16 v10, v10, s[36:37] scale_offset
	s_wait_loadcnt 0x0
	v_cvt_f32_f16_e32 v10, v10
	s_delay_alu instid0(VALU_DEP_1)
	v_mul_f32_e32 v10, v113, v10
.LBB56_28:                              ;   in Loop: Header=BB56_16 Depth=1
	s_delay_alu instid0(VALU_DEP_1) | instskip(SKIP_1) | instid1(VALU_DEP_1)
	v_dual_add_f32 v10, v16, v10 :: v_dual_max_num_f32 v17, v9, v9
	s_and_not1_b32 vcc_lo, exec_lo, s49
	v_dual_mov_b32 v19, 0 :: v_dual_add_f32 v16, 0x40051340, v10
	s_delay_alu instid0(VALU_DEP_1) | instskip(SKIP_3) | instid1(VALU_DEP_1)
	v_max_num_f32_e32 v16, v17, v16
	ds_bpermute_b32 v17, v5, v16
	s_wait_dscnt 0x0
	v_max_num_f32_e32 v17, v17, v17
	v_max_num_f32_e32 v16, v16, v17
	ds_bpermute_b32 v17, v6, v16
	s_wait_dscnt 0x0
	v_max_num_f32_e32 v17, v17, v17
	s_delay_alu instid0(VALU_DEP_1) | instskip(SKIP_3) | instid1(VALU_DEP_1)
	v_max_num_f32_e32 v16, v16, v17
	ds_bpermute_b32 v17, v11, v16
	s_wait_dscnt 0x0
	v_max_num_f32_e32 v17, v17, v17
	v_max_num_f32_e32 v16, v16, v17
	ds_bpermute_b32 v17, v12, v16
	s_wait_dscnt 0x0
	v_max_num_f32_e32 v17, v17, v17
	s_delay_alu instid0(VALU_DEP_1)
	v_dual_max_num_f32 v17, v16, v17 :: v_dual_mov_b32 v16, 0
	ds_bpermute_b32 v18, v14, v17
	s_cbranch_vccnz .LBB56_30
; %bb.29:                               ;   in Loop: Header=BB56_16 Depth=1
	v_add_nc_u32_e32 v16, v4, v126
	global_load_u16 v16, v16, s[36:37] scale_offset
	s_wait_loadcnt 0x0
	v_cvt_f32_f16_e32 v16, v16
	s_delay_alu instid0(VALU_DEP_1)
	v_mul_f32_e32 v16, v113, v16
.LBB56_30:                              ;   in Loop: Header=BB56_16 Depth=1
	s_delay_alu instid0(VALU_DEP_1) | instskip(SKIP_2) | instid1(VALU_DEP_2)
	v_add_f32_e32 v16, v20, v16
	v_max_num_f32_e32 v21, v128, v128
	s_and_not1_b32 vcc_lo, exec_lo, s49
	v_add_f32_e32 v20, 0x40051340, v16
	s_delay_alu instid0(VALU_DEP_1) | instskip(SKIP_3) | instid1(VALU_DEP_1)
	v_max_num_f32_e32 v20, v21, v20
	ds_bpermute_b32 v21, v5, v20
	s_wait_dscnt 0x0
	v_max_num_f32_e32 v21, v21, v21
	v_max_num_f32_e32 v20, v20, v21
	ds_bpermute_b32 v21, v6, v20
	s_wait_dscnt 0x0
	v_max_num_f32_e32 v21, v21, v21
	s_delay_alu instid0(VALU_DEP_1) | instskip(SKIP_3) | instid1(VALU_DEP_1)
	v_max_num_f32_e32 v20, v20, v21
	ds_bpermute_b32 v21, v11, v20
	s_wait_dscnt 0x0
	v_max_num_f32_e32 v21, v21, v21
	v_max_num_f32_e32 v20, v20, v21
	ds_bpermute_b32 v21, v12, v20
	s_wait_dscnt 0x0
	v_max_num_f32_e32 v21, v21, v21
	s_delay_alu instid0(VALU_DEP_1)
	v_max_num_f32_e32 v20, v20, v21
	ds_bpermute_b32 v21, v14, v20
	s_cbranch_vccnz .LBB56_32
; %bb.31:                               ;   in Loop: Header=BB56_16 Depth=1
	v_add_nc_u32_e32 v4, v4, v127
	global_load_u16 v4, v4, s[36:37] scale_offset
	s_wait_loadcnt 0x0
	v_cvt_f32_f16_e32 v4, v4
	s_delay_alu instid0(VALU_DEP_1)
	v_mul_f32_e32 v19, v113, v4
.LBB56_32:                              ;   in Loop: Header=BB56_16 Depth=1
	s_delay_alu instid0(VALU_DEP_1) | instskip(SKIP_3) | instid1(VALU_DEP_1)
	v_dual_add_f32 v19, v22, v19 :: v_dual_max_num_f32 v4, v129, v129
	s_mul_u64 s[8:9], s[28:29], s[14:15]
	s_wait_dscnt 0x0
	s_lshl_b64 s[8:9], s[8:9], 2
	v_add_f32_e32 v22, 0x40051340, v19
	s_add_nc_u64 s[8:9], s[18:19], s[8:9]
	s_barrier_signal -1
	s_barrier_wait -1
	s_delay_alu instid0(VALU_DEP_1) | instskip(SKIP_3) | instid1(VALU_DEP_1)
	v_max_num_f32_e32 v4, v4, v22
	ds_bpermute_b32 v5, v5, v4
	s_wait_dscnt 0x0
	v_max_num_f32_e32 v5, v5, v5
	v_max_num_f32_e32 v4, v4, v5
	ds_bpermute_b32 v5, v6, v4
	s_wait_dscnt 0x0
	v_max_num_f32_e32 v5, v5, v5
	s_delay_alu instid0(VALU_DEP_1) | instskip(SKIP_3) | instid1(VALU_DEP_1)
	v_max_num_f32_e32 v4, v4, v5
	ds_bpermute_b32 v5, v11, v4
	s_wait_dscnt 0x0
	v_max_num_f32_e32 v5, v5, v5
	v_max_num_f32_e32 v4, v4, v5
	ds_bpermute_b32 v5, v12, v4
	s_wait_dscnt 0x0
	v_max_num_f32_e32 v5, v5, v5
	s_delay_alu instid0(VALU_DEP_1)
	v_dual_max_num_f32 v11, v4, v5 :: v_dual_max_num_f32 v4, v15, v15
	v_dual_max_num_f32 v5, v13, v13 :: v_dual_max_num_f32 v15, v20, v20
	v_max_num_f32_e32 v13, v18, v18
	ds_bpermute_b32 v12, v14, v11
	v_max_num_f32_e32 v4, v5, v4
	v_max_num_f32_e32 v6, v21, v21
	;; [unrolled: 1-line block ×3, first 2 shown]
	s_delay_alu instid0(VALU_DEP_1) | instskip(NEXT) | instid1(VALU_DEP_1)
	v_dual_max_num_f32 v5, v14, v13 :: v_dual_sub_f32 v13, v7, v4
	v_dual_max_num_f32 v6, v15, v6 :: v_dual_sub_f32 v10, v10, v5
	s_delay_alu instid0(VALU_DEP_2) | instskip(NEXT) | instid1(VALU_DEP_2)
	v_cmp_ngt_f32_e32 vcc_lo, 0xc2ce8ed0, v13
	v_dual_sub_f32 v14, v16, v6 :: v_dual_mul_f32 v15, 0x3fb8aa3b, v13
	s_wait_dscnt 0x0
	s_delay_alu instid0(VALU_DEP_1) | instskip(SKIP_1) | instid1(VALU_DEP_3)
	v_dual_max_num_f32 v7, v12, v12 :: v_dual_mul_f32 v16, 0x3fb8aa3b, v14
	v_mul_f32_e32 v12, 0x3fb8aa3b, v10
	v_fma_f32 v17, 0x3fb8aa3b, v13, -v15
	s_delay_alu instid0(VALU_DEP_3) | instskip(NEXT) | instid1(VALU_DEP_3)
	v_fma_f32 v21, 0x3fb8aa3b, v14, -v16
	v_fma_f32 v18, 0x3fb8aa3b, v10, -v12
	v_max_num_f32_e32 v7, v11, v7
	v_rndne_f32_e32 v20, v12
	v_rndne_f32_e32 v22, v16
	;; [unrolled: 1-line block ×3, first 2 shown]
	s_delay_alu instid0(VALU_DEP_4) | instskip(NEXT) | instid1(VALU_DEP_4)
	v_dual_fmac_f32 v18, 0x32a5705f, v10 :: v_dual_sub_f32 v19, v19, v7
	v_dual_sub_f32 v12, v12, v20 :: v_dual_fmac_f32 v17, 0x32a5705f, v13
	s_delay_alu instid0(VALU_DEP_4) | instskip(SKIP_1) | instid1(VALU_DEP_4)
	v_sub_f32_e32 v16, v16, v22
	v_fmac_f32_e32 v21, 0x32a5705f, v14
	v_mul_f32_e32 v23, 0x3fb8aa3b, v19
	s_delay_alu instid0(VALU_DEP_4) | instskip(SKIP_1) | instid1(VALU_DEP_4)
	v_dual_sub_f32 v15, v15, v11 :: v_dual_add_f32 v12, v12, v18
	v_cvt_i32_f32_e32 v11, v11
	v_add_f32_e32 v16, v16, v21
	s_delay_alu instid0(VALU_DEP_4)
	v_fma_f32 v24, 0x3fb8aa3b, v19, -v23
	v_rndne_f32_e32 v25, v23
	v_exp_f32_e32 v12, v12
	v_cvt_i32_f32_e32 v18, v20
	v_exp_f32_e32 v16, v16
	v_dual_fmac_f32 v24, 0x32a5705f, v19 :: v_dual_add_f32 v15, v15, v17
	v_sub_f32_e32 v17, v23, v25
	v_cvt_i32_f32_e32 v20, v22
	s_delay_alu instid0(TRANS32_DEP_2) | instskip(NEXT) | instid1(VALU_DEP_3)
	v_ldexp_f32 v12, v12, v18
	v_add_f32_e32 v17, v17, v24
	v_exp_f32_e32 v15, v15
	s_delay_alu instid0(VALU_DEP_3) | instskip(NEXT) | instid1(TRANS32_DEP_1)
	v_ldexp_f32 v16, v16, v20
	v_ldexp_f32 v11, v15, v11
	s_delay_alu instid0(VALU_DEP_3) | instskip(SKIP_2) | instid1(VALU_DEP_3)
	v_exp_f32_e32 v15, v17
	v_nop
	v_cvt_i32_f32_e32 v17, v25
	v_cndmask_b32_e32 v11, 0, v11, vcc_lo
	v_cmp_ngt_f32_e32 vcc_lo, 0xc2ce8ed0, v10
	s_delay_alu instid0(TRANS32_DEP_1) | instid1(VALU_DEP_3)
	v_ldexp_f32 v15, v15, v17
	v_cndmask_b32_e32 v12, 0, v12, vcc_lo
	v_cmp_ngt_f32_e32 vcc_lo, 0xc2ce8ed0, v14
	v_cndmask_b32_e32 v16, 0, v16, vcc_lo
	v_cmp_nlt_f32_e32 vcc_lo, 0x42b17218, v13
	v_cndmask_b32_e32 v94, 0x7f800000, v11, vcc_lo
	v_cmp_ngt_f32_e32 vcc_lo, 0xc2ce8ed0, v19
	v_cndmask_b32_e32 v11, 0, v15, vcc_lo
	v_cmp_nlt_f32_e32 vcc_lo, 0x42b17218, v10
	v_cndmask_b32_e32 v95, 0x7f800000, v12, vcc_lo
	v_cmp_nlt_f32_e32 vcc_lo, 0x42b17218, v14
	v_add_nc_u32_e32 v12, v104, v102
	s_delay_alu instid0(VALU_DEP_3) | instskip(SKIP_3) | instid1(VALU_DEP_1)
	v_cvt_pk_f16_f32 v10, v94, v95
	v_cndmask_b32_e32 v96, 0x7f800000, v16, vcc_lo
	v_cmp_nlt_f32_e32 vcc_lo, 0x42b17218, v19
	v_cndmask_b32_e32 v97, 0x7f800000, v11, vcc_lo
	v_cvt_pk_f16_f32 v11, v96, v97
	ds_store_b64 v12, v[10:11]
	s_and_saveexec_b32 s7, s5
	s_cbranch_execz .LBB56_34
; %bb.33:                               ;   in Loop: Header=BB56_16 Depth=1
	v_lshl_add_u64 v[10:11], v[90:91], 2, s[8:9]
	v_mov_b32_e32 v85, v83
	s_delay_alu instid0(VALU_DEP_1)
	v_add_nc_u64_e32 v[10:11], v[10:11], v[84:85]
	global_load_b128 v[10:13], v[10:11], off offset:128
	s_wait_loadcnt 0x0
	ds_store_b128 v123, v[10:13]
.LBB56_34:                              ;   in Loop: Header=BB56_16 Depth=1
	s_or_b32 exec_lo, exec_lo, s7
	v_lshlrev_b32_e32 v98, 2, v76
	s_and_saveexec_b32 s7, s6
	s_cbranch_execz .LBB56_36
; %bb.35:                               ;   in Loop: Header=BB56_16 Depth=1
	v_lshl_add_u64 v[10:11], v[92:93], 2, s[8:9]
	v_mov_b32_e32 v99, v83
	s_delay_alu instid0(VALU_DEP_1)
	v_add_nc_u64_e32 v[10:11], v[10:11], v[98:99]
	global_load_b128 v[10:13], v[10:11], off
	s_wait_loadcnt 0x0
	ds_store_b128 v122, v[10:13]
.LBB56_36:                              ;   in Loop: Header=BB56_16 Depth=1
	s_or_b32 exec_lo, exec_lo, s7
	v_add_nc_u32_e32 v132, 0x1800, v102
	v_add_nc_u32_e32 v131, 0x1c00, v102
	;; [unrolled: 1-line block ×3, first 2 shown]
	v_dual_sub_f32 v134, v8, v4 :: v_dual_sub_f32 v133, v9, v5
	s_wait_dscnt 0x0
	s_barrier_signal -1
	s_barrier_wait -1
	ds_load_2addr_b64 v[36:39], v132 offset1:24
	ds_load_b128 v[68:71], v104
	ds_load_b128 v[64:67], v104 offset:16
	ds_load_b128 v[60:63], v104 offset:32
	;; [unrolled: 1-line block ×3, first 2 shown]
	ds_load_2addr_b64 v[32:35], v132 offset0:48 offset1:72
	ds_load_2addr_b64 v[28:31], v132 offset0:96 offset1:120
	;; [unrolled: 1-line block ×3, first 2 shown]
	v_dual_sub_f32 v135, v128, v6 :: v_dual_sub_f32 v128, v129, v7
	ds_load_2addr_b64 v[20:23], v132 offset0:192 offset1:216
	ds_load_2addr_b64 v[16:19], v131 offset0:112 offset1:136
	ds_load_b128 v[52:55], v104 offset:64
	ds_load_b128 v[48:51], v104 offset:80
	ds_load_2addr_b64 v[12:15], v130 offset0:32 offset1:56
	ds_load_2addr_b64 v[8:11], v130 offset0:80 offset1:104
	ds_load_b128 v[44:47], v104 offset:96
	ds_load_b128 v[40:43], v104 offset:112
	s_or_b32 s46, s28, 16
	v_cmp_ngt_f32_e64 s7, 0xc2ce8ed0, v134
	s_ashr_i32 s47, s46, 31
	v_cmp_ngt_f32_e64 s11, 0xc2ce8ed0, v133
	s_mul_u64 s[46:47], s[46:47], s[14:15]
	v_cmp_nlt_f32_e64 s8, 0x42b17218, v133
	v_cmp_ngt_f32_e64 s12, 0xc2ce8ed0, v135
	v_cmp_nlt_f32_e64 s9, 0x42b17218, v135
	v_cmp_ngt_f32_e64 s10, 0xc2ce8ed0, v128
	v_cmp_nlt_f32_e64 s13, 0x42b17218, v128
	s_lshl_b64 s[46:47], s[46:47], 2
	v_cmp_nlt_f32_e32 vcc_lo, 0x42b17218, v134
	s_add_nc_u64 s[46:47], s[18:19], s[46:47]
	s_wait_dscnt 0x0
	s_barrier_signal -1
	s_barrier_wait -1
	s_and_saveexec_b32 s29, s5
	s_cbranch_execz .LBB56_38
; %bb.37:                               ;   in Loop: Header=BB56_16 Depth=1
	v_lshl_add_u64 v[136:137], v[90:91], 2, s[46:47]
	v_mov_b32_e32 v85, v83
	s_delay_alu instid0(VALU_DEP_1)
	v_add_nc_u64_e32 v[136:137], v[136:137], v[84:85]
	global_load_b128 v[136:139], v[136:137], off offset:128
	s_wait_loadcnt 0x0
	ds_store_b128 v123, v[136:139]
.LBB56_38:                              ;   in Loop: Header=BB56_16 Depth=1
	s_or_b32 exec_lo, exec_lo, s29
	s_and_saveexec_b32 s29, s6
	s_cbranch_execz .LBB56_40
; %bb.39:                               ;   in Loop: Header=BB56_16 Depth=1
	v_lshl_add_u64 v[136:137], v[92:93], 2, s[46:47]
	v_mov_b32_e32 v99, v83
	s_delay_alu instid0(VALU_DEP_1)
	v_add_nc_u64_e32 v[98:99], v[136:137], v[98:99]
	global_load_b128 v[136:139], v[98:99], off
	s_wait_loadcnt 0x0
	ds_store_b128 v122, v[136:139]
.LBB56_40:                              ;   in Loop: Header=BB56_16 Depth=1
	s_or_b32 exec_lo, exec_lo, s29
	v_dual_mul_f32 v85, 0x3fb8aa3b, v134 :: v_dual_mul_f32 v98, 0x3fb8aa3b, v133
	v_and_b32_e32 v142, 0xffff, v66
	v_and_b32_e32 v143, 0xffff, v67
	v_lshrrev_b32_e32 v67, 16, v67
	s_delay_alu instid0(VALU_DEP_4) | instskip(SKIP_4) | instid1(VALU_DEP_4)
	v_fma_f32 v136, 0x3fb8aa3b, v134, -v85
	v_rndne_f32_e32 v137, v85
	v_fma_f32 v138, 0x3fb8aa3b, v133, -v98
	v_rndne_f32_e32 v139, v98
	v_mul_f32_e32 v129, 0x3fb8aa3b, v128
	v_dual_fmac_f32 v136, 0x32a5705f, v134 :: v_dual_sub_f32 v85, v85, v137
	s_delay_alu instid0(VALU_DEP_4) | instskip(NEXT) | instid1(VALU_DEP_4)
	v_fmac_f32_e32 v138, 0x32a5705f, v133
	v_sub_f32_e32 v98, v98, v139
	s_delay_alu instid0(VALU_DEP_4) | instskip(SKIP_2) | instid1(VALU_DEP_4)
	v_fma_f32 v141, 0x3fb8aa3b, v128, -v129
	v_rndne_f32_e32 v133, v129
	v_add_f32_e32 v85, v85, v136
	v_dual_mul_f32 v99, 0x3fb8aa3b, v135 :: v_dual_add_f32 v98, v98, v138
	s_delay_alu instid0(VALU_DEP_3) | instskip(NEXT) | instid1(VALU_DEP_3)
	v_dual_fmac_f32 v141, 0x32a5705f, v128 :: v_dual_sub_f32 v128, v129, v133
	v_exp_f32_e32 v85, v85
	s_delay_alu instid0(VALU_DEP_2) | instskip(SKIP_4) | instid1(VALU_DEP_3)
	v_fma_f32 v140, 0x3fb8aa3b, v135, -v99
	v_rndne_f32_e32 v134, v99
	v_cvt_i32_f32_e32 v129, v137
	v_exp_f32_e32 v98, v98
	v_and_b32_e32 v136, 0xffff, v68
	v_dual_fmac_f32 v140, 0x32a5705f, v135 :: v_dual_sub_f32 v99, v99, v134
	v_cvt_i32_f32_e32 v135, v139
	v_add_f32_e32 v128, v128, v141
	v_cvt_i32_f32_e32 v134, v134
	v_ldexp_f32 v85, v85, v129
	v_add_f32_e32 v99, v99, v140
	v_cvt_i32_f32_e32 v129, v133
	v_exp_f32_e32 v128, v128
	v_ldexp_f32 v98, v98, v135
	v_cndmask_b32_e64 v85, 0, v85, s7
	v_exp_f32_e32 v99, v99
	v_and_b32_e32 v139, 0xffff, v71
	s_delay_alu instid0(VALU_DEP_3) | instskip(NEXT) | instid1(TRANS32_DEP_2)
	v_dual_lshrrev_b32 v71, 16, v71 :: v_dual_cndmask_b32 v133, 0, v98, s11
	v_ldexp_f32 v128, v128, v129
	v_cndmask_b32_e32 v98, 0x7f800000, v85, vcc_lo
	v_lshrrev_b32_e32 v68, 16, v68
	s_delay_alu instid0(TRANS32_DEP_1) | instskip(SKIP_3) | instid1(VALU_DEP_4)
	v_ldexp_f32 v99, v99, v134
	v_and_b32_e32 v137, 0xffff, v69
	v_dual_cndmask_b32 v85, 0, v128, s10 :: v_dual_lshrrev_b32 v69, 16, v69
	v_mul_u32_u24_e32 v136, 0x10001, v136
	v_cndmask_b32_e64 v129, 0, v99, s12
	v_cndmask_b32_e64 v99, 0x7f800000, v133, s8
	v_cvt_f16_f32_e64 v133, v98
	v_mul_u32_u24_e32 v68, 0x10001, v68
	v_mul_u32_u24_e32 v137, 0x10001, v137
	v_cndmask_b32_e64 v128, 0x7f800000, v129, s9
	v_cndmask_b32_e64 v129, 0x7f800000, v85, s13
	v_cvt_f16_f32_e64 v134, v99
	v_and_b32_e32 v133, 0xffff, v133
	v_and_b32_e32 v138, 0xffff, v70
	v_cvt_f16_f32_e64 v85, v128
	v_cvt_f16_f32_e64 v135, v129
	v_and_b32_e32 v134, 0xffff, v134
	v_mul_u32_u24_e32 v133, 0x10001, v133
	v_lshrrev_b32_e32 v70, 16, v70
	v_and_b32_e32 v85, 0xffff, v85
	v_and_b32_e32 v135, 0xffff, v135
	v_mul_u32_u24_e32 v134, 0x10001, v134
	v_mul_u32_u24_e32 v69, 0x10001, v69
	v_pk_mul_f16 v112, v112, v133
	v_mul_u32_u24_e32 v85, 0x10001, v85
	v_mul_u32_u24_e32 v135, 0x10001, v135
	v_pk_mul_f16 v110, v110, v134
	v_pk_mul_f16 v168, v36, v136
	v_pk_mul_f16 v169, v36, v68
	v_pk_mul_f16 v108, v108, v85
	v_pk_mul_f16 v170, v36, v137
	v_pk_mul_f16 v105, v105, v135
	v_pk_mul_f16 v106, v106, v135
	v_mul_u32_u24_e32 v138, 0x10001, v138
	v_mul_u32_u24_e32 v139, 0x10001, v139
	v_and_b32_e32 v140, 0xffff, v64
	v_lshrrev_b32_e32 v64, 16, v64
	v_mul_u32_u24_e32 v70, 0x10001, v70
	v_and_b32_e32 v141, 0xffff, v65
	v_mul_u32_u24_e32 v71, 0x10001, v71
	v_dual_lshrrev_b32 v65, 16, v65 :: v_dual_lshrrev_b32 v66, 16, v66
	v_pk_fma_f16 v111, v111, v133, v168
	v_pk_fma_f16 v109, v109, v134, v169
	;; [unrolled: 1-line block ×8, first 2 shown]
	v_mul_u32_u24_e32 v140, 0x10001, v140
	v_mul_u32_u24_e32 v64, 0x10001, v64
	;; [unrolled: 1-line block ×4, first 2 shown]
	v_pk_fma_f16 v69, v38, v138, v111
	v_pk_fma_f16 v106, v38, v70, v109
	v_pk_fma_f16 v85, v38, v139, v85
	v_pk_fma_f16 v36, v38, v71, v36
	v_pk_fma_f16 v38, v39, v138, v105
	v_pk_fma_f16 v68, v39, v70, v68
	v_pk_fma_f16 v70, v39, v139, v107
	v_pk_fma_f16 v37, v39, v71, v37
	v_mul_u32_u24_e32 v142, 0x10001, v142
	v_mul_u32_u24_e32 v66, 0x10001, v66
	v_mul_u32_u24_e32 v143, 0x10001, v143
	v_and_b32_e32 v144, 0xffff, v60
	v_lshrrev_b32_e32 v60, 16, v60
	v_and_b32_e32 v145, 0xffff, v61
	v_mul_u32_u24_e32 v67, 0x10001, v67
	v_lshrrev_b32_e32 v61, 16, v61
	v_pk_fma_f16 v39, v32, v140, v69
	v_pk_fma_f16 v69, v32, v64, v106
	v_pk_fma_f16 v71, v32, v141, v85
	v_pk_fma_f16 v32, v32, v65, v36
	v_pk_fma_f16 v36, v33, v140, v38
	v_pk_fma_f16 v38, v33, v64, v68
	v_pk_fma_f16 v64, v33, v141, v70
	v_pk_fma_f16 v33, v33, v65, v37
	v_mul_u32_u24_e32 v144, 0x10001, v144
	v_mul_u32_u24_e32 v60, 0x10001, v60
	v_mul_u32_u24_e32 v145, 0x10001, v145
	v_and_b32_e32 v146, 0xffff, v62
	v_lshrrev_b32_e32 v62, 16, v62
	v_and_b32_e32 v147, 0xffff, v63
	v_mul_u32_u24_e32 v61, 0x10001, v61
	v_lshrrev_b32_e32 v63, 16, v63
	;; [unrolled: 16-line block ×10, first 2 shown]
	v_pk_fma_f16 v21, v18, v158, v23
	v_pk_fma_f16 v23, v18, v50, v25
	;; [unrolled: 1-line block ×8, first 2 shown]
	v_mul_u32_u24_e32 v162, 0x10001, v162
	v_mul_u32_u24_e32 v46, 0x10001, v46
	v_mul_u32_u24_e32 v163, 0x10001, v163
	v_and_b32_e32 v164, 0xffff, v40
	v_lshrrev_b32_e32 v40, 16, v40
	v_mul_u32_u24_e32 v47, 0x10001, v47
	v_pk_fma_f16 v19, v12, v160, v21
	v_pk_fma_f16 v21, v12, v44, v23
	;; [unrolled: 1-line block ×8, first 2 shown]
	v_and_b32_e32 v165, 0xffff, v41
	v_lshrrev_b32_e32 v41, 16, v41
	v_mul_u32_u24_e32 v164, 0x10001, v164
	v_mul_u32_u24_e32 v40, 0x10001, v40
	v_and_b32_e32 v166, 0xffff, v42
	v_lshrrev_b32_e32 v42, 16, v42
	v_pk_fma_f16 v17, v14, v162, v19
	v_pk_fma_f16 v19, v14, v46, v21
	;; [unrolled: 1-line block ×8, first 2 shown]
	s_wait_dscnt 0x0
	s_barrier_signal -1
	s_barrier_wait -1
	ds_load_b128 v[12:15], v104 offset:128
	v_mul_u32_u24_e32 v165, 0x10001, v165
	v_mul_u32_u24_e32 v41, 0x10001, v41
	;; [unrolled: 1-line block ×4, first 2 shown]
	v_pk_fma_f16 v17, v8, v164, v17
	v_pk_fma_f16 v19, v8, v40, v19
	v_and_b32_e32 v167, 0xffff, v43
	v_lshrrev_b32_e32 v43, 16, v43
	v_pk_fma_f16 v21, v8, v165, v21
	v_pk_fma_f16 v8, v8, v41, v22
	;; [unrolled: 1-line block ×6, first 2 shown]
	ds_load_2addr_b64 v[16:19], v132 offset1:24
	v_mul_u32_u24_e32 v167, 0x10001, v167
	v_mul_u32_u24_e32 v43, 0x10001, v43
	v_pk_fma_f16 v20, v9, v165, v20
	v_pk_fma_f16 v9, v9, v41, v23
	;; [unrolled: 1-line block ×8, first 2 shown]
	ds_load_b128 v[8:11], v104 offset:144
	s_wait_dscnt 0x2
	v_and_b32_e32 v20, 0xffff, v12
	v_lshrrev_b32_e32 v12, 16, v12
	v_and_b32_e32 v21, 0xffff, v13
	v_lshrrev_b32_e32 v13, 16, v13
	v_pk_fma_f32 v[2:3], v[2:3], v[128:129], v[96:97]
	v_mul_u32_u24_e32 v36, 0x10001, v20
	v_mul_u32_u24_e32 v12, 0x10001, v12
	;; [unrolled: 1-line block ×4, first 2 shown]
	v_lshrrev_b32_e32 v13, 16, v14
	s_wait_dscnt 0x1
	v_pk_fma_f16 v28, v16, v36, v28
	v_pk_fma_f16 v29, v16, v12, v29
	;; [unrolled: 1-line block ×6, first 2 shown]
	v_and_b32_e32 v12, 0xffff, v14
	ds_load_b128 v[20:23], v104 offset:160
	ds_load_b128 v[24:27], v104 offset:176
	v_pk_fma_f16 v33, v17, v37, v34
	v_and_b32_e32 v34, 0xffff, v15
	v_lshrrev_b32_e32 v36, 16, v15
	v_mul_u32_u24_e32 v37, 0x10001, v12
	v_mul_u32_u24_e32 v39, 0x10001, v13
	ds_load_2addr_b64 v[12:15], v132 offset0:48 offset1:72
	v_mul_u32_u24_e32 v34, 0x10001, v34
	v_mul_u32_u24_e32 v36, 0x10001, v36
	v_pk_fma_f16 v17, v17, v38, v35
	v_pk_fma_f16 v28, v18, v37, v28
	;; [unrolled: 1-line block ×7, first 2 shown]
	s_wait_dscnt 0x3
	v_and_b32_e32 v32, 0xffff, v8
	v_lshrrev_b32_e32 v8, 16, v8
	v_and_b32_e32 v35, 0xffff, v9
	v_lshrrev_b32_e32 v9, 16, v9
	v_pk_fma_f16 v33, v19, v34, v33
	v_mul_u32_u24_e32 v32, 0x10001, v32
	v_mul_u32_u24_e32 v8, 0x10001, v8
	;; [unrolled: 1-line block ×4, first 2 shown]
	v_pk_fma_f16 v17, v19, v36, v17
	s_wait_dscnt 0x0
	v_pk_fma_f16 v19, v12, v32, v28
	v_pk_fma_f16 v28, v12, v8, v29
	;; [unrolled: 1-line block ×6, first 2 shown]
	v_and_b32_e32 v8, 0xffff, v10
	v_lshrrev_b32_e32 v9, 16, v10
	v_pk_fma_f16 v30, v13, v34, v33
	v_and_b32_e32 v31, 0xffff, v11
	v_lshrrev_b32_e32 v32, 16, v11
	v_mul_u32_u24_e32 v33, 0x10001, v8
	v_mul_u32_u24_e32 v34, 0x10001, v9
	ds_load_2addr_b64 v[8:11], v132 offset0:96 offset1:120
	v_mul_u32_u24_e32 v31, 0x10001, v31
	v_mul_u32_u24_e32 v32, 0x10001, v32
	v_pk_fma_f16 v13, v13, v35, v17
	v_pk_fma_f16 v17, v14, v33, v19
	;; [unrolled: 1-line block ×7, first 2 shown]
	v_and_b32_e32 v18, 0xffff, v20
	v_lshrrev_b32_e32 v20, 16, v20
	v_and_b32_e32 v29, 0xffff, v21
	v_lshrrev_b32_e32 v21, 16, v21
	v_pk_fma_f16 v30, v15, v31, v30
	v_mul_u32_u24_e32 v18, 0x10001, v18
	v_mul_u32_u24_e32 v20, 0x10001, v20
	;; [unrolled: 1-line block ×3, first 2 shown]
	v_pk_fma_f16 v31, v15, v32, v13
	v_lshrrev_b32_e32 v13, 16, v22
	v_mul_u32_u24_e32 v21, 0x10001, v21
	s_wait_dscnt 0x0
	v_pk_fma_f16 v17, v8, v18, v17
	v_pk_fma_f16 v19, v8, v20, v19
	;; [unrolled: 1-line block ×5, first 2 shown]
	v_and_b32_e32 v12, 0xffff, v22
	v_pk_fma_f16 v16, v9, v20, v16
	v_pk_fma_f16 v20, v9, v29, v30
	v_and_b32_e32 v22, 0xffff, v23
	v_lshrrev_b32_e32 v23, 16, v23
	v_mul_u32_u24_e32 v29, 0x10001, v12
	v_mul_u32_u24_e32 v30, 0x10001, v13
	ds_load_2addr_b64 v[12:15], v132 offset0:144 offset1:168
	v_mul_u32_u24_e32 v22, 0x10001, v22
	v_mul_u32_u24_e32 v23, 0x10001, v23
	v_pk_fma_f16 v9, v9, v21, v31
	v_pk_fma_f16 v17, v10, v29, v17
	;; [unrolled: 1-line block ×6, first 2 shown]
	v_and_b32_e32 v18, 0xffff, v24
	v_lshrrev_b32_e32 v24, 16, v24
	v_and_b32_e32 v28, 0xffff, v25
	v_lshrrev_b32_e32 v25, 16, v25
	v_pk_fma_f16 v20, v11, v22, v20
	v_mul_u32_u24_e32 v18, 0x10001, v18
	v_mul_u32_u24_e32 v22, 0x10001, v24
	v_mul_u32_u24_e32 v24, 0x10001, v28
	v_pk_fma_f16 v16, v11, v30, v16
	v_pk_fma_f16 v23, v11, v23, v9
	v_pk_fma_f32 v[0:1], v[0:1], v[98:99], v[94:95]
	s_wait_dscnt 0x0
	v_pk_fma_f16 v28, v12, v18, v17
	v_lshrrev_b32_e32 v17, 16, v26
	v_mul_u32_u24_e32 v25, 0x10001, v25
	v_pk_fma_f16 v29, v12, v22, v19
	v_pk_fma_f16 v21, v12, v24, v21
	;; [unrolled: 1-line block ×5, first 2 shown]
	ds_load_b128 v[8:11], v104 offset:192
	v_and_b32_e32 v16, 0xffff, v26
	v_and_b32_e32 v18, 0xffff, v27
	v_pk_fma_f16 v24, v13, v24, v20
	v_lshrrev_b32_e32 v20, 16, v27
	v_mul_u32_u24_e32 v27, 0x10001, v17
	v_mul_u32_u24_e32 v26, 0x10001, v16
	;; [unrolled: 1-line block ×3, first 2 shown]
	ds_load_2addr_b64 v[16:19], v132 offset0:192 offset1:216
	v_mul_u32_u24_e32 v32, 0x10001, v20
	v_pk_fma_f16 v13, v13, v25, v23
	v_pk_fma_f16 v25, v14, v26, v28
	;; [unrolled: 1-line block ×7, first 2 shown]
	ds_load_b128 v[20:23], v104 offset:208
	v_pk_fma_f16 v24, v15, v31, v24
	v_pk_fma_f16 v13, v15, v32, v13
	s_wait_dscnt 0x2
	v_and_b32_e32 v27, 0xffff, v8
	v_lshrrev_b32_e32 v8, 16, v8
	v_and_b32_e32 v30, 0xffff, v9
	v_lshrrev_b32_e32 v9, 16, v9
	s_delay_alu instid0(VALU_DEP_4) | instskip(NEXT) | instid1(VALU_DEP_4)
	v_mul_u32_u24_e32 v27, 0x10001, v27
	v_mul_u32_u24_e32 v8, 0x10001, v8
	s_delay_alu instid0(VALU_DEP_4) | instskip(SKIP_1) | instid1(VALU_DEP_3)
	v_mul_u32_u24_e32 v30, 0x10001, v30
	s_wait_dscnt 0x1
	v_pk_fma_f16 v15, v16, v27, v25
	v_pk_fma_f16 v14, v17, v27, v14
	v_lshrrev_b32_e32 v27, 16, v11
	v_mul_u32_u24_e32 v31, 0x10001, v9
	v_pk_fma_f16 v25, v16, v8, v28
	v_pk_fma_f16 v28, v16, v30, v29
	v_lshrrev_b32_e32 v9, 16, v10
	v_pk_fma_f16 v24, v17, v30, v24
	v_pk_fma_f16 v12, v16, v31, v12
	;; [unrolled: 1-line block ×3, first 2 shown]
	v_and_b32_e32 v8, 0xffff, v10
	v_and_b32_e32 v26, 0xffff, v11
	v_mul_u32_u24_e32 v30, 0x10001, v9
	v_mul_u32_u24_e32 v27, 0x10001, v27
	v_pk_fma_f16 v13, v17, v31, v13
	v_mul_u32_u24_e32 v29, 0x10001, v8
	ds_load_2addr_b64 v[8:11], v131 offset0:112 offset1:136
	v_mul_u32_u24_e32 v26, 0x10001, v26
	v_pk_fma_f16 v17, v18, v30, v25
	v_pk_fma_f16 v12, v18, v27, v12
	;; [unrolled: 1-line block ×5, first 2 shown]
	s_wait_dscnt 0x1
	v_and_b32_e32 v18, 0xffff, v20
	v_lshrrev_b32_e32 v20, 16, v20
	v_and_b32_e32 v28, 0xffff, v21
	v_lshrrev_b32_e32 v21, 16, v21
	v_pk_fma_f16 v24, v19, v26, v24
	v_mul_u32_u24_e32 v18, 0x10001, v18
	v_mul_u32_u24_e32 v20, 0x10001, v20
	;; [unrolled: 1-line block ×3, first 2 shown]
	v_pk_fma_f16 v16, v19, v30, v16
	v_pk_fma_f16 v27, v19, v27, v13
	s_wait_dscnt 0x0
	v_pk_fma_f16 v29, v8, v20, v17
	v_lshrrev_b32_e32 v17, 16, v22
	v_mul_u32_u24_e32 v21, 0x10001, v21
	v_pk_fma_f16 v28, v8, v18, v15
	v_pk_fma_f16 v25, v8, v26, v25
	;; [unrolled: 1-line block ×5, first 2 shown]
	ds_load_b128 v[12:15], v104 offset:224
	v_and_b32_e32 v16, 0xffff, v22
	v_and_b32_e32 v18, 0xffff, v23
	v_pk_fma_f16 v24, v9, v26, v24
	v_lshrrev_b32_e32 v22, 16, v23
	v_mul_u32_u24_e32 v26, 0x10001, v17
	v_mul_u32_u24_e32 v23, 0x10001, v16
	v_mul_u32_u24_e32 v31, 0x10001, v18
	ds_load_2addr_b64 v[16:19], v130 offset0:32 offset1:56
	v_mul_u32_u24_e32 v32, 0x10001, v22
	v_pk_fma_f16 v9, v9, v21, v27
	v_pk_fma_f16 v27, v10, v23, v28
	;; [unrolled: 1-line block ×7, first 2 shown]
	ds_load_b128 v[20:23], v104 offset:240
	v_pk_fma_f16 v24, v11, v31, v24
	v_pk_fma_f16 v31, v11, v32, v9
	s_wait_dscnt 0x2
	v_and_b32_e32 v29, 0xffff, v12
	v_lshrrev_b32_e32 v12, 16, v12
	v_and_b32_e32 v30, 0xffff, v13
	v_dual_lshrrev_b32 v13, 16, v13 :: v_dual_lshrrev_b32 v9, 16, v14
	s_delay_alu instid0(VALU_DEP_4) | instskip(NEXT) | instid1(VALU_DEP_4)
	v_mul_u32_u24_e32 v29, 0x10001, v29
	v_mul_u32_u24_e32 v12, 0x10001, v12
	s_delay_alu instid0(VALU_DEP_4) | instskip(NEXT) | instid1(VALU_DEP_4)
	v_mul_u32_u24_e32 v30, 0x10001, v30
	v_mul_u32_u24_e32 v13, 0x10001, v13
	s_wait_dscnt 0x1
	v_pk_fma_f16 v27, v16, v29, v27
	v_pk_fma_f16 v28, v16, v12, v28
	;; [unrolled: 1-line block ×4, first 2 shown]
	v_and_b32_e32 v8, 0xffff, v14
	v_pk_fma_f16 v29, v17, v29, v10
	v_pk_fma_f16 v12, v17, v12, v26
	;; [unrolled: 1-line block ×3, first 2 shown]
	v_and_b32_e32 v24, 0xffff, v15
	v_lshrrev_b32_e32 v15, 16, v15
	v_mul_u32_u24_e32 v26, 0x10001, v8
	v_mul_u32_u24_e32 v30, 0x10001, v9
	ds_load_2addr_b64 v[8:11], v130 offset0:80 offset1:104
	v_mul_u32_u24_e32 v24, 0x10001, v24
	v_mul_u32_u24_e32 v15, 0x10001, v15
	v_pk_fma_f16 v13, v17, v13, v31
	v_pk_fma_f16 v17, v18, v26, v27
	;; [unrolled: 1-line block ×6, first 2 shown]
	s_wait_dscnt 0x1
	v_and_b32_e32 v26, 0xffff, v20
	v_lshrrev_b32_e32 v20, 16, v20
	s_wait_dscnt 0x0
	s_barrier_signal -1
	s_barrier_wait -1
	s_load_b32 s7, s[44:45], 0x4
	v_pk_fma_f16 v12, v19, v30, v12
	v_and_b32_e32 v28, 0xffff, v21
	v_lshrrev_b32_e32 v21, 16, v21
	v_pk_fma_f16 v14, v19, v24, v14
	v_mul_u32_u24_e32 v24, 0x10001, v26
	v_mul_u32_u24_e32 v20, 0x10001, v20
	;; [unrolled: 1-line block ×3, first 2 shown]
	v_pk_fma_f16 v13, v19, v15, v13
	s_delay_alu instid0(VALU_DEP_4) | instskip(NEXT) | instid1(VALU_DEP_4)
	v_pk_fma_f16 v15, v8, v24, v17
	v_pk_fma_f16 v17, v8, v20, v27
	;; [unrolled: 1-line block ×3, first 2 shown]
	v_lshrrev_b32_e32 v20, 16, v22
	v_mul_u32_u24_e32 v21, 0x10001, v21
	v_pk_fma_f16 v19, v8, v26, v25
	v_pk_fma_f16 v14, v9, v26, v14
	s_delay_alu instid0(VALU_DEP_4) | instskip(NEXT) | instid1(VALU_DEP_4)
	v_mul_u32_u24_e32 v20, 0x10001, v20
	v_pk_fma_f16 v8, v8, v21, v16
	v_pk_fma_f16 v16, v9, v24, v18
	v_and_b32_e32 v18, 0xffff, v22
	v_and_b32_e32 v22, 0xffff, v23
	v_lshrrev_b32_e32 v23, 16, v23
	v_pk_fma_f16 v9, v9, v21, v13
	s_wait_kmcnt 0x0
	s_lshl_b32 s7, s7, 5
	v_mul_u32_u24_e32 v18, 0x10001, v18
	v_mul_u32_u24_e32 v22, 0x10001, v22
	;; [unrolled: 1-line block ×3, first 2 shown]
	v_pk_fma_f16 v109, v10, v20, v17
	v_pk_fma_f16 v110, v11, v20, v12
	;; [unrolled: 1-line block ×8, first 2 shown]
	s_add_co_i32 s28, s7, s28
	s_delay_alu instid0(SALU_CYCLE_1)
	s_cmp_lt_i32 s28, s35
	s_cbranch_scc0 .LBB56_43
; %bb.41:                               ;   in Loop: Header=BB56_16 Depth=1
	v_dual_mov_b32 v8, v4 :: v_dual_mov_b32 v9, v5
	v_dual_mov_b32 v128, v6 :: v_dual_mov_b32 v129, v7
	s_branch .LBB56_16
.LBB56_42:
	v_dual_mov_b32 v4, 0xfeffffff :: v_dual_mov_b32 v3, 0
	v_dual_mov_b32 v111, 0 :: v_dual_mov_b32 v109, 0
	s_delay_alu instid0(VALU_DEP_2) | instskip(SKIP_1) | instid1(VALU_DEP_4)
	v_dual_mov_b32 v110, 0 :: v_dual_mov_b32 v5, v4
	v_dual_mov_b32 v6, v4 :: v_dual_mov_b32 v7, v4
	;; [unrolled: 1-line block ×6, first 2 shown]
.LBB56_43:
	s_cmp_gt_i32 s38, s28
	s_cbranch_scc1 .LBB56_46
; %bb.44:
	v_mbcnt_lo_u32_b32 v8, -1, 0
	v_mov_b64_e32 v[14:15], v[2:3]
	v_mov_b64_e32 v[12:13], v[0:1]
	v_mov_b32_e32 v55, 32
	s_delay_alu instid0(VALU_DEP_4)
	v_xor_b32_e32 v60, 16, v8
	v_xor_b32_e32 v59, 8, v8
	;; [unrolled: 1-line block ×5, first 2 shown]
	s_cbranch_execz .LBB56_47
; %bb.45:
	v_mov_b32_e32 v103, v8
	s_branch .LBB56_84
.LBB56_46:
                                        ; implicit-def: $vgpr8
                                        ; implicit-def: $vgpr55
                                        ; implicit-def: $vgpr60
                                        ; implicit-def: $vgpr59
                                        ; implicit-def: $vgpr58
                                        ; implicit-def: $vgpr57
                                        ; implicit-def: $vgpr56
                                        ; implicit-def: $vgpr12_vgpr13_vgpr14_vgpr15
.LBB56_47:
	v_lshl_add_u32 v12, v117, 4, v119
	s_ashr_i32 s29, s28, 31
	s_ashr_i32 s41, s40, 31
	v_dual_mov_b32 v10, 0 :: v_dual_lshlrev_b32 v11, 20, v103
	s_delay_alu instid0(VALU_DEP_2)
	v_mul_lo_u32 v8, s40, v12
	s_mul_u64 s[4:5], s[28:29], s[40:41]
	v_mul_u32_u24_e32 v13, 0x70, v12
	v_lshlrev_b32_e32 v18, 2, v80
	s_lshl_b64 s[4:5], s[4:5], 2
	v_add_nc_u64_e32 v[16:17], src_flat_scratch_base_lo, v[10:11]
	s_add_nc_u64 s[6:7], s[42:43], s[4:5]
	v_cmp_gt_u32_e64 s4, 32, v12
	v_add3_u32 v15, v13, v18, 0x1840
	s_sub_co_i32 s8, s38, s28
	s_delay_alu instid0(SALU_CYCLE_1) | instskip(SKIP_1) | instid1(VALU_DEP_1)
	v_cmp_gt_i32_e32 vcc_lo, s8, v12
	v_ashrrev_i32_e32 v9, 31, v8
	v_lshl_add_u64 v[20:21], v[8:9], 2, s[6:7]
	s_and_saveexec_b32 s3, s4
	s_cbranch_execz .LBB56_49
; %bb.48:
	v_mov_b32_e32 v8, 0
	s_delay_alu instid0(VALU_DEP_1) | instskip(NEXT) | instid1(VALU_DEP_1)
	v_mov_b32_e32 v19, v8
	v_add_nc_u64_e32 v[10:11], v[20:21], v[18:19]
	s_delay_alu instid0(VALU_DEP_1) | instskip(NEXT) | instid1(VALU_DEP_1)
	v_add_nc_u64_e32 v[12:13], 64, v[10:11]
	v_dual_cndmask_b32 v13, v17, v13, vcc_lo :: v_dual_mov_b32 v9, v8
	v_mov_b32_e32 v10, v8
	s_delay_alu instid0(VALU_DEP_3)
	v_cndmask_b32_e32 v12, v16, v12, vcc_lo
	s_clause 0x1
	scratch_store_b32 off, v8, off
	scratch_store_b96 off, v[8:10], off offset:4
	flat_load_b128 v[8:11], v[12:13]
	s_wait_loadcnt_dscnt 0x0
	ds_store_b128 v15, v[8:11]
.LBB56_49:
	s_wait_xcnt 0x0
	s_or_b32 exec_lo, exec_lo, s3
	v_lshl_add_u32 v54, v117, 3, v118
	v_dual_lshlrev_b32 v44, 2, v78 :: v_dual_mov_b32 v8, 0
	s_delay_alu instid0(VALU_DEP_2) | instskip(SKIP_3) | instid1(VALU_DEP_3)
	v_mul_lo_u32 v10, s40, v54
	v_mul_u32_u24_e32 v9, 0x70, v54
	v_cmp_gt_u32_e64 s5, 32, v54
	v_cmp_gt_i32_e64 s3, s8, v54
	v_add3_u32 v24, v9, v44, 0x1800
	v_ashrrev_i32_e32 v11, 31, v10
	s_delay_alu instid0(VALU_DEP_1)
	v_lshl_add_u64 v[22:23], v[10:11], 2, s[6:7]
	s_and_saveexec_b32 s6, s5
	s_cbranch_execz .LBB56_51
; %bb.50:
	v_dual_mov_b32 v45, v8 :: v_dual_mov_b32 v9, v8
	s_delay_alu instid0(VALU_DEP_1) | instskip(NEXT) | instid1(VALU_DEP_1)
	v_add_nc_u64_e32 v[12:13], v[22:23], v[44:45]
	v_dual_mov_b32 v10, v8 :: v_dual_cndmask_b32 v13, v17, v13, s3
	s_delay_alu instid0(VALU_DEP_2)
	v_cndmask_b32_e64 v12, v16, v12, s3
	s_clause 0x1
	scratch_store_b32 off, v8, off
	scratch_store_b96 off, v[8:10], off offset:4
	flat_load_b128 v[10:13], v[12:13]
	s_wait_loadcnt_dscnt 0x0
	ds_store_b128 v24, v[10:13]
.LBB56_51:
	s_wait_xcnt 0x0
	s_or_b32 exec_lo, exec_lo, s6
	s_wait_storecnt_dscnt 0x0
	s_barrier_signal -1
	s_barrier_wait -1
	ds_load_b128 v[26:29], v115 offset:6144
	ds_load_b128 v[30:33], v116
	ds_load_b128 v[34:37], v116 offset:192
	ds_load_b128 v[38:41], v116 offset:384
	;; [unrolled: 1-line block ×3, first 2 shown]
	v_dual_mov_b32 v14, 0 :: v_dual_mov_b32 v11, 0
	v_dual_mov_b32 v12, 0 :: v_dual_mov_b32 v13, 0
	s_wait_dscnt 0x3
	;;#ASMSTART
	v_dot2_f32_f16 v14, v26, v30, v14
	;;#ASMEND
	;;#ASMSTART
	v_dot2_f32_f16 v14, v27, v31, v14
	;;#ASMEND
	;;#ASMSTART
	v_dot2_f32_f16 v14, v28, v32, v14
	;;#ASMEND
	;;#ASMSTART
	v_dot2_f32_f16 v14, v29, v33, v14
	;;#ASMEND
	s_wait_dscnt 0x2
	;;#ASMSTART
	v_dot2_f32_f16 v11, v26, v34, v11
	;;#ASMEND
	;;#ASMSTART
	v_dot2_f32_f16 v11, v27, v35, v11
	;;#ASMEND
	;;#ASMSTART
	v_dot2_f32_f16 v11, v28, v36, v11
	;;#ASMEND
	;;#ASMSTART
	v_dot2_f32_f16 v11, v29, v37, v11
	;;#ASMEND
	s_wait_dscnt 0x1
	;;#ASMSTART
	v_dot2_f32_f16 v12, v26, v38, v12
	;;#ASMEND
	;;#ASMSTART
	v_dot2_f32_f16 v12, v27, v39, v12
	;;#ASMEND
	;;#ASMSTART
	v_dot2_f32_f16 v12, v28, v40, v12
	;;#ASMEND
	;;#ASMSTART
	v_dot2_f32_f16 v12, v29, v41, v12
	;;#ASMEND
	s_wait_dscnt 0x0
	;;#ASMSTART
	v_dot2_f32_f16 v13, v26, v46, v13
	;;#ASMEND
	;;#ASMSTART
	v_dot2_f32_f16 v13, v27, v47, v13
	;;#ASMEND
	;;#ASMSTART
	v_dot2_f32_f16 v13, v28, v48, v13
	;;#ASMEND
	;;#ASMSTART
	v_dot2_f32_f16 v13, v29, v49, v13
	;;#ASMEND
	ds_load_b128 v[26:29], v115 offset:6160
	ds_load_b128 v[30:33], v116 offset:16
	ds_load_b128 v[34:37], v116 offset:208
	ds_load_b128 v[38:41], v116 offset:400
	ds_load_b128 v[46:49], v116 offset:592
	s_wait_dscnt 0x3
	;;#ASMSTART
	v_dot2_f32_f16 v14, v26, v30, v14
	;;#ASMEND
	;;#ASMSTART
	v_dot2_f32_f16 v14, v27, v31, v14
	;;#ASMEND
	;;#ASMSTART
	v_dot2_f32_f16 v14, v28, v32, v14
	;;#ASMEND
	;;#ASMSTART
	v_dot2_f32_f16 v14, v29, v33, v14
	;;#ASMEND
	s_wait_dscnt 0x2
	;;#ASMSTART
	v_dot2_f32_f16 v11, v26, v34, v11
	;;#ASMEND
	;;#ASMSTART
	v_dot2_f32_f16 v11, v27, v35, v11
	;;#ASMEND
	;;#ASMSTART
	v_dot2_f32_f16 v11, v28, v36, v11
	;;#ASMEND
	;;#ASMSTART
	v_dot2_f32_f16 v11, v29, v37, v11
	;;#ASMEND
	s_wait_dscnt 0x1
	;;#ASMSTART
	v_dot2_f32_f16 v12, v26, v38, v12
	;;#ASMEND
	;;#ASMSTART
	v_dot2_f32_f16 v12, v27, v39, v12
	;;#ASMEND
	;;#ASMSTART
	v_dot2_f32_f16 v12, v28, v40, v12
	;;#ASMEND
	;;#ASMSTART
	v_dot2_f32_f16 v12, v29, v41, v12
	;;#ASMEND
	s_wait_dscnt 0x0
	;;#ASMSTART
	v_dot2_f32_f16 v13, v26, v46, v13
	;;#ASMEND
	;;#ASMSTART
	v_dot2_f32_f16 v13, v27, v47, v13
	;;#ASMEND
	;;#ASMSTART
	v_dot2_f32_f16 v13, v28, v48, v13
	;;#ASMEND
	;;#ASMSTART
	v_dot2_f32_f16 v13, v29, v49, v13
	;;#ASMEND
	ds_load_b128 v[26:29], v115 offset:6176
	ds_load_b128 v[30:33], v116 offset:32
	ds_load_b128 v[34:37], v116 offset:224
	ds_load_b128 v[38:41], v116 offset:416
	ds_load_b128 v[46:49], v116 offset:608
	;; [unrolled: 57-line block ×5, first 2 shown]
	s_wait_dscnt 0x3
	;;#ASMSTART
	v_dot2_f32_f16 v14, v26, v30, v14
	;;#ASMEND
	;;#ASMSTART
	v_dot2_f32_f16 v14, v27, v31, v14
	;;#ASMEND
	;;#ASMSTART
	v_dot2_f32_f16 v14, v28, v32, v14
	;;#ASMEND
	;;#ASMSTART
	v_dot2_f32_f16 v14, v29, v33, v14
	;;#ASMEND
	s_wait_dscnt 0x2
	;;#ASMSTART
	v_dot2_f32_f16 v11, v26, v34, v11
	;;#ASMEND
	;;#ASMSTART
	v_dot2_f32_f16 v11, v27, v35, v11
	;;#ASMEND
	;;#ASMSTART
	v_dot2_f32_f16 v11, v28, v36, v11
	;;#ASMEND
	;;#ASMSTART
	v_dot2_f32_f16 v11, v29, v37, v11
	;;#ASMEND
	;; [unrolled: 13-line block ×4, first 2 shown]
	s_barrier_signal -1
	s_barrier_wait -1
	s_and_saveexec_b32 s6, s4
	s_cbranch_execz .LBB56_53
; %bb.52:
	v_mov_b32_e32 v19, v8
	s_delay_alu instid0(VALU_DEP_1) | instskip(NEXT) | instid1(VALU_DEP_1)
	v_add_nc_u64_e32 v[8:9], v[20:21], v[18:19]
	v_add_nc_u64_e32 v[18:19], 0xa0, v[8:9]
	v_mov_b32_e32 v8, 0
	s_delay_alu instid0(VALU_DEP_1) | instskip(NEXT) | instid1(VALU_DEP_3)
	v_dual_mov_b32 v9, v8 :: v_dual_mov_b32 v10, v8
	v_dual_cndmask_b32 v19, v17, v19 :: v_dual_cndmask_b32 v18, v16, v18
	s_clause 0x1
	scratch_store_b32 off, v8, off
	scratch_store_b96 off, v[8:10], off offset:4
	flat_load_b128 v[18:21], v[18:19]
	s_wait_loadcnt_dscnt 0x0
	ds_store_b128 v15, v[18:21]
.LBB56_53:
	s_wait_xcnt 0x0
	s_or_b32 exec_lo, exec_lo, s6
	s_and_saveexec_b32 s4, s5
	s_cbranch_execz .LBB56_55
; %bb.54:
	v_mov_b32_e32 v8, 0
	s_delay_alu instid0(VALU_DEP_1) | instskip(NEXT) | instid1(VALU_DEP_1)
	v_mov_b32_e32 v45, v8
	v_add_nc_u64_e32 v[18:19], v[22:23], v[44:45]
	s_delay_alu instid0(VALU_DEP_1) | instskip(NEXT) | instid1(VALU_DEP_1)
	v_add_nc_u64_e32 v[18:19], 0x60, v[18:19]
	v_dual_cndmask_b32 v17, v17, v19, s3 :: v_dual_mov_b32 v9, v8
	v_mov_b32_e32 v10, v8
	s_delay_alu instid0(VALU_DEP_3)
	v_cndmask_b32_e64 v16, v16, v18, s3
	s_clause 0x1
	scratch_store_b32 off, v8, off
	scratch_store_b96 off, v[8:10], off offset:4
	flat_load_b128 v[16:19], v[16:17]
	s_wait_loadcnt_dscnt 0x0
	ds_store_b128 v24, v[16:19]
.LBB56_55:
	s_wait_xcnt 0x0
	s_or_b32 exec_lo, exec_lo, s4
	s_wait_storecnt_dscnt 0x0
	s_barrier_signal -1
	s_barrier_wait -1
	ds_load_b128 v[16:19], v115 offset:6144
	ds_load_b128 v[20:23], v116 offset:96
	;; [unrolled: 1-line block ×5, first 2 shown]
	s_cmp_lg_u64 s[36:37], 0
	v_cmp_gt_i32_e64 s4, s8, v79
	s_cselect_b32 s6, -1, 0
	v_dual_mov_b32 v8, v4 :: v_dual_add_nc_u32 v15, s28, v79
	s_wait_dscnt 0x3
	;;#ASMSTART
	v_dot2_f32_f16 v14, v16, v20, v14
	;;#ASMEND
	;;#ASMSTART
	v_dot2_f32_f16 v14, v17, v21, v14
	;;#ASMEND
	;;#ASMSTART
	v_dot2_f32_f16 v14, v18, v22, v14
	;;#ASMEND
	;;#ASMSTART
	v_dot2_f32_f16 v14, v19, v23, v14
	;;#ASMEND
	s_wait_dscnt 0x2
	;;#ASMSTART
	v_dot2_f32_f16 v11, v16, v24, v11
	;;#ASMEND
	;;#ASMSTART
	v_dot2_f32_f16 v11, v17, v25, v11
	;;#ASMEND
	;;#ASMSTART
	v_dot2_f32_f16 v11, v18, v26, v11
	;;#ASMEND
	;;#ASMSTART
	v_dot2_f32_f16 v11, v19, v27, v11
	;;#ASMEND
	s_wait_dscnt 0x1
	;;#ASMSTART
	v_dot2_f32_f16 v12, v16, v28, v12
	;;#ASMEND
	;;#ASMSTART
	v_dot2_f32_f16 v12, v17, v29, v12
	;;#ASMEND
	;;#ASMSTART
	v_dot2_f32_f16 v12, v18, v30, v12
	;;#ASMEND
	;;#ASMSTART
	v_dot2_f32_f16 v12, v19, v31, v12
	;;#ASMEND
	s_wait_dscnt 0x0
	;;#ASMSTART
	v_dot2_f32_f16 v13, v16, v32, v13
	;;#ASMEND
	;;#ASMSTART
	v_dot2_f32_f16 v13, v17, v33, v13
	;;#ASMEND
	;;#ASMSTART
	v_dot2_f32_f16 v13, v18, v34, v13
	;;#ASMEND
	;;#ASMSTART
	v_dot2_f32_f16 v13, v19, v35, v13
	;;#ASMEND
	ds_load_b128 v[16:19], v115 offset:6160
	ds_load_b128 v[20:23], v116 offset:112
	ds_load_b128 v[24:27], v116 offset:304
	ds_load_b128 v[28:31], v116 offset:496
	ds_load_b128 v[32:35], v116 offset:688
	s_wait_dscnt 0x3
	;;#ASMSTART
	v_dot2_f32_f16 v14, v16, v20, v14
	;;#ASMEND
	;;#ASMSTART
	v_dot2_f32_f16 v14, v17, v21, v14
	;;#ASMEND
	;;#ASMSTART
	v_dot2_f32_f16 v14, v18, v22, v14
	;;#ASMEND
	;;#ASMSTART
	v_dot2_f32_f16 v14, v19, v23, v14
	;;#ASMEND
	s_wait_dscnt 0x2
	;;#ASMSTART
	v_dot2_f32_f16 v11, v16, v24, v11
	;;#ASMEND
	;;#ASMSTART
	v_dot2_f32_f16 v11, v17, v25, v11
	;;#ASMEND
	;;#ASMSTART
	v_dot2_f32_f16 v11, v18, v26, v11
	;;#ASMEND
	;;#ASMSTART
	v_dot2_f32_f16 v11, v19, v27, v11
	;;#ASMEND
	s_wait_dscnt 0x1
	;;#ASMSTART
	v_dot2_f32_f16 v12, v16, v28, v12
	;;#ASMEND
	;;#ASMSTART
	v_dot2_f32_f16 v12, v17, v29, v12
	;;#ASMEND
	;;#ASMSTART
	v_dot2_f32_f16 v12, v18, v30, v12
	;;#ASMEND
	;;#ASMSTART
	v_dot2_f32_f16 v12, v19, v31, v12
	;;#ASMEND
	s_wait_dscnt 0x0
	;;#ASMSTART
	v_dot2_f32_f16 v13, v16, v32, v13
	;;#ASMEND
	;;#ASMSTART
	v_dot2_f32_f16 v13, v17, v33, v13
	;;#ASMEND
	;;#ASMSTART
	v_dot2_f32_f16 v13, v18, v34, v13
	;;#ASMEND
	;;#ASMSTART
	v_dot2_f32_f16 v13, v19, v35, v13
	;;#ASMEND
	ds_load_b128 v[16:19], v115 offset:6176
	ds_load_b128 v[20:23], v116 offset:128
	ds_load_b128 v[24:27], v116 offset:320
	ds_load_b128 v[28:31], v116 offset:512
	ds_load_b128 v[32:35], v116 offset:704
	;; [unrolled: 57-line block ×5, first 2 shown]
	s_wait_dscnt 0x3
	;;#ASMSTART
	v_dot2_f32_f16 v14, v22, v26, v14
	;;#ASMEND
	;;#ASMSTART
	v_dot2_f32_f16 v14, v23, v27, v14
	;;#ASMEND
	;; [unrolled: 3-line block ×4, first 2 shown]
	s_wait_dscnt 0x2
	;;#ASMSTART
	v_dot2_f32_f16 v11, v22, v30, v11
	;;#ASMEND
	v_mov_b64_e32 v[18:19], v[6:7]
	;;#ASMSTART
	v_dot2_f32_f16 v11, v23, v31, v11
	;;#ASMEND
	v_mov_b64_e32 v[16:17], v[4:5]
	;;#ASMSTART
	v_dot2_f32_f16 v11, v24, v32, v11
	;;#ASMEND
	;;#ASMSTART
	v_dot2_f32_f16 v11, v25, v33, v11
	;;#ASMEND
	s_wait_dscnt 0x1
	;;#ASMSTART
	v_dot2_f32_f16 v12, v22, v34, v12
	;;#ASMEND
	v_cndmask_b32_e64 v20, 0, 1, s6
	;;#ASMSTART
	v_dot2_f32_f16 v12, v23, v35, v12
	;;#ASMEND
	;;#ASMSTART
	v_dot2_f32_f16 v12, v24, v36, v12
	;;#ASMEND
	;;#ASMSTART
	v_dot2_f32_f16 v12, v25, v37, v12
	;;#ASMEND
	s_wait_dscnt 0x0
	;;#ASMSTART
	v_dot2_f32_f16 v13, v22, v38, v13
	;;#ASMEND
	;;#ASMSTART
	v_dot2_f32_f16 v13, v23, v39, v13
	;;#ASMEND
	;; [unrolled: 3-line block ×4, first 2 shown]
	s_and_saveexec_b32 s5, s4
	s_cbranch_execz .LBB56_60
; %bb.56:
	s_and_not1_b32 vcc_lo, exec_lo, s6
	s_cbranch_vccnz .LBB56_58
; %bb.57:
	v_mov_b32_e32 v75, 0
	s_delay_alu instid0(VALU_DEP_1) | instskip(NEXT) | instid1(VALU_DEP_1)
	v_mul_u64_e32 v[8:9], s[30:31], v[74:75]
	v_add_nc_u32_e32 v8, v74, v9
	s_delay_alu instid0(VALU_DEP_1) | instskip(NEXT) | instid1(VALU_DEP_1)
	v_lshrrev_b32_e32 v8, s25, v8
	v_mul_lo_u32 v8, v8, s26
	s_delay_alu instid0(VALU_DEP_1) | instskip(NEXT) | instid1(VALU_DEP_1)
	v_sub_nc_u32_e32 v8, v74, v8
	v_mad_u32 v8, v8, s48, v15
	global_load_u16 v8, v8, s[36:37] scale_offset
	s_wait_loadcnt 0x0
	v_cvt_f32_f16_e32 v8, v8
	s_delay_alu instid0(VALU_DEP_1)
	v_mul_f32_e32 v8, v113, v8
	s_branch .LBB56_59
.LBB56_58:
	v_mov_b32_e32 v8, 0
.LBB56_59:
	s_delay_alu instid0(VALU_DEP_1) | instskip(SKIP_3) | instid1(VALU_DEP_4)
	v_add_f32_e32 v14, v14, v8
	v_max_num_f32_e32 v8, v4, v4
	v_mov_b64_e32 v[18:19], v[6:7]
	v_mov_b64_e32 v[16:17], v[4:5]
	v_add_f32_e32 v9, 0x40051340, v14
	s_delay_alu instid0(VALU_DEP_1)
	v_max_num_f32_e32 v8, v8, v9
.LBB56_60:
	s_or_b32 exec_lo, exec_lo, s5
	v_xor_b32_e32 v60, 16, v103
	v_xor_b32_e32 v59, 8, v103
	;; [unrolled: 1-line block ×3, first 2 shown]
	v_dual_mov_b32 v55, 32 :: v_dual_bitop2_b32 v56, 1, v103 bitop3:0x14
	s_delay_alu instid0(VALU_DEP_4) | instskip(SKIP_2) | instid1(VALU_DEP_2)
	v_cmp_gt_i32_e32 vcc_lo, 32, v60
	v_cndmask_b32_e32 v9, v103, v60, vcc_lo
	v_cmp_gt_i32_e32 vcc_lo, 32, v59
	v_lshlrev_b32_e32 v16, 2, v9
	ds_bpermute_b32 v9, v16, v8
	v_cndmask_b32_e32 v10, v103, v59, vcc_lo
	v_cmp_gt_i32_e32 vcc_lo, 32, v58
	s_wait_dscnt 0x0
	v_dual_max_num_f32 v9, v9, v9 :: v_dual_max_num_f32 v8, v8, v8
	s_delay_alu instid0(VALU_DEP_1) | instskip(SKIP_3) | instid1(VALU_DEP_1)
	v_dual_max_num_f32 v8, v8, v9 :: v_dual_lshlrev_b32 v21, 2, v10
	ds_bpermute_b32 v9, v21, v8
	s_wait_dscnt 0x0
	v_dual_cndmask_b32 v10, v103, v58 :: v_dual_max_num_f32 v9, v9, v9
	v_dual_lshlrev_b32 v22, 2, v10 :: v_dual_max_num_f32 v8, v8, v9
	ds_bpermute_b32 v9, v22, v8
	s_wait_dscnt 0x0
	v_dual_max_num_f32 v9, v9, v9 :: v_dual_bitop2_b32 v57, 2, v103 bitop3:0x14
	s_delay_alu instid0(VALU_DEP_1) | instskip(NEXT) | instid1(VALU_DEP_2)
	v_cmp_gt_i32_e32 vcc_lo, 32, v57
	v_max_num_f32_e32 v8, v8, v9
	v_cndmask_b32_e32 v10, v103, v57, vcc_lo
	v_cmp_gt_i32_e32 vcc_lo, 32, v56
	s_delay_alu instid0(VALU_DEP_2) | instskip(SKIP_3) | instid1(VALU_DEP_1)
	v_lshlrev_b32_e32 v23, 2, v10
	ds_bpermute_b32 v9, v23, v8
	s_wait_dscnt 0x0
	v_dual_cndmask_b32 v10, v103, v56 :: v_dual_max_num_f32 v9, v9, v9
	v_dual_lshlrev_b32 v24, 2, v10 :: v_dual_max_num_f32 v8, v8, v9
	ds_bpermute_b32 v9, v24, v8
	s_wait_dscnt 0x0
	v_max_num_f32_e32 v9, v9, v9
	s_delay_alu instid0(VALU_DEP_1)
	v_max_num_f32_e32 v8, v8, v9
	s_and_saveexec_b32 s5, s4
	s_cbranch_execz .LBB56_65
; %bb.61:
	v_cmp_ne_u32_e32 vcc_lo, 1, v20
	s_cbranch_vccnz .LBB56_63
; %bb.62:
	v_dual_mov_b32 v27, 0 :: v_dual_bitop2_b32 v26, 1, v74 bitop3:0x54
	s_delay_alu instid0(VALU_DEP_1) | instskip(NEXT) | instid1(VALU_DEP_1)
	v_mul_u64_e32 v[28:29], s[30:31], v[26:27]
	v_add_nc_u32_e32 v9, v26, v29
	s_delay_alu instid0(VALU_DEP_1) | instskip(NEXT) | instid1(VALU_DEP_1)
	v_lshrrev_b32_e32 v9, s25, v9
	v_mul_lo_u32 v9, v9, s26
	s_delay_alu instid0(VALU_DEP_1) | instskip(NEXT) | instid1(VALU_DEP_1)
	v_sub_nc_u32_e32 v9, v26, v9
	v_mad_u32 v9, v9, s48, v15
	global_load_u16 v9, v9, s[36:37] scale_offset
	s_wait_loadcnt 0x0
	v_cvt_f32_f16_e32 v9, v9
	s_delay_alu instid0(VALU_DEP_1)
	v_mul_f32_e32 v9, v113, v9
	s_branch .LBB56_64
.LBB56_63:
	v_mov_b32_e32 v9, 0
.LBB56_64:
	v_max_num_f32_e32 v10, v17, v17
	s_delay_alu instid0(VALU_DEP_2) | instskip(NEXT) | instid1(VALU_DEP_1)
	v_add_f32_e32 v11, v11, v9
	v_add_f32_e32 v9, 0x40051340, v11
	s_delay_alu instid0(VALU_DEP_1)
	v_max_num_f32_e32 v17, v10, v9
.LBB56_65:
	s_or_b32 exec_lo, exec_lo, s5
	ds_bpermute_b32 v9, v16, v17
	v_max_num_f32_e32 v10, v17, v17
	s_wait_dscnt 0x0
	v_max_num_f32_e32 v9, v9, v9
	s_delay_alu instid0(VALU_DEP_1) | instskip(SKIP_3) | instid1(VALU_DEP_1)
	v_max_num_f32_e32 v9, v10, v9
	ds_bpermute_b32 v10, v21, v9
	s_wait_dscnt 0x0
	v_max_num_f32_e32 v10, v10, v10
	v_max_num_f32_e32 v9, v9, v10
	ds_bpermute_b32 v10, v22, v9
	s_wait_dscnt 0x0
	v_max_num_f32_e32 v10, v10, v10
	s_delay_alu instid0(VALU_DEP_1) | instskip(SKIP_3) | instid1(VALU_DEP_1)
	v_max_num_f32_e32 v9, v9, v10
	ds_bpermute_b32 v10, v23, v9
	s_wait_dscnt 0x0
	v_max_num_f32_e32 v10, v10, v10
	v_max_num_f32_e32 v9, v9, v10
	ds_bpermute_b32 v10, v24, v9
	s_wait_dscnt 0x0
	v_max_num_f32_e32 v10, v10, v10
	s_delay_alu instid0(VALU_DEP_1)
	v_max_num_f32_e32 v9, v9, v10
	s_and_saveexec_b32 s5, s4
	s_cbranch_execz .LBB56_70
; %bb.66:
	v_cmp_ne_u32_e32 vcc_lo, 1, v20
	s_cbranch_vccnz .LBB56_68
; %bb.67:
	v_dual_mov_b32 v27, 0 :: v_dual_bitop2_b32 v26, 2, v74 bitop3:0x54
	s_delay_alu instid0(VALU_DEP_1) | instskip(NEXT) | instid1(VALU_DEP_1)
	v_mul_u64_e32 v[28:29], s[30:31], v[26:27]
	v_add_nc_u32_e32 v10, v26, v29
	s_delay_alu instid0(VALU_DEP_1) | instskip(NEXT) | instid1(VALU_DEP_1)
	v_lshrrev_b32_e32 v10, s25, v10
	v_mul_lo_u32 v10, v10, s26
	s_delay_alu instid0(VALU_DEP_1) | instskip(NEXT) | instid1(VALU_DEP_1)
	v_sub_nc_u32_e32 v10, v26, v10
	v_mad_u32 v10, v10, s48, v15
	global_load_u16 v10, v10, s[36:37] scale_offset
	s_wait_loadcnt 0x0
	v_cvt_f32_f16_e32 v10, v10
	s_delay_alu instid0(VALU_DEP_1)
	v_mul_f32_e32 v10, v113, v10
	s_branch .LBB56_69
.LBB56_68:
	v_mov_b32_e32 v10, 0
.LBB56_69:
	v_max_num_f32_e32 v17, v18, v18
	s_delay_alu instid0(VALU_DEP_2) | instskip(NEXT) | instid1(VALU_DEP_1)
	v_add_f32_e32 v12, v12, v10
	v_add_f32_e32 v10, 0x40051340, v12
	s_delay_alu instid0(VALU_DEP_1)
	v_max_num_f32_e32 v18, v17, v10
.LBB56_70:
	s_or_b32 exec_lo, exec_lo, s5
	ds_bpermute_b32 v10, v16, v18
	v_max_num_f32_e32 v17, v18, v18
	s_wait_dscnt 0x0
	v_max_num_f32_e32 v10, v10, v10
	s_delay_alu instid0(VALU_DEP_1) | instskip(SKIP_3) | instid1(VALU_DEP_1)
	v_max_num_f32_e32 v10, v17, v10
	ds_bpermute_b32 v17, v21, v10
	s_wait_dscnt 0x0
	v_max_num_f32_e32 v17, v17, v17
	v_max_num_f32_e32 v10, v10, v17
	ds_bpermute_b32 v17, v22, v10
	s_wait_dscnt 0x0
	v_max_num_f32_e32 v17, v17, v17
	s_delay_alu instid0(VALU_DEP_1) | instskip(SKIP_3) | instid1(VALU_DEP_1)
	v_max_num_f32_e32 v10, v10, v17
	ds_bpermute_b32 v17, v23, v10
	s_wait_dscnt 0x0
	v_max_num_f32_e32 v17, v17, v17
	v_max_num_f32_e32 v10, v10, v17
	ds_bpermute_b32 v17, v24, v10
	s_wait_dscnt 0x0
	v_max_num_f32_e32 v17, v17, v17
	s_delay_alu instid0(VALU_DEP_1)
	v_max_num_f32_e32 v10, v10, v17
	s_and_saveexec_b32 s5, s4
	s_cbranch_execz .LBB56_75
; %bb.71:
	v_cmp_ne_u32_e32 vcc_lo, 1, v20
	s_cbranch_vccnz .LBB56_73
; %bb.72:
	v_dual_mov_b32 v27, 0 :: v_dual_bitop2_b32 v26, 3, v74 bitop3:0x54
	s_delay_alu instid0(VALU_DEP_1) | instskip(NEXT) | instid1(VALU_DEP_1)
	v_mul_u64_e32 v[28:29], s[30:31], v[26:27]
	v_add_nc_u32_e32 v17, v26, v29
	s_delay_alu instid0(VALU_DEP_1) | instskip(NEXT) | instid1(VALU_DEP_1)
	v_lshrrev_b32_e32 v17, s25, v17
	v_mul_lo_u32 v17, v17, s26
	s_delay_alu instid0(VALU_DEP_1) | instskip(NEXT) | instid1(VALU_DEP_1)
	v_sub_nc_u32_e32 v17, v26, v17
	v_mad_u32 v15, v17, s48, v15
	global_load_u16 v15, v15, s[36:37] scale_offset
	s_wait_loadcnt 0x0
	v_cvt_f32_f16_e32 v15, v15
	s_delay_alu instid0(VALU_DEP_1)
	v_mul_f32_e32 v15, v113, v15
	s_branch .LBB56_74
.LBB56_73:
	v_mov_b32_e32 v15, 0
.LBB56_74:
	s_delay_alu instid0(VALU_DEP_1) | instskip(SKIP_1) | instid1(VALU_DEP_2)
	v_add_f32_e32 v13, v13, v15
	v_max_num_f32_e32 v17, v19, v19
	v_add_f32_e32 v15, 0x40051340, v13
	s_delay_alu instid0(VALU_DEP_1)
	v_max_num_f32_e32 v19, v17, v15
.LBB56_75:
	s_or_b32 exec_lo, exec_lo, s5
	ds_bpermute_b32 v15, v16, v19
	v_dual_max_num_f32 v16, v19, v19 :: v_dual_sub_f32 v14, v14, v8
	v_sub_f32_e32 v18, v11, v9
	v_mbcnt_lo_u32_b32 v20, -1, 0
	v_mul_lo_u32 v48, s14, v54
	s_ashr_i32 s15, s14, 31
	v_cmp_ngt_f32_e32 vcc_lo, 0xc2ce8ed0, v14
	s_mul_u64 s[6:7], s[28:29], s[14:15]
	s_wait_dscnt 0x0
	s_lshl_b64 s[6:7], s[6:7], 2
	s_barrier_signal -1
	s_add_nc_u64 s[6:7], s[18:19], s[6:7]
	s_barrier_wait -1
	s_delay_alu instid0(VALU_DEP_2) | instskip(SKIP_1) | instid1(VALU_DEP_1)
	v_dual_sub_f32 v12, v12, v10 :: v_dual_ashrrev_i32 v49, 31, v48
	v_dual_add_nc_u32 v19, v104, v102 :: v_dual_max_num_f32 v15, v15, v15
	v_max_num_f32_e32 v15, v16, v15
	ds_bpermute_b32 v16, v21, v15
	v_mul_u32_u24_e32 v21, 0xc0, v54
	s_delay_alu instid0(VALU_DEP_1) | instskip(SKIP_1) | instid1(VALU_DEP_1)
	v_lshl_or_b32 v21, v78, 2, v21
	s_wait_dscnt 0x0
	v_dual_max_num_f32 v16, v16, v16 :: v_dual_add_nc_u32 v67, 0x1880, v21
	s_delay_alu instid0(VALU_DEP_1) | instskip(SKIP_3) | instid1(VALU_DEP_1)
	v_max_num_f32_e32 v15, v15, v16
	ds_bpermute_b32 v16, v22, v15
	s_wait_dscnt 0x0
	v_max_num_f32_e32 v16, v16, v16
	v_max_num_f32_e32 v15, v15, v16
	ds_bpermute_b32 v16, v23, v15
	v_mul_f32_e32 v23, 0x3fb8aa3b, v12
	s_delay_alu instid0(VALU_DEP_1) | instskip(SKIP_1) | instid1(VALU_DEP_2)
	v_fma_f32 v27, 0x3fb8aa3b, v12, -v23
	v_rndne_f32_e32 v28, v23
	v_fmac_f32_e32 v27, 0x32a5705f, v12
	s_delay_alu instid0(VALU_DEP_2) | instskip(SKIP_3) | instid1(VALU_DEP_1)
	v_sub_f32_e32 v23, v23, v28
	v_cvt_i32_f32_e32 v28, v28
	s_wait_dscnt 0x0
	v_max_num_f32_e32 v16, v16, v16
	v_dual_max_num_f32 v15, v15, v16 :: v_dual_mov_b32 v16, 0
	ds_bpermute_b32 v17, v24, v15
	s_wait_dscnt 0x0
	v_dual_mul_f32 v22, 0x3fb8aa3b, v14 :: v_dual_max_num_f32 v11, v17, v17
	s_delay_alu instid0(VALU_DEP_1) | instskip(SKIP_2) | instid1(VALU_DEP_3)
	v_fma_f32 v24, 0x3fb8aa3b, v14, -v22
	v_rndne_f32_e32 v25, v22
	v_mul_f32_e32 v17, 0x3fb8aa3b, v18
	v_dual_max_num_f32 v11, v15, v11 :: v_dual_fmac_f32 v24, 0x32a5705f, v14
	s_delay_alu instid0(VALU_DEP_3) | instskip(NEXT) | instid1(VALU_DEP_3)
	v_sub_f32_e32 v22, v22, v25
	v_fma_f32 v15, 0x3fb8aa3b, v18, -v17
	v_rndne_f32_e32 v26, v17
	s_delay_alu instid0(VALU_DEP_4) | instskip(SKIP_1) | instid1(VALU_DEP_4)
	v_sub_f32_e32 v13, v13, v11
	v_cvt_i32_f32_e32 v25, v25
	v_dual_add_f32 v22, v22, v24 :: v_dual_fmac_f32 v15, 0x32a5705f, v18
	s_delay_alu instid0(VALU_DEP_4) | instskip(SKIP_2) | instid1(VALU_DEP_4)
	v_sub_f32_e32 v17, v17, v26
	v_cvt_i32_f32_e32 v26, v26
	v_cmp_ngt_f32_e64 s4, 0xc2ce8ed0, v13
	v_exp_f32_e32 v22, v22
	s_delay_alu instid0(VALU_DEP_3) | instskip(SKIP_1) | instid1(VALU_DEP_1)
	v_add_f32_e32 v15, v17, v15
	v_add_f32_e32 v17, v23, v27
	v_exp_f32_e32 v27, v17
	v_nop
	v_lshlrev_b32_e32 v17, 20, v20
	s_delay_alu instid0(TRANS32_DEP_2) | instskip(NEXT) | instid1(VALU_DEP_1)
	v_ldexp_f32 v20, v22, v25
	v_dual_mul_f32 v29, 0x3fb8aa3b, v13 :: v_dual_cndmask_b32 v20, 0, v20
	s_delay_alu instid0(VALU_DEP_1) | instskip(SKIP_3) | instid1(VALU_DEP_3)
	v_fma_f32 v24, 0x3fb8aa3b, v13, -v29
	v_rndne_f32_e32 v30, v29
	v_cmp_ngt_f32_e32 vcc_lo, 0xc2ce8ed0, v18
	v_ldexp_f32 v22, v27, v28
	v_dual_fmac_f32 v24, 0x32a5705f, v13 :: v_dual_sub_f32 v23, v29, v30
	s_delay_alu instid0(VALU_DEP_1) | instskip(SKIP_2) | instid1(VALU_DEP_2)
	v_add_f32_e32 v23, v23, v24
	v_exp_f32_e32 v15, v15
	v_cvt_i32_f32_e32 v24, v30
	v_exp_f32_e32 v23, v23
	s_delay_alu instid0(TRANS32_DEP_2) | instskip(NEXT) | instid1(TRANS32_DEP_1)
	v_ldexp_f32 v15, v15, v26
	v_ldexp_f32 v23, v23, v24
	s_delay_alu instid0(VALU_DEP_2)
	v_cndmask_b32_e32 v15, 0, v15, vcc_lo
	v_cmp_ngt_f32_e32 vcc_lo, 0xc2ce8ed0, v12
	v_add_nc_u64_e32 v[46:47], src_flat_scratch_base_lo, v[16:17]
	v_cndmask_b32_e32 v22, 0, v22, vcc_lo
	v_cmp_nlt_f32_e32 vcc_lo, 0x42b17218, v14
	v_cndmask_b32_e32 v14, 0x7f800000, v20, vcc_lo
	v_cmp_gt_u32_e32 vcc_lo, s8, v79
	v_cndmask_b32_e64 v20, 0, v23, s4
	v_cmp_nlt_f32_e64 s4, 0x42b17218, v18
	s_delay_alu instid0(VALU_DEP_1) | instskip(SKIP_2) | instid1(VALU_DEP_2)
	v_cndmask_b32_e64 v15, 0x7f800000, v15, s4
	v_cmp_nlt_f32_e64 s4, 0x42b17218, v12
	v_cndmask_b32_e32 v12, 0, v14, vcc_lo
	v_cndmask_b32_e64 v18, 0x7f800000, v22, s4
	v_cmp_nlt_f32_e64 s4, 0x42b17218, v13
	s_delay_alu instid0(VALU_DEP_2) | instskip(NEXT) | instid1(VALU_DEP_2)
	v_cndmask_b32_e32 v14, 0, v18, vcc_lo
	v_cndmask_b32_e64 v20, 0x7f800000, v20, s4
	v_cndmask_b32_e32 v13, 0, v15, vcc_lo
	v_cmp_gt_u32_e64 s4, 16, v54
	s_delay_alu instid0(VALU_DEP_3) | instskip(NEXT) | instid1(VALU_DEP_3)
	v_cndmask_b32_e32 v15, 0, v20, vcc_lo
	v_cvt_pk_f16_f32 v16, v12, v13
	s_delay_alu instid0(VALU_DEP_2)
	v_cvt_pk_f16_f32 v17, v14, v15
	ds_store_b64 v19, v[16:17]
	s_and_saveexec_b32 s5, s4
	s_cbranch_execz .LBB56_77
; %bb.76:
	v_mov_b32_e32 v16, 0
	v_lshl_add_u64 v[18:19], v[48:49], 2, s[6:7]
	s_delay_alu instid0(VALU_DEP_2) | instskip(NEXT) | instid1(VALU_DEP_1)
	v_mov_b32_e32 v45, v16
	v_add_nc_u64_e32 v[18:19], v[18:19], v[44:45]
	s_delay_alu instid0(VALU_DEP_1) | instskip(NEXT) | instid1(VALU_DEP_1)
	v_add_nc_u64_e32 v[20:21], 0x80, v[18:19]
	v_dual_cndmask_b32 v21, v47, v21, s3 :: v_dual_mov_b32 v17, v16
	s_delay_alu instid0(VALU_DEP_2)
	v_dual_mov_b32 v18, v16 :: v_dual_cndmask_b32 v20, v46, v20, s3
	s_clause 0x1
	scratch_store_b32 off, v16, off
	scratch_store_b96 off, v[16:18], off offset:4
	flat_load_b128 v[16:19], v[20:21]
	s_wait_loadcnt_dscnt 0x0
	ds_store_b128 v67, v[16:19]
.LBB56_77:
	s_wait_xcnt 0x0
	s_or_b32 exec_lo, exec_lo, s5
	v_dual_add_nc_u32 v65, v114, v101 :: v_dual_lshlrev_b32 v50, 2, v76
	s_delay_alu instid0(VALU_DEP_1) | instskip(SKIP_3) | instid1(VALU_DEP_3)
	v_mul_lo_u32 v52, s14, v65
	v_mul_u32_u24_e32 v17, 0xc0, v65
	v_cmp_gt_u32_e32 vcc_lo, 16, v65
	v_mov_b32_e32 v16, 0
	v_add3_u32 v66, v17, v50, 0x1800
	v_ashrrev_i32_e32 v53, 31, v52
	s_and_saveexec_b32 s5, vcc_lo
	s_cbranch_execz .LBB56_79
; %bb.78:
	s_delay_alu instid0(VALU_DEP_1) | instskip(SKIP_2) | instid1(VALU_DEP_2)
	v_lshl_add_u64 v[18:19], v[52:53], 2, s[6:7]
	v_dual_mov_b32 v51, v16 :: v_dual_mov_b32 v17, v16
	v_cmp_gt_i32_e64 s3, s8, v65
	v_add_nc_u64_e32 v[20:21], v[18:19], v[50:51]
	s_delay_alu instid0(VALU_DEP_1) | instskip(NEXT) | instid1(VALU_DEP_2)
	v_dual_mov_b32 v18, v16 :: v_dual_cndmask_b32 v21, v47, v21, s3
	v_cndmask_b32_e64 v20, v46, v20, s3
	s_clause 0x1
	scratch_store_b32 off, v16, off
	scratch_store_b96 off, v[16:18], off offset:4
	flat_load_b128 v[16:19], v[20:21]
	s_wait_loadcnt_dscnt 0x0
	ds_store_b128 v66, v[16:19]
.LBB56_79:
	s_wait_xcnt 0x0
	s_or_b32 exec_lo, exec_lo, s5
	v_dual_sub_f32 v4, v4, v8 :: v_dual_sub_f32 v16, v5, v9
	v_dual_sub_f32 v17, v6, v10 :: v_dual_sub_f32 v18, v7, v11
	s_wait_storecnt_dscnt 0x0
	s_delay_alu instid0(VALU_DEP_2) | instskip(NEXT) | instid1(VALU_DEP_2)
	v_cmp_ngt_f32_e64 s3, 0xc2ce8ed0, v4
	v_dual_mul_f32 v6, 0x3fb8aa3b, v16 :: v_dual_mul_f32 v7, 0x3fb8aa3b, v17
	s_delay_alu instid0(VALU_DEP_3) | instskip(SKIP_2) | instid1(VALU_DEP_2)
	v_mul_f32_e32 v19, 0x3fb8aa3b, v18
	s_barrier_signal -1
	s_barrier_wait -1
	v_rndne_f32_e32 v23, v6
	v_mul_f32_e32 v5, 0x3fb8aa3b, v4
	v_fma_f32 v22, 0x3fb8aa3b, v16, -v6
	v_fma_f32 v24, 0x3fb8aa3b, v17, -v7
	v_rndne_f32_e32 v25, v7
	v_sub_f32_e32 v6, v6, v23
	v_fma_f32 v20, 0x3fb8aa3b, v4, -v5
	v_rndne_f32_e32 v21, v5
	v_fma_f32 v26, 0x3fb8aa3b, v18, -v19
	v_rndne_f32_e32 v27, v19
	v_dual_fmac_f32 v22, 0x32a5705f, v16 :: v_dual_sub_f32 v7, v7, v25
	s_delay_alu instid0(VALU_DEP_4) | instskip(SKIP_1) | instid1(VALU_DEP_4)
	v_dual_fmac_f32 v20, 0x32a5705f, v4 :: v_dual_sub_f32 v5, v5, v21
	v_fmac_f32_e32 v24, 0x32a5705f, v17
	v_dual_fmac_f32 v26, 0x32a5705f, v18 :: v_dual_sub_f32 v19, v19, v27
	s_delay_alu instid0(VALU_DEP_3) | instskip(SKIP_1) | instid1(VALU_DEP_4)
	v_dual_add_f32 v6, v6, v22 :: v_dual_add_f32 v5, v5, v20
	v_cvt_i32_f32_e32 v20, v21
	v_add_f32_e32 v7, v7, v24
	v_cvt_i32_f32_e32 v21, v23
	s_delay_alu instid0(VALU_DEP_4)
	v_exp_f32_e32 v6, v6
	v_exp_f32_e32 v5, v5
	v_cvt_i32_f32_e32 v22, v27
	v_exp_f32_e32 v7, v7
	v_add_nc_u32_e32 v36, 0x1800, v102
	s_or_b32 s6, s28, 16
	s_delay_alu instid0(TRANS32_DEP_3) | instskip(NEXT) | instid1(TRANS32_DEP_2)
	v_ldexp_f32 v6, v6, v21
	v_ldexp_f32 v5, v5, v20
	v_add_f32_e32 v19, v19, v26
	v_cvt_i32_f32_e32 v20, v25
	s_ashr_i32 s7, s6, 31
	s_add_co_i32 s8, s8, -16
	v_cndmask_b32_e64 v5, 0, v5, s3
	v_cmp_nlt_f32_e64 s3, 0x42b17218, v4
	v_exp_f32_e32 v19, v19
	v_ldexp_f32 v7, v7, v20
	s_mul_u64 s[6:7], s[6:7], s[14:15]
	v_cndmask_b32_e64 v61, 0x7f800000, v5, s3
	v_cmp_ngt_f32_e64 s3, 0xc2ce8ed0, v16
	s_lshl_b64 s[6:7], s[6:7], 2
	s_delay_alu instid0(TRANS32_DEP_1) | instskip(SKIP_3) | instid1(VALU_DEP_1)
	v_ldexp_f32 v4, v19, v22
	s_add_nc_u64 s[6:7], s[18:19], s[6:7]
	v_cndmask_b32_e64 v19, 0, v6, s3
	v_cmp_ngt_f32_e64 s3, 0xc2ce8ed0, v17
	v_cndmask_b32_e64 v20, 0, v7, s3
	v_cmp_ngt_f32_e64 s3, 0xc2ce8ed0, v18
	s_delay_alu instid0(VALU_DEP_1) | instskip(SKIP_2) | instid1(VALU_DEP_1)
	v_cndmask_b32_e64 v21, 0, v4, s3
	ds_load_b128 v[4:7], v104
	v_cmp_nlt_f32_e64 s3, 0x42b17218, v16
	v_cndmask_b32_e64 v63, 0x7f800000, v19, s3
	v_cmp_nlt_f32_e64 s3, 0x42b17218, v17
	s_delay_alu instid0(VALU_DEP_1)
	v_cndmask_b32_e64 v64, 0x7f800000, v20, s3
	v_cmp_nlt_f32_e64 s3, 0x42b17218, v18
	ds_load_b128 v[16:19], v104 offset:16
	v_cvt_f16_f32_e32 v20, v61
	ds_load_2addr_b64 v[24:27], v36 offset1:24
	ds_load_b128 v[28:31], v104 offset:32
	ds_load_b128 v[32:35], v104 offset:48
	v_cvt_f16_f32_e32 v22, v64
	s_wait_dscnt 0x4
	v_lshrrev_b32_e32 v71, 16, v5
	v_cndmask_b32_e64 v62, 0x7f800000, v21, s3
	v_cvt_f16_f32_e32 v21, v63
	v_and_b32_e32 v51, 0xffff, v20
	v_and_b32_e32 v69, 0xffff, v22
	v_lshrrev_b32_e32 v76, 16, v4
	v_cvt_f16_f32_e32 v23, v62
	v_and_b32_e32 v68, 0xffff, v21
	v_and_b32_e32 v85, 0xffff, v4
	;; [unrolled: 1-line block ×3, first 2 shown]
	v_dual_lshrrev_b32 v78, 16, v6 :: v_dual_lshrrev_b32 v75, 16, v7
	v_and_b32_e32 v70, 0xffff, v23
	v_and_b32_e32 v86, 0xffff, v6
	;; [unrolled: 1-line block ×3, first 2 shown]
	ds_load_2addr_b64 v[20:23], v36 offset0:48 offset1:72
	s_wait_dscnt 0x4
	v_dual_lshrrev_b32 v87, 16, v16 :: v_dual_lshrrev_b32 v83, 16, v17
	v_and_b32_e32 v91, 0xffff, v16
	v_and_b32_e32 v89, 0xffff, v17
	v_dual_lshrrev_b32 v88, 16, v18 :: v_dual_lshrrev_b32 v84, 16, v19
	v_and_b32_e32 v92, 0xffff, v18
	v_and_b32_e32 v90, 0xffff, v19
	ds_load_2addr_b64 v[16:19], v36 offset0:96 offset1:120
	ds_load_b128 v[4:7], v104 offset:64
	ds_load_b128 v[40:43], v104 offset:80
	;; [unrolled: 1-line block ×3, first 2 shown]
	s_wait_dscnt 0x6
	v_dual_lshrrev_b32 v95, 16, v28 :: v_dual_lshrrev_b32 v93, 16, v29
	v_and_b32_e32 v114, 0xffff, v28
	v_and_b32_e32 v99, 0xffff, v29
	v_dual_lshrrev_b32 v96, 16, v30 :: v_dual_lshrrev_b32 v94, 16, v31
	v_and_b32_e32 v115, 0xffff, v30
	v_and_b32_e32 v113, 0xffff, v31
	ds_load_2addr_b64 v[28:31], v36 offset0:144 offset1:168
	s_wait_dscnt 0x6
	v_dual_lshrrev_b32 v98, 16, v32 :: v_dual_lshrrev_b32 v97, 16, v33
	v_and_b32_e32 v122, 0xffff, v32
	v_and_b32_e32 v120, 0xffff, v33
	v_dual_lshrrev_b32 v117, 16, v34 :: v_dual_lshrrev_b32 v116, 16, v35
	v_and_b32_e32 v123, 0xffff, v34
	v_and_b32_e32 v121, 0xffff, v35
	s_wait_dscnt 0x3
	v_dual_lshrrev_b32 v119, 16, v4 :: v_dual_lshrrev_b32 v118, 16, v5
	v_and_b32_e32 v129, 0xffff, v4
	v_add_nc_u32_e32 v4, 0x1c00, v102
	ds_load_2addr_b64 v[32:35], v36 offset0:192 offset1:216
	ds_load_2addr_b64 v[36:39], v4 offset0:112 offset1:136
	ds_load_b128 v[140:143], v104 offset:112
	v_add_nc_u32_e32 v4, 0x2000, v102
	v_and_b32_e32 v128, 0xffff, v5
	v_dual_lshrrev_b32 v127, 16, v6 :: v_dual_lshrrev_b32 v126, 16, v7
	v_and_b32_e32 v135, 0xffff, v6
	v_and_b32_e32 v130, 0xffff, v7
	s_wait_dscnt 0x5
	v_dual_lshrrev_b32 v145, 16, v40 :: v_dual_lshrrev_b32 v144, 16, v41
	v_and_b32_e32 v159, 0xffff, v40
	v_and_b32_e32 v154, 0xffff, v41
	v_dual_lshrrev_b32 v147, 16, v42 :: v_dual_lshrrev_b32 v146, 16, v43
	v_and_b32_e32 v163, 0xffff, v42
	v_and_b32_e32 v160, 0xffff, v43
	ds_load_2addr_b64 v[40:43], v4 offset0:32 offset1:56
	ds_load_2addr_b64 v[4:7], v4 offset0:80 offset1:104
	s_wait_dscnt 0x6
	v_dual_lshrrev_b32 v155, 16, v136 :: v_dual_lshrrev_b32 v148, 16, v137
	v_and_b32_e32 v165, 0xffff, v136
	v_and_b32_e32 v164, 0xffff, v137
	v_dual_lshrrev_b32 v156, 16, v138 :: v_dual_lshrrev_b32 v149, 16, v139
	v_and_b32_e32 v166, 0xffff, v138
	v_and_b32_e32 v167, 0xffff, v139
	s_wait_dscnt 0x2
	v_dual_lshrrev_b32 v161, 16, v140 :: v_dual_lshrrev_b32 v157, 16, v141
	v_and_b32_e32 v173, 0xffff, v140
	v_and_b32_e32 v168, 0xffff, v141
	v_dual_lshrrev_b32 v162, 16, v142 :: v_dual_lshrrev_b32 v158, 16, v143
	v_and_b32_e32 v174, 0xffff, v142
	v_and_b32_e32 v182, 0xffff, v143
	s_wait_dscnt 0x0
	s_barrier_signal -1
	s_barrier_wait -1
	s_and_saveexec_b32 s5, s4
	s_cbranch_execz .LBB56_81
; %bb.80:
	v_cmp_gt_i32_e64 s3, s8, v54
	v_mov_b32_e32 v132, 0
	v_lshl_add_u64 v[48:49], v[48:49], 2, s[6:7]
	s_delay_alu instid0(VALU_DEP_2) | instskip(NEXT) | instid1(VALU_DEP_1)
	v_mov_b32_e32 v45, v132
	v_add_nc_u64_e32 v[44:45], v[48:49], v[44:45]
	s_delay_alu instid0(VALU_DEP_1) | instskip(NEXT) | instid1(VALU_DEP_1)
	v_add_nc_u64_e32 v[44:45], 0x80, v[44:45]
	v_dual_cndmask_b32 v45, v47, v45, s3 :: v_dual_mov_b32 v133, v132
	s_delay_alu instid0(VALU_DEP_2)
	v_dual_mov_b32 v134, v132 :: v_dual_cndmask_b32 v44, v46, v44, s3
	s_clause 0x1
	scratch_store_b32 off, v132, off
	scratch_store_b96 off, v[132:134], off offset:4
	flat_load_b128 v[136:139], v[44:45]
	s_wait_loadcnt_dscnt 0x0
	ds_store_b128 v67, v[136:139]
.LBB56_81:
	s_wait_xcnt 0x0
	s_or_b32 exec_lo, exec_lo, s5
	v_mul_u32_u24_e32 v175, 0x10001, v51
	v_mul_u32_u24_e32 v176, 0x10001, v68
	;; [unrolled: 1-line block ×68, first 2 shown]
	s_and_saveexec_b32 s3, vcc_lo
	s_cbranch_execz .LBB56_83
; %bb.82:
	v_cmp_gt_i32_e32 vcc_lo, s8, v65
	v_mov_b32_e32 v126, 0
	v_lshl_add_u64 v[52:53], v[52:53], 2, s[6:7]
	s_delay_alu instid0(VALU_DEP_2) | instskip(NEXT) | instid1(VALU_DEP_1)
	v_mov_b32_e32 v51, v126
	v_add_nc_u64_e32 v[50:51], v[52:53], v[50:51]
	s_delay_alu instid0(VALU_DEP_1) | instskip(SKIP_1) | instid1(VALU_DEP_3)
	v_dual_cndmask_b32 v47, v47, v51, vcc_lo :: v_dual_mov_b32 v127, v126
	v_mov_b32_e32 v128, v126
	v_cndmask_b32_e32 v46, v46, v50, vcc_lo
	s_clause 0x1
	scratch_store_b32 off, v126, off
	scratch_store_b96 off, v[126:128], off offset:4
	flat_load_b128 v[50:53], v[46:47]
	s_wait_loadcnt_dscnt 0x0
	ds_store_b128 v66, v[50:53]
.LBB56_83:
	s_wait_xcnt 0x0
	s_or_b32 exec_lo, exec_lo, s3
	v_pk_mul_f16 v51, v24, v178
	v_pk_mul_f16 v46, v112, v175
	;; [unrolled: 1-line block ×8, first 2 shown]
	v_pk_fma_f16 v51, v111, v175, v51
	v_pk_fma_f16 v52, v109, v176, v52
	;; [unrolled: 1-line block ×111, first 2 shown]
	s_wait_storecnt_dscnt 0x0
	s_barrier_signal -1
	s_barrier_wait -1
	ds_load_b128 v[16:19], v104 offset:128
	v_pk_fma_f16 v20, v43, v71, v20
	v_pk_fma_f16 v22, v43, v75, v22
	;; [unrolled: 1-line block ×4, first 2 shown]
	v_dual_fmac_f32 v12, v0, v61 :: v_dual_add_nc_u32 v29, 0x1800, v102
	v_pk_fma_f16 v4, v4, v69, v24
	v_pk_fma_f16 v24, v5, v54, v25
	;; [unrolled: 1-line block ×6, first 2 shown]
	ds_load_2addr_b64 v[20:23], v29 offset1:24
	v_pk_fma_f16 v5, v5, v69, v26
	v_pk_fma_f16 v30, v6, v44, v27
	;; [unrolled: 1-line block ×7, first 2 shown]
	v_dual_fmac_f32 v13, v1, v63 :: v_dual_fmac_f32 v14, v2, v64
	ds_load_b128 v[4:7], v104 offset:144
	s_wait_dscnt 0x2
	v_and_b32_e32 v0, 0xffff, v16
	v_dual_lshrrev_b32 v1, 16, v16 :: v_dual_lshrrev_b32 v16, 16, v17
	v_and_b32_e32 v2, 0xffff, v17
	v_fmac_f32_e32 v15, v3, v62
	s_delay_alu instid0(VALU_DEP_4) | instskip(NEXT) | instid1(VALU_DEP_4)
	v_mul_u32_u24_e32 v17, 0x10001, v0
	v_mul_u32_u24_e32 v37, 0x10001, v1
	;; [unrolled: 1-line block ×4, first 2 shown]
	v_and_b32_e32 v16, 0xffff, v18
	s_wait_dscnt 0x1
	v_pk_fma_f16 v30, v20, v17, v30
	v_pk_fma_f16 v31, v20, v37, v31
	ds_load_b128 v[0:3], v104 offset:160
	ds_load_b128 v[24:27], v104 offset:176
	v_pk_fma_f16 v32, v20, v38, v32
	v_pk_fma_f16 v20, v20, v39, v33
	;; [unrolled: 1-line block ×3, first 2 shown]
	v_lshrrev_b32_e32 v17, 16, v18
	v_pk_fma_f16 v34, v21, v37, v35
	v_pk_fma_f16 v28, v21, v38, v28
	v_and_b32_e32 v35, 0xffff, v19
	v_lshrrev_b32_e32 v37, 16, v19
	v_mul_u32_u24_e32 v38, 0x10001, v16
	v_mul_u32_u24_e32 v40, 0x10001, v17
	ds_load_2addr_b64 v[16:19], v29 offset0:48 offset1:72
	v_mul_u32_u24_e32 v35, 0x10001, v35
	v_mul_u32_u24_e32 v37, 0x10001, v37
	v_pk_fma_f16 v21, v21, v39, v36
	v_pk_fma_f16 v30, v22, v38, v30
	;; [unrolled: 1-line block ×7, first 2 shown]
	s_wait_dscnt 0x3
	v_and_b32_e32 v34, 0xffff, v4
	v_lshrrev_b32_e32 v4, 16, v4
	v_and_b32_e32 v36, 0xffff, v5
	v_lshrrev_b32_e32 v5, 16, v5
	v_pk_fma_f16 v28, v23, v35, v28
	v_mul_u32_u24_e32 v34, 0x10001, v34
	v_mul_u32_u24_e32 v4, 0x10001, v4
	;; [unrolled: 1-line block ×4, first 2 shown]
	v_pk_fma_f16 v21, v23, v37, v21
	s_wait_dscnt 0x0
	v_pk_fma_f16 v23, v16, v34, v30
	v_pk_fma_f16 v30, v16, v4, v31
	;; [unrolled: 1-line block ×6, first 2 shown]
	v_and_b32_e32 v4, 0xffff, v6
	v_lshrrev_b32_e32 v5, 16, v6
	v_pk_fma_f16 v28, v17, v35, v28
	v_and_b32_e32 v32, 0xffff, v7
	v_lshrrev_b32_e32 v33, 16, v7
	v_mul_u32_u24_e32 v34, 0x10001, v4
	v_mul_u32_u24_e32 v35, 0x10001, v5
	ds_load_2addr_b64 v[4:7], v29 offset0:96 offset1:120
	v_mul_u32_u24_e32 v32, 0x10001, v32
	v_mul_u32_u24_e32 v33, 0x10001, v33
	v_pk_fma_f16 v17, v17, v36, v21
	v_pk_fma_f16 v21, v18, v34, v23
	;; [unrolled: 1-line block ×7, first 2 shown]
	v_and_b32_e32 v22, 0xffff, v0
	v_lshrrev_b32_e32 v0, 16, v0
	v_and_b32_e32 v31, 0xffff, v1
	v_lshrrev_b32_e32 v1, 16, v1
	v_pk_fma_f16 v28, v19, v32, v28
	v_mul_u32_u24_e32 v22, 0x10001, v22
	v_mul_u32_u24_e32 v0, 0x10001, v0
	;; [unrolled: 1-line block ×4, first 2 shown]
	v_pk_fma_f16 v17, v19, v33, v17
	s_wait_dscnt 0x0
	v_pk_fma_f16 v19, v4, v22, v21
	v_pk_fma_f16 v21, v4, v0, v23
	;; [unrolled: 1-line block ×6, first 2 shown]
	v_and_b32_e32 v0, 0xffff, v2
	v_lshrrev_b32_e32 v1, 16, v2
	v_pk_fma_f16 v20, v5, v31, v28
	v_and_b32_e32 v22, 0xffff, v3
	v_lshrrev_b32_e32 v28, 16, v3
	v_mul_u32_u24_e32 v30, 0x10001, v0
	v_mul_u32_u24_e32 v31, 0x10001, v1
	ds_load_2addr_b64 v[0:3], v29 offset0:144 offset1:168
	v_mul_u32_u24_e32 v22, 0x10001, v22
	v_mul_u32_u24_e32 v28, 0x10001, v28
	v_pk_fma_f16 v5, v5, v32, v17
	v_pk_fma_f16 v17, v6, v30, v19
	;; [unrolled: 1-line block ×7, first 2 shown]
	v_and_b32_e32 v18, 0xffff, v24
	v_lshrrev_b32_e32 v23, 16, v24
	v_and_b32_e32 v24, 0xffff, v25
	v_lshrrev_b32_e32 v25, 16, v25
	v_pk_fma_f16 v20, v7, v22, v20
	v_mul_u32_u24_e32 v18, 0x10001, v18
	v_mul_u32_u24_e32 v22, 0x10001, v23
	v_mul_u32_u24_e32 v23, 0x10001, v24
	v_mul_u32_u24_e32 v24, 0x10001, v25
	v_pk_fma_f16 v25, v7, v28, v5
	s_wait_dscnt 0x0
	v_pk_fma_f16 v28, v0, v18, v17
	v_pk_fma_f16 v30, v0, v22, v19
	;; [unrolled: 1-line block ×5, first 2 shown]
	ds_load_b128 v[4:7], v104 offset:192
	v_pk_fma_f16 v22, v1, v22, v16
	v_and_b32_e32 v16, 0xffff, v26
	v_lshrrev_b32_e32 v17, 16, v26
	v_and_b32_e32 v18, 0xffff, v27
	v_pk_fma_f16 v26, v1, v23, v20
	v_lshrrev_b32_e32 v20, 16, v27
	v_mul_u32_u24_e32 v23, 0x10001, v16
	v_mul_u32_u24_e32 v27, 0x10001, v17
	;; [unrolled: 1-line block ×3, first 2 shown]
	ds_load_2addr_b64 v[16:19], v29 offset0:192 offset1:216
	v_mul_u32_u24_e32 v29, 0x10001, v20
	v_pk_fma_f16 v1, v1, v24, v25
	v_pk_fma_f16 v24, v2, v23, v28
	;; [unrolled: 1-line block ×7, first 2 shown]
	ds_load_b128 v[20:23], v104 offset:208
	s_wait_dscnt 0x2
	v_and_b32_e32 v30, 0xffff, v4
	v_lshrrev_b32_e32 v4, 16, v4
	v_and_b32_e32 v31, 0xffff, v5
	v_lshrrev_b32_e32 v5, 16, v5
	v_pk_fma_f16 v29, v3, v29, v1
	v_mul_u32_u24_e32 v30, 0x10001, v30
	v_mul_u32_u24_e32 v4, 0x10001, v4
	;; [unrolled: 1-line block ×3, first 2 shown]
	v_lshrrev_b32_e32 v1, 16, v6
	v_mul_u32_u24_e32 v5, 0x10001, v5
	v_pk_fma_f16 v26, v3, v32, v26
	s_wait_dscnt 0x1
	v_pk_fma_f16 v24, v16, v30, v24
	v_pk_fma_f16 v25, v16, v4, v25
	;; [unrolled: 1-line block ×5, first 2 shown]
	v_and_b32_e32 v0, 0xffff, v6
	v_add_nc_u32_e32 v2, 0x1c00, v102
	v_pk_fma_f16 v4, v17, v4, v27
	v_pk_fma_f16 v26, v17, v31, v26
	v_and_b32_e32 v6, 0xffff, v7
	v_lshrrev_b32_e32 v7, 16, v7
	v_mul_u32_u24_e32 v27, 0x10001, v0
	v_mul_u32_u24_e32 v31, 0x10001, v1
	ds_load_2addr_b64 v[0:3], v2 offset0:112 offset1:136
	v_mul_u32_u24_e32 v6, 0x10001, v6
	v_mul_u32_u24_e32 v7, 0x10001, v7
	v_pk_fma_f16 v5, v17, v5, v29
	v_pk_fma_f16 v17, v18, v27, v24
	;; [unrolled: 1-line block ×6, first 2 shown]
	s_wait_dscnt 0x1
	v_and_b32_e32 v27, 0xffff, v20
	v_lshrrev_b32_e32 v20, 16, v20
	v_pk_fma_f16 v4, v19, v31, v4
	v_and_b32_e32 v28, 0xffff, v21
	v_lshrrev_b32_e32 v21, 16, v21
	v_pk_fma_f16 v26, v19, v6, v26
	v_mul_u32_u24_e32 v6, 0x10001, v27
	v_mul_u32_u24_e32 v20, 0x10001, v20
	;; [unrolled: 1-line block ×3, first 2 shown]
	v_pk_fma_f16 v28, v19, v7, v5
	s_wait_dscnt 0x0
	v_pk_fma_f16 v29, v0, v6, v17
	v_pk_fma_f16 v24, v0, v20, v24
	;; [unrolled: 1-line block ×4, first 2 shown]
	ds_load_b128 v[4:7], v104 offset:224
	v_lshrrev_b32_e32 v17, 16, v22
	v_mul_u32_u24_e32 v21, 0x10001, v21
	v_pk_fma_f16 v25, v0, v27, v25
	v_pk_fma_f16 v26, v1, v27, v26
	v_and_b32_e32 v18, 0xffff, v23
	v_add_nc_u32_e32 v27, 0x2000, v102
	v_pk_fma_f16 v0, v0, v21, v16
	v_and_b32_e32 v16, 0xffff, v22
	v_lshrrev_b32_e32 v22, 16, v23
	v_mul_u32_u24_e32 v31, 0x10001, v17
	v_mul_u32_u24_e32 v32, 0x10001, v18
	v_pk_fma_f16 v1, v1, v21, v28
	v_mul_u32_u24_e32 v23, 0x10001, v16
	ds_load_2addr_b64 v[16:19], v27 offset0:32 offset1:56
	v_mul_u32_u24_e32 v33, 0x10001, v22
	v_pk_fma_f16 v24, v2, v31, v24
	v_pk_fma_f16 v25, v2, v32, v25
	;; [unrolled: 1-line block ×6, first 2 shown]
	ds_load_b128 v[20:23], v104 offset:240
	s_wait_dscnt 0x2
	v_and_b32_e32 v30, 0xffff, v4
	v_lshrrev_b32_e32 v4, 16, v4
	v_and_b32_e32 v31, 0xffff, v5
	v_lshrrev_b32_e32 v5, 16, v5
	v_pk_fma_f16 v26, v3, v32, v26
	v_mul_u32_u24_e32 v30, 0x10001, v30
	v_mul_u32_u24_e32 v4, 0x10001, v4
	;; [unrolled: 1-line block ×3, first 2 shown]
	v_pk_fma_f16 v32, v3, v33, v1
	v_lshrrev_b32_e32 v1, 16, v6
	v_mul_u32_u24_e32 v5, 0x10001, v5
	s_wait_dscnt 0x1
	v_pk_fma_f16 v28, v16, v30, v28
	v_pk_fma_f16 v24, v16, v4, v24
	v_pk_fma_f16 v25, v16, v31, v25
	v_pk_fma_f16 v30, v17, v30, v2
	v_pk_fma_f16 v16, v16, v5, v0
	v_and_b32_e32 v0, 0xffff, v6
	v_pk_fma_f16 v4, v17, v4, v29
	v_pk_fma_f16 v6, v17, v31, v26
	v_mul_u32_u24_e32 v31, 0x10001, v1
	v_and_b32_e32 v26, 0xffff, v7
	v_mul_u32_u24_e32 v29, 0x10001, v0
	ds_load_2addr_b64 v[0:3], v27 offset0:80 offset1:104
	v_lshrrev_b32_e32 v7, 16, v7
	s_wait_dscnt 0x1
	v_and_b32_e32 v27, 0xffff, v20
	v_mul_u32_u24_e32 v26, 0x10001, v26
	v_lshrrev_b32_e32 v20, 16, v20
	v_pk_fma_f16 v5, v17, v5, v32
	v_mul_u32_u24_e32 v7, 0x10001, v7
	v_pk_fma_f16 v17, v18, v29, v28
	v_pk_fma_f16 v24, v18, v31, v24
	;; [unrolled: 1-line block ×4, first 2 shown]
	v_and_b32_e32 v28, 0xffff, v21
	v_lshrrev_b32_e32 v21, 16, v21
	v_pk_fma_f16 v6, v19, v26, v6
	v_mul_u32_u24_e32 v26, 0x10001, v27
	v_mul_u32_u24_e32 v20, 0x10001, v20
	v_pk_fma_f16 v16, v18, v7, v16
	v_pk_fma_f16 v18, v19, v29, v30
	v_mul_u32_u24_e32 v27, 0x10001, v28
	v_pk_fma_f16 v5, v19, v7, v5
	s_wait_dscnt 0x0
	v_pk_fma_f16 v7, v0, v26, v17
	v_pk_fma_f16 v17, v0, v20, v24
	;; [unrolled: 1-line block ×3, first 2 shown]
	v_lshrrev_b32_e32 v20, 16, v22
	v_mul_u32_u24_e32 v21, 0x10001, v21
	v_pk_fma_f16 v19, v0, v27, v25
	v_pk_fma_f16 v6, v1, v27, v6
	s_delay_alu instid0(VALU_DEP_4) | instskip(NEXT) | instid1(VALU_DEP_4)
	v_mul_u32_u24_e32 v20, 0x10001, v20
	v_pk_fma_f16 v0, v0, v21, v16
	v_pk_fma_f16 v16, v1, v26, v18
	v_and_b32_e32 v18, 0xffff, v22
	v_and_b32_e32 v22, 0xffff, v23
	v_lshrrev_b32_e32 v23, 16, v23
	v_pk_fma_f16 v1, v1, v21, v5
	v_pk_fma_f16 v110, v3, v20, v4
	v_mul_u32_u24_e32 v18, 0x10001, v18
	v_mul_u32_u24_e32 v22, 0x10001, v22
	;; [unrolled: 1-line block ×3, first 2 shown]
	v_pk_fma_f16 v109, v2, v20, v17
	s_barrier_signal -1
	v_pk_fma_f16 v111, v2, v18, v7
	v_pk_fma_f16 v108, v3, v22, v6
	v_mov_b64_e32 v[4:5], v[8:9]
	v_mov_b64_e32 v[6:7], v[10:11]
	v_pk_fma_f16 v107, v2, v22, v19
	v_pk_fma_f16 v105, v2, v23, v0
	;; [unrolled: 1-line block ×4, first 2 shown]
	s_barrier_wait -1
.LBB56_84:
	v_cmp_lt_i32_e32 vcc_lo, v60, v55
	s_cmp_eq_u64 s[16:17], 0
	s_cselect_b32 s3, -1, 0
	s_cmp_lg_u32 s24, 0
	v_cndmask_b32_e32 v0, v103, v60, vcc_lo
	v_cmp_lt_i32_e32 vcc_lo, v59, v55
	s_cselect_b32 s4, -1, 0
	s_delay_alu instid0(SALU_CYCLE_1)
	s_or_b32 s3, s4, s3
	v_cndmask_b32_e32 v8, v103, v59, vcc_lo
	v_cmp_lt_i32_e32 vcc_lo, v58, v55
	v_lshlrev_b32_e32 v3, 2, v0
	ds_bpermute_b32 v0, v3, v12
	ds_bpermute_b32 v1, v3, v13
	s_wait_dscnt 0x0
	v_pk_add_f32 v[0:1], v[12:13], v[0:1]
	v_cndmask_b32_e32 v12, v103, v58, vcc_lo
	ds_bpermute_b32 v2, v3, v14
	ds_bpermute_b32 v3, v3, v15
	v_cmp_lt_i32_e32 vcc_lo, v57, v55
	v_lshlrev_b32_e32 v11, 2, v8
	v_lshlrev_b32_e32 v12, 2, v12
	ds_bpermute_b32 v8, v11, v0
	ds_bpermute_b32 v9, v11, v1
	s_wait_dscnt 0x2
	v_pk_add_f32 v[2:3], v[14:15], v[2:3]
	ds_bpermute_b32 v10, v11, v2
	ds_bpermute_b32 v11, v11, v3
	s_wait_dscnt 0x2
	v_pk_add_f32 v[0:1], v[0:1], v[8:9]
	ds_bpermute_b32 v8, v12, v0
	ds_bpermute_b32 v9, v12, v1
	s_wait_dscnt 0x2
	v_pk_add_f32 v[2:3], v[2:3], v[10:11]
	ds_bpermute_b32 v10, v12, v2
	ds_bpermute_b32 v11, v12, v3
	v_cndmask_b32_e32 v12, v103, v57, vcc_lo
	s_wait_dscnt 0x2
	v_pk_add_f32 v[0:1], v[0:1], v[8:9]
	v_cmp_lt_i32_e32 vcc_lo, v56, v55
	s_delay_alu instid0(VALU_DEP_3)
	v_lshlrev_b32_e32 v12, 2, v12
	ds_bpermute_b32 v8, v12, v0
	ds_bpermute_b32 v9, v12, v1
	s_wait_dscnt 0x2
	v_pk_add_f32 v[2:3], v[2:3], v[10:11]
	ds_bpermute_b32 v10, v12, v2
	ds_bpermute_b32 v11, v12, v3
	v_cndmask_b32_e32 v12, v103, v56, vcc_lo
	s_and_b32 vcc_lo, exec_lo, s3
	s_delay_alu instid0(VALU_DEP_1)
	v_lshlrev_b32_e32 v12, 2, v12
	s_wait_dscnt 0x2
	v_pk_add_f32 v[0:1], v[0:1], v[8:9]
	s_wait_dscnt 0x0
	v_pk_add_f32 v[8:9], v[2:3], v[10:11]
	ds_bpermute_b32 v2, v12, v0
	ds_bpermute_b32 v3, v12, v1
	;; [unrolled: 1-line block ×4, first 2 shown]
	s_wait_dscnt 0x2
	v_pk_add_f32 v[2:3], v[0:1], v[2:3]
	s_wait_dscnt 0x0
	v_pk_add_f32 v[0:1], v[8:9], v[10:11]
	s_cbranch_vccnz .LBB56_86
; %bb.85:
	v_dual_mov_b32 v8, s33 :: v_dual_max_num_f32 v10, v6, v6
	v_dual_max_num_f32 v13, v7, v7 :: v_dual_max_num_f32 v9, v5, v5
	global_load_b32 v12, v8, s[16:17] scale_offset
	s_wait_xcnt 0x0
	v_max_num_f32_e32 v8, v4, v4
	s_wait_loadcnt 0x0
	v_max_num_f32_e32 v11, v12, v12
	s_delay_alu instid0(VALU_DEP_1) | instskip(SKIP_1) | instid1(VALU_DEP_2)
	v_dual_max_num_f32 v8, v8, v11 :: v_dual_max_num_f32 v9, v9, v11
	v_dual_max_num_f32 v10, v10, v11 :: v_dual_max_num_f32 v11, v13, v11
	v_dual_sub_f32 v4, v4, v8 :: v_dual_sub_f32 v5, v5, v9
	v_dual_sub_f32 v13, v12, v8 :: v_dual_sub_f32 v14, v12, v9
	s_delay_alu instid0(VALU_DEP_3) | instskip(NEXT) | instid1(VALU_DEP_3)
	v_dual_sub_f32 v15, v6, v10 :: v_dual_sub_f32 v16, v12, v10
	v_dual_mul_f32 v6, 0x3fb8aa3b, v4 :: v_dual_sub_f32 v17, v7, v11
	s_delay_alu instid0(VALU_DEP_3) | instskip(NEXT) | instid1(VALU_DEP_4)
	v_dual_sub_f32 v18, v12, v11 :: v_dual_mul_f32 v7, 0x3fb8aa3b, v13
	v_dual_mul_f32 v12, 0x3fb8aa3b, v5 :: v_dual_mul_f32 v19, 0x3fb8aa3b, v14
	s_delay_alu instid0(VALU_DEP_3)
	v_fma_f32 v24, 0x3fb8aa3b, v4, -v6
	v_rndne_f32_e32 v25, v6
	v_dual_mul_f32 v20, 0x3fb8aa3b, v15 :: v_dual_mul_f32 v21, 0x3fb8aa3b, v16
	v_dual_mul_f32 v22, 0x3fb8aa3b, v17 :: v_dual_mul_f32 v23, 0x3fb8aa3b, v18
	v_fma_f32 v26, 0x3fb8aa3b, v13, -v7
	v_rndne_f32_e32 v27, v7
	v_fma_f32 v28, 0x3fb8aa3b, v5, -v12
	v_rndne_f32_e32 v29, v12
	v_rndne_f32_e32 v31, v19
	s_delay_alu instid0(VALU_DEP_4)
	v_dual_fmac_f32 v24, 0x32a5705f, v4 :: v_dual_sub_f32 v7, v7, v27
	v_sub_f32_e32 v6, v6, v25
	v_fma_f32 v30, 0x3fb8aa3b, v14, -v19
	v_fma_f32 v32, 0x3fb8aa3b, v15, -v20
	v_rndne_f32_e32 v35, v21
	v_rndne_f32_e32 v37, v22
	;; [unrolled: 1-line block ×3, first 2 shown]
	v_fmac_f32_e32 v26, 0x32a5705f, v13
	v_dual_fmac_f32 v28, 0x32a5705f, v5 :: v_dual_sub_f32 v19, v19, v31
	v_dual_sub_f32 v12, v12, v29 :: v_dual_add_f32 v6, v6, v24
	v_fma_f32 v34, 0x3fb8aa3b, v16, -v21
	v_fma_f32 v36, 0x3fb8aa3b, v17, -v22
	;; [unrolled: 1-line block ×3, first 2 shown]
	v_sub_f32_e32 v21, v21, v35
	v_dual_fmac_f32 v32, 0x32a5705f, v15 :: v_dual_add_f32 v7, v7, v26
	v_dual_sub_f32 v23, v23, v39 :: v_dual_sub_f32 v22, v22, v37
	v_add_f32_e32 v12, v12, v28
	v_exp_f32_e32 v6, v6
	v_cvt_i32_f32_e32 v25, v25
	v_exp_f32_e32 v7, v7
	v_cvt_i32_f32_e32 v27, v27
	;; [unrolled: 2-line block ×3, first 2 shown]
	v_cmp_ngt_f32_e32 vcc_lo, 0xc2ce8ed0, v4
	v_ldexp_f32 v6, v6, v25
	v_rndne_f32_e32 v33, v20
	v_ldexp_f32 v7, v7, v27
	v_cvt_i32_f32_e32 v31, v31
	v_ldexp_f32 v12, v12, v29
	v_cndmask_b32_e32 v6, 0, v6, vcc_lo
	v_cmp_ngt_f32_e32 vcc_lo, 0xc2ce8ed0, v13
	v_fmac_f32_e32 v30, 0x32a5705f, v14
	v_cvt_i32_f32_e32 v35, v35
	v_cvt_i32_f32_e32 v39, v39
	v_cvt_i32_f32_e32 v37, v37
	v_dual_cndmask_b32 v7, 0, v7 :: v_dual_sub_f32 v20, v20, v33
	v_add_f32_e32 v19, v19, v30
	v_cmp_ngt_f32_e32 vcc_lo, 0xc2ce8ed0, v5
	v_cvt_i32_f32_e32 v33, v33
	s_delay_alu instid0(VALU_DEP_3) | instskip(SKIP_2) | instid1(TRANS32_DEP_1)
	v_exp_f32_e32 v19, v19
	v_cndmask_b32_e32 v12, 0, v12, vcc_lo
	v_cmp_ngt_f32_e32 vcc_lo, 0xc2ce8ed0, v14
	v_ldexp_f32 v19, v19, v31
	s_delay_alu instid0(VALU_DEP_1) | instskip(NEXT) | instid1(VALU_DEP_1)
	v_dual_fmac_f32 v38, 0x32a5705f, v18 :: v_dual_cndmask_b32 v19, 0, v19
	v_dual_fmac_f32 v34, 0x32a5705f, v16 :: v_dual_add_f32 v23, v23, v38
	v_fmac_f32_e32 v36, 0x32a5705f, v17
	v_cmp_ngt_f32_e32 vcc_lo, 0xc2ce8ed0, v15
	s_delay_alu instid0(VALU_DEP_3) | instskip(NEXT) | instid1(VALU_DEP_4)
	v_add_f32_e32 v21, v21, v34
	v_exp_f32_e32 v23, v23
	s_delay_alu instid0(VALU_DEP_1) | instskip(NEXT) | instid1(TRANS32_DEP_2)
	v_exp_f32_e32 v21, v21
	v_ldexp_f32 v23, v23, v39
	v_add_f32_e32 v22, v22, v36
	s_delay_alu instid0(TRANS32_DEP_1) | instskip(SKIP_1) | instid1(VALU_DEP_3)
	v_ldexp_f32 v21, v21, v35
	v_add_f32_e32 v20, v20, v32
	v_exp_f32_e32 v22, v22
	s_delay_alu instid0(VALU_DEP_1) | instskip(NEXT) | instid1(TRANS32_DEP_2)
	v_exp_f32_e32 v20, v20
	v_ldexp_f32 v22, v22, v37
	s_delay_alu instid0(TRANS32_DEP_1) | instskip(NEXT) | instid1(VALU_DEP_1)
	v_ldexp_f32 v20, v20, v33
	v_cndmask_b32_e32 v20, 0, v20, vcc_lo
	v_cmp_ngt_f32_e32 vcc_lo, 0xc2ce8ed0, v16
	v_cndmask_b32_e32 v21, 0, v21, vcc_lo
	v_cmp_ngt_f32_e32 vcc_lo, 0xc2ce8ed0, v17
	;; [unrolled: 2-line block ×3, first 2 shown]
	v_cndmask_b32_e32 v23, 0, v23, vcc_lo
	v_cmp_nlt_f32_e32 vcc_lo, 0x42b17218, v4
	v_cndmask_b32_e32 v4, 0x7f800000, v6, vcc_lo
	v_cmp_nlt_f32_e32 vcc_lo, 0x42b17218, v13
	;; [unrolled: 2-line block ×5, first 2 shown]
	s_delay_alu instid0(VALU_DEP_2)
	v_pk_fma_f32 v[2:3], v[2:3], v[4:5], v[6:7]
	v_cndmask_b32_e32 v12, 0x7f800000, v20, vcc_lo
	v_cmp_nlt_f32_e32 vcc_lo, 0x42b17218, v16
	v_cvt_f16_f32_e32 v16, v4
	v_cndmask_b32_e32 v14, 0x7f800000, v21, vcc_lo
	v_cmp_nlt_f32_e32 vcc_lo, 0x42b17218, v17
	v_cvt_f16_f32_e32 v17, v5
	s_delay_alu instid0(VALU_DEP_4)
	v_and_b32_e32 v16, 0xffff, v16
	v_cndmask_b32_e32 v13, 0x7f800000, v22, vcc_lo
	v_cmp_nlt_f32_e32 vcc_lo, 0x42b17218, v18
	v_cvt_f16_f32_e32 v18, v12
	v_and_b32_e32 v4, 0xffff, v17
	v_mul_u32_u24_e32 v7, 0x10001, v16
	v_cvt_f16_f32_e32 v19, v13
	v_cndmask_b32_e32 v15, 0x7f800000, v23, vcc_lo
	v_and_b32_e32 v5, 0xffff, v18
	v_mul_u32_u24_e32 v4, 0x10001, v4
	v_pk_mul_f16 v111, v111, v7
	v_and_b32_e32 v6, 0xffff, v19
	v_pk_mul_f16 v112, v112, v7
	v_mul_u32_u24_e32 v5, 0x10001, v5
	v_pk_mul_f16 v109, v109, v4
	v_pk_mul_f16 v110, v110, v4
	v_mul_u32_u24_e32 v6, 0x10001, v6
	v_pk_fma_f32 v[0:1], v[0:1], v[12:13], v[14:15]
	v_pk_mul_f16 v107, v107, v5
	v_pk_mul_f16 v108, v108, v5
	s_delay_alu instid0(VALU_DEP_4)
	v_pk_mul_f16 v105, v105, v6
	v_pk_mul_f16 v106, v106, v6
	v_mov_b64_e32 v[4:5], v[8:9]
	v_mov_b64_e32 v[6:7], v[10:11]
.LBB56_86:
	s_mov_b32 s3, exec_lo
	v_cmpx_gt_i32_e64 s26, v74
	s_cbranch_execz .LBB56_114
; %bb.87:
	s_load_b32 s0, s[0:1], 0xd4
	v_mov_b32_e32 v8, 1.0
	s_wait_kmcnt 0x0
	s_cmp_lg_u32 s0, 1
	s_cselect_b32 s3, -1, 0
	s_cmp_eq_u32 s0, 1
	s_cselect_b32 s4, -1, 0
	s_and_b32 vcc_lo, exec_lo, s3
	s_cbranch_vccnz .LBB56_89
; %bb.88:
	v_div_scale_f32 v8, null, v2, v2, 1.0
	s_delay_alu instid0(VALU_DEP_1) | instskip(SKIP_1) | instid1(TRANS32_DEP_1)
	v_rcp_f32_e32 v9, v8
	v_nop
	v_fma_f32 v10, -v8, v9, 1.0
	s_delay_alu instid0(VALU_DEP_1) | instskip(SKIP_1) | instid1(VALU_DEP_1)
	v_fmac_f32_e32 v9, v10, v9
	v_div_scale_f32 v10, vcc_lo, 1.0, v2, 1.0
	v_mul_f32_e32 v11, v10, v9
	s_delay_alu instid0(VALU_DEP_1) | instskip(NEXT) | instid1(VALU_DEP_1)
	v_fma_f32 v12, -v8, v11, v10
	v_fmac_f32_e32 v11, v12, v9
	s_delay_alu instid0(VALU_DEP_1) | instskip(NEXT) | instid1(VALU_DEP_1)
	v_fma_f32 v8, -v8, v11, v10
	v_div_fmas_f32 v8, v8, v9, v11
	s_delay_alu instid0(VALU_DEP_1)
	v_div_fixup_f32 v8, v8, v2, 1.0
.LBB56_89:
	s_mul_i32 s1, s34, s26
	s_delay_alu instid0(SALU_CYCLE_1) | instskip(NEXT) | instid1(SALU_CYCLE_1)
	s_add_co_i32 s1, s1, s39
	v_add_nc_u32_e32 v9, s1, v101
	s_delay_alu instid0(VALU_DEP_1) | instskip(NEXT) | instid1(VALU_DEP_1)
	v_mad_u32 v9, v9, s27, s33
	v_mad_u32 v9, s0, v9, s24
	s_and_saveexec_b32 s5, s2
	s_cbranch_execz .LBB56_91
; %bb.90:
	s_delay_alu instid0(VALU_DEP_1) | instskip(SKIP_4) | instid1(VALU_DEP_4)
	v_mad_u32 v12, 0x60, v9, v100
	v_dual_lshrrev_b32 v11, 16, v111 :: v_dual_lshrrev_b32 v15, 16, v112
	v_mov_b32_e32 v13, 0
	v_cvt_f32_f16_e32 v10, v111
	v_cvt_f32_f16_e32 v14, v112
	;; [unrolled: 1-line block ×4, first 2 shown]
	s_delay_alu instid0(VALU_DEP_2) | instskip(SKIP_1) | instid1(VALU_DEP_3)
	v_pk_mul_f32 v[10:11], v[8:9], v[10:11] op_sel_hi:[0,1]
	v_lshl_add_u64 v[16:17], v[12:13], 2, s[20:21]
	v_pk_mul_f32 v[12:13], v[8:9], v[14:15] op_sel_hi:[0,1]
	global_store_b128 v[16:17], v[10:13], off
.LBB56_91:
	s_wait_xcnt 0x0
	s_or_b32 exec_lo, exec_lo, s5
	v_cmp_eq_u32_e32 vcc_lo, 0, v79
	s_and_b32 s3, vcc_lo, s3
	s_delay_alu instid0(SALU_CYCLE_1)
	s_and_saveexec_b32 s5, s3
	s_cbranch_execz .LBB56_93
; %bb.92:
	v_dual_mov_b32 v10, v4 :: v_dual_mov_b32 v11, v2
	global_store_b64 v9, v[10:11], s[22:23] scale_offset
.LBB56_93:
	s_wait_xcnt 0x0
	s_or_b32 exec_lo, exec_lo, s5
	v_cmp_gt_i32_e32 vcc_lo, s26, v72
	s_and_b32 exec_lo, exec_lo, vcc_lo
	s_cbranch_execz .LBB56_114
; %bb.94:
	v_cndmask_b32_e64 v4, 0, 1, s4
	v_mov_b32_e32 v2, 1.0
	s_and_not1_b32 vcc_lo, exec_lo, s4
	s_cbranch_vccnz .LBB56_96
; %bb.95:
	v_div_scale_f32 v2, null, v3, v3, 1.0
	s_delay_alu instid0(VALU_DEP_1) | instskip(SKIP_1) | instid1(TRANS32_DEP_1)
	v_rcp_f32_e32 v8, v2
	v_nop
	v_fma_f32 v9, -v2, v8, 1.0
	s_delay_alu instid0(VALU_DEP_1) | instskip(SKIP_1) | instid1(VALU_DEP_1)
	v_fmac_f32_e32 v8, v9, v8
	v_div_scale_f32 v9, vcc_lo, 1.0, v3, 1.0
	v_mul_f32_e32 v10, v9, v8
	s_delay_alu instid0(VALU_DEP_1) | instskip(NEXT) | instid1(VALU_DEP_1)
	v_fma_f32 v11, -v2, v10, v9
	v_fmac_f32_e32 v10, v11, v8
	s_delay_alu instid0(VALU_DEP_1) | instskip(NEXT) | instid1(VALU_DEP_1)
	v_fma_f32 v2, -v2, v10, v9
	v_div_fmas_f32 v2, v2, v8, v10
	s_delay_alu instid0(VALU_DEP_1)
	v_div_fixup_f32 v2, v2, v3, 1.0
.LBB56_96:
	v_add_nc_u32_e32 v8, s1, v81
	s_delay_alu instid0(VALU_DEP_1) | instskip(NEXT) | instid1(VALU_DEP_1)
	v_mad_u32 v8, v8, s27, s33
	v_mad_u32 v8, s0, v8, s24
	s_and_saveexec_b32 s4, s2
	s_cbranch_execz .LBB56_98
; %bb.97:
	s_delay_alu instid0(VALU_DEP_1) | instskip(SKIP_4) | instid1(VALU_DEP_4)
	v_mad_u32 v12, 0x60, v8, v100
	v_dual_lshrrev_b32 v9, 16, v109 :: v_dual_lshrrev_b32 v15, 16, v110
	v_mov_b32_e32 v13, 0
	v_cvt_f32_f16_e32 v10, v109
	v_cvt_f32_f16_e32 v14, v110
	;; [unrolled: 1-line block ×4, first 2 shown]
	s_delay_alu instid0(VALU_DEP_2) | instskip(SKIP_1) | instid1(VALU_DEP_3)
	v_pk_mul_f32 v[10:11], v[2:3], v[10:11] op_sel_hi:[0,1]
	v_lshl_add_u64 v[16:17], v[12:13], 2, s[20:21]
	v_pk_mul_f32 v[12:13], v[2:3], v[14:15] op_sel_hi:[0,1]
	global_store_b128 v[16:17], v[10:13], off
.LBB56_98:
	s_wait_xcnt 0x0
	s_or_b32 exec_lo, exec_lo, s4
	s_and_saveexec_b32 s4, s3
	s_cbranch_execz .LBB56_100
; %bb.99:
	v_mov_b32_e32 v2, v5
	global_store_b64 v8, v[2:3], s[22:23] scale_offset
.LBB56_100:
	s_wait_xcnt 0x0
	s_or_b32 exec_lo, exec_lo, s4
	v_add_nc_u32_e32 v2, s39, v77
	s_delay_alu instid0(VALU_DEP_1)
	v_cmp_gt_i32_e32 vcc_lo, s26, v2
	s_and_b32 exec_lo, exec_lo, vcc_lo
	s_cbranch_execz .LBB56_114
; %bb.101:
	v_cmp_ne_u32_e32 vcc_lo, 1, v4
	v_mov_b32_e32 v2, 1.0
	s_cbranch_vccnz .LBB56_103
; %bb.102:
	v_div_scale_f32 v2, null, v0, v0, 1.0
	s_delay_alu instid0(VALU_DEP_1) | instskip(SKIP_1) | instid1(TRANS32_DEP_1)
	v_rcp_f32_e32 v3, v2
	v_nop
	v_fma_f32 v5, -v2, v3, 1.0
	s_delay_alu instid0(VALU_DEP_1) | instskip(SKIP_1) | instid1(VALU_DEP_1)
	v_fmac_f32_e32 v3, v5, v3
	v_div_scale_f32 v5, vcc_lo, 1.0, v0, 1.0
	v_mul_f32_e32 v8, v5, v3
	s_delay_alu instid0(VALU_DEP_1) | instskip(NEXT) | instid1(VALU_DEP_1)
	v_fma_f32 v9, -v2, v8, v5
	v_fmac_f32_e32 v8, v9, v3
	s_delay_alu instid0(VALU_DEP_1) | instskip(NEXT) | instid1(VALU_DEP_1)
	v_fma_f32 v2, -v2, v8, v5
	v_div_fmas_f32 v2, v2, v3, v8
	s_delay_alu instid0(VALU_DEP_1)
	v_div_fixup_f32 v2, v2, v0, 1.0
.LBB56_103:
	v_add_nc_u32_e32 v3, s1, v77
	s_delay_alu instid0(VALU_DEP_1) | instskip(NEXT) | instid1(VALU_DEP_1)
	v_mad_u32 v3, v3, s27, s33
	v_mad_u32 v3, s0, v3, s24
	s_and_saveexec_b32 s4, s2
	s_cbranch_execz .LBB56_105
; %bb.104:
	s_delay_alu instid0(VALU_DEP_1) | instskip(SKIP_4) | instid1(VALU_DEP_4)
	v_mad_u32 v10, 0x60, v3, v100
	v_dual_lshrrev_b32 v5, 16, v107 :: v_dual_lshrrev_b32 v13, 16, v108
	v_mov_b32_e32 v11, 0
	v_cvt_f32_f16_e32 v8, v107
	v_cvt_f32_f16_e32 v12, v108
	;; [unrolled: 1-line block ×4, first 2 shown]
	s_delay_alu instid0(VALU_DEP_2) | instskip(SKIP_1) | instid1(VALU_DEP_3)
	v_pk_mul_f32 v[8:9], v[2:3], v[8:9] op_sel_hi:[0,1]
	v_lshl_add_u64 v[14:15], v[10:11], 2, s[20:21]
	v_pk_mul_f32 v[10:11], v[2:3], v[12:13] op_sel_hi:[0,1]
	global_store_b128 v[14:15], v[8:11], off
.LBB56_105:
	s_wait_xcnt 0x0
	s_or_b32 exec_lo, exec_lo, s4
	s_and_saveexec_b32 s4, s3
	s_cbranch_execz .LBB56_107
; %bb.106:
	v_dual_mov_b32 v8, v6 :: v_dual_mov_b32 v9, v0
	global_store_b64 v3, v[8:9], s[22:23] scale_offset
.LBB56_107:
	s_wait_xcnt 0x0
	s_or_b32 exec_lo, exec_lo, s4
	v_add_nc_u32_e32 v0, s39, v73
	s_delay_alu instid0(VALU_DEP_1)
	v_cmp_gt_i32_e32 vcc_lo, s26, v0
	s_and_b32 exec_lo, exec_lo, vcc_lo
	s_cbranch_execz .LBB56_114
; %bb.108:
	v_cmp_ne_u32_e32 vcc_lo, 1, v4
	v_mov_b32_e32 v0, 1.0
	s_cbranch_vccnz .LBB56_110
; %bb.109:
	v_div_scale_f32 v0, null, v1, v1, 1.0
	s_delay_alu instid0(VALU_DEP_1) | instskip(SKIP_1) | instid1(TRANS32_DEP_1)
	v_rcp_f32_e32 v2, v0
	v_nop
	v_fma_f32 v3, -v0, v2, 1.0
	s_delay_alu instid0(VALU_DEP_1) | instskip(SKIP_1) | instid1(VALU_DEP_1)
	v_fmac_f32_e32 v2, v3, v2
	v_div_scale_f32 v3, vcc_lo, 1.0, v1, 1.0
	v_mul_f32_e32 v4, v3, v2
	s_delay_alu instid0(VALU_DEP_1) | instskip(NEXT) | instid1(VALU_DEP_1)
	v_fma_f32 v5, -v0, v4, v3
	v_fmac_f32_e32 v4, v5, v2
	s_delay_alu instid0(VALU_DEP_1) | instskip(NEXT) | instid1(VALU_DEP_1)
	v_fma_f32 v0, -v0, v4, v3
	v_div_fmas_f32 v0, v0, v2, v4
	s_delay_alu instid0(VALU_DEP_1)
	v_div_fixup_f32 v0, v0, v1, 1.0
.LBB56_110:
	v_add_nc_u32_e32 v2, s1, v73
	s_delay_alu instid0(VALU_DEP_1) | instskip(NEXT) | instid1(VALU_DEP_1)
	v_mad_u32 v2, v2, s27, s33
	v_mad_u32 v2, s0, v2, s24
	s_and_saveexec_b32 s0, s2
	s_cbranch_execz .LBB56_112
; %bb.111:
	s_delay_alu instid0(VALU_DEP_1) | instskip(SKIP_4) | instid1(VALU_DEP_4)
	v_mad_u32 v4, 0x60, v2, v100
	v_dual_lshrrev_b32 v3, 16, v105 :: v_dual_lshrrev_b32 v6, 16, v106
	v_mov_b32_e32 v5, 0
	v_cvt_f32_f16_e32 v8, v105
	v_cvt_f32_f16_e32 v10, v106
	;; [unrolled: 1-line block ×4, first 2 shown]
	s_delay_alu instid0(VALU_DEP_2) | instskip(SKIP_1) | instid1(VALU_DEP_3)
	v_pk_mul_f32 v[8:9], v[0:1], v[8:9] op_sel_hi:[0,1]
	v_lshl_add_u64 v[4:5], v[4:5], 2, s[20:21]
	v_pk_mul_f32 v[10:11], v[0:1], v[10:11] op_sel_hi:[0,1]
	global_store_b128 v[4:5], v[8:11], off
.LBB56_112:
	s_wait_xcnt 0x0
	s_or_b32 exec_lo, exec_lo, s0
	s_delay_alu instid0(SALU_CYCLE_1)
	s_and_b32 exec_lo, exec_lo, s3
	s_cbranch_execz .LBB56_114
; %bb.113:
	v_mov_b32_e32 v0, v7
	global_store_b64 v2, v[0:1], s[22:23] scale_offset
.LBB56_114:
	s_sendmsg sendmsg(MSG_DEALLOC_VGPRS)
	s_endpgm
	.section	.rodata,"a",@progbits
	.p2align	6, 0x0
	.amdhsa_kernel _ZL15flash_attn_tileILi96ELi96ELi32ELi1ELb0EEvPKcS1_S1_S1_S1_PKiPfP15HIP_vector_typeIfLj2EEffffjfiS5_IjLj3EEiiiiiiiiiiiliiliiiiil
		.amdhsa_group_segment_fixed_size 11904
		.amdhsa_private_segment_fixed_size 32
		.amdhsa_kernarg_size 464
		.amdhsa_user_sgpr_count 2
		.amdhsa_user_sgpr_dispatch_ptr 0
		.amdhsa_user_sgpr_queue_ptr 0
		.amdhsa_user_sgpr_kernarg_segment_ptr 1
		.amdhsa_user_sgpr_dispatch_id 0
		.amdhsa_user_sgpr_kernarg_preload_length 0
		.amdhsa_user_sgpr_kernarg_preload_offset 0
		.amdhsa_user_sgpr_private_segment_size 0
		.amdhsa_wavefront_size32 1
		.amdhsa_uses_dynamic_stack 0
		.amdhsa_enable_private_segment 1
		.amdhsa_system_sgpr_workgroup_id_x 1
		.amdhsa_system_sgpr_workgroup_id_y 1
		.amdhsa_system_sgpr_workgroup_id_z 1
		.amdhsa_system_sgpr_workgroup_info 0
		.amdhsa_system_vgpr_workitem_id 1
		.amdhsa_next_free_vgpr 184
		.amdhsa_next_free_sgpr 50
		.amdhsa_named_barrier_count 0
		.amdhsa_reserve_vcc 1
		.amdhsa_float_round_mode_32 0
		.amdhsa_float_round_mode_16_64 0
		.amdhsa_float_denorm_mode_32 3
		.amdhsa_float_denorm_mode_16_64 3
		.amdhsa_fp16_overflow 0
		.amdhsa_memory_ordered 1
		.amdhsa_forward_progress 1
		.amdhsa_inst_pref_size 179
		.amdhsa_round_robin_scheduling 0
		.amdhsa_exception_fp_ieee_invalid_op 0
		.amdhsa_exception_fp_denorm_src 0
		.amdhsa_exception_fp_ieee_div_zero 0
		.amdhsa_exception_fp_ieee_overflow 0
		.amdhsa_exception_fp_ieee_underflow 0
		.amdhsa_exception_fp_ieee_inexact 0
		.amdhsa_exception_int_div_zero 0
	.end_amdhsa_kernel
	.section	.text._ZL15flash_attn_tileILi96ELi96ELi32ELi1ELb0EEvPKcS1_S1_S1_S1_PKiPfP15HIP_vector_typeIfLj2EEffffjfiS5_IjLj3EEiiiiiiiiiiiliiliiiiil,"axG",@progbits,_ZL15flash_attn_tileILi96ELi96ELi32ELi1ELb0EEvPKcS1_S1_S1_S1_PKiPfP15HIP_vector_typeIfLj2EEffffjfiS5_IjLj3EEiiiiiiiiiiiliiliiiiil,comdat
.Lfunc_end56:
	.size	_ZL15flash_attn_tileILi96ELi96ELi32ELi1ELb0EEvPKcS1_S1_S1_S1_PKiPfP15HIP_vector_typeIfLj2EEffffjfiS5_IjLj3EEiiiiiiiiiiiliiliiiiil, .Lfunc_end56-_ZL15flash_attn_tileILi96ELi96ELi32ELi1ELb0EEvPKcS1_S1_S1_S1_PKiPfP15HIP_vector_typeIfLj2EEffffjfiS5_IjLj3EEiiiiiiiiiiiliiliiiiil
                                        ; -- End function
	.set _ZL15flash_attn_tileILi96ELi96ELi32ELi1ELb0EEvPKcS1_S1_S1_S1_PKiPfP15HIP_vector_typeIfLj2EEffffjfiS5_IjLj3EEiiiiiiiiiiiliiliiiiil.num_vgpr, 184
	.set _ZL15flash_attn_tileILi96ELi96ELi32ELi1ELb0EEvPKcS1_S1_S1_S1_PKiPfP15HIP_vector_typeIfLj2EEffffjfiS5_IjLj3EEiiiiiiiiiiiliiliiiiil.num_agpr, 0
	.set _ZL15flash_attn_tileILi96ELi96ELi32ELi1ELb0EEvPKcS1_S1_S1_S1_PKiPfP15HIP_vector_typeIfLj2EEffffjfiS5_IjLj3EEiiiiiiiiiiiliiliiiiil.numbered_sgpr, 50
	.set _ZL15flash_attn_tileILi96ELi96ELi32ELi1ELb0EEvPKcS1_S1_S1_S1_PKiPfP15HIP_vector_typeIfLj2EEffffjfiS5_IjLj3EEiiiiiiiiiiiliiliiiiil.num_named_barrier, 0
	.set _ZL15flash_attn_tileILi96ELi96ELi32ELi1ELb0EEvPKcS1_S1_S1_S1_PKiPfP15HIP_vector_typeIfLj2EEffffjfiS5_IjLj3EEiiiiiiiiiiiliiliiiiil.private_seg_size, 32
	.set _ZL15flash_attn_tileILi96ELi96ELi32ELi1ELb0EEvPKcS1_S1_S1_S1_PKiPfP15HIP_vector_typeIfLj2EEffffjfiS5_IjLj3EEiiiiiiiiiiiliiliiiiil.uses_vcc, 1
	.set _ZL15flash_attn_tileILi96ELi96ELi32ELi1ELb0EEvPKcS1_S1_S1_S1_PKiPfP15HIP_vector_typeIfLj2EEffffjfiS5_IjLj3EEiiiiiiiiiiiliiliiiiil.uses_flat_scratch, 1
	.set _ZL15flash_attn_tileILi96ELi96ELi32ELi1ELb0EEvPKcS1_S1_S1_S1_PKiPfP15HIP_vector_typeIfLj2EEffffjfiS5_IjLj3EEiiiiiiiiiiiliiliiiiil.has_dyn_sized_stack, 0
	.set _ZL15flash_attn_tileILi96ELi96ELi32ELi1ELb0EEvPKcS1_S1_S1_S1_PKiPfP15HIP_vector_typeIfLj2EEffffjfiS5_IjLj3EEiiiiiiiiiiiliiliiiiil.has_recursion, 0
	.set _ZL15flash_attn_tileILi96ELi96ELi32ELi1ELb0EEvPKcS1_S1_S1_S1_PKiPfP15HIP_vector_typeIfLj2EEffffjfiS5_IjLj3EEiiiiiiiiiiiliiliiiiil.has_indirect_call, 0
	.section	.AMDGPU.csdata,"",@progbits
; Kernel info:
; codeLenInByte = 22816
; TotalNumSgprs: 52
; NumVgprs: 184
; ScratchSize: 32
; MemoryBound: 0
; FloatMode: 240
; IeeeMode: 1
; LDSByteSize: 11904 bytes/workgroup (compile time only)
; SGPRBlocks: 0
; VGPRBlocks: 11
; NumSGPRsForWavesPerEU: 52
; NumVGPRsForWavesPerEU: 184
; NamedBarCnt: 0
; Occupancy: 5
; WaveLimiterHint : 1
; COMPUTE_PGM_RSRC2:SCRATCH_EN: 1
; COMPUTE_PGM_RSRC2:USER_SGPR: 2
; COMPUTE_PGM_RSRC2:TRAP_HANDLER: 0
; COMPUTE_PGM_RSRC2:TGID_X_EN: 1
; COMPUTE_PGM_RSRC2:TGID_Y_EN: 1
; COMPUTE_PGM_RSRC2:TGID_Z_EN: 1
; COMPUTE_PGM_RSRC2:TIDIG_COMP_CNT: 1
	.section	.text._ZL33flash_attn_stream_k_fixup_uniformILi96ELi32ELi1EEvPfPK15HIP_vector_typeIfLj2EEiiiiiiS1_IjLj3EES5_S5_,"axG",@progbits,_ZL33flash_attn_stream_k_fixup_uniformILi96ELi32ELi1EEvPfPK15HIP_vector_typeIfLj2EEiiiiiiS1_IjLj3EES5_S5_,comdat
	.globl	_ZL33flash_attn_stream_k_fixup_uniformILi96ELi32ELi1EEvPfPK15HIP_vector_typeIfLj2EEiiiiiiS1_IjLj3EES5_S5_ ; -- Begin function _ZL33flash_attn_stream_k_fixup_uniformILi96ELi32ELi1EEvPfPK15HIP_vector_typeIfLj2EEiiiiiiS1_IjLj3EES5_S5_
	.p2align	8
	.type	_ZL33flash_attn_stream_k_fixup_uniformILi96ELi32ELi1EEvPfPK15HIP_vector_typeIfLj2EEiiiiiiS1_IjLj3EES5_S5_,@function
_ZL33flash_attn_stream_k_fixup_uniformILi96ELi32ELi1EEvPfPK15HIP_vector_typeIfLj2EEiiiiiiS1_IjLj3EES5_S5_: ; @_ZL33flash_attn_stream_k_fixup_uniformILi96ELi32ELi1EEvPfPK15HIP_vector_typeIfLj2EEiiiiiiS1_IjLj3EES5_S5_
; %bb.0:
	s_load_b256 s[4:11], s[0:1], 0x1c
	s_bfe_u32 s2, ttmp6, 0x40014
	s_lshr_b32 s3, ttmp7, 16
	s_add_co_i32 s2, s2, 1
	s_bfe_u32 s13, ttmp6, 0x40010
	s_mul_i32 s2, s3, s2
	s_bfe_u32 s12, ttmp6, 0x40008
	s_and_b32 s14, ttmp7, 0xffff
	s_add_co_i32 s13, s13, 1
	s_bfe_u32 s15, ttmp6, 0x4000c
	s_add_co_i32 s2, s12, s2
	s_mul_i32 s12, s14, s13
	s_bfe_u32 s13, ttmp6, 0x40004
	s_add_co_i32 s15, s15, 1
	s_add_co_i32 s13, s13, s12
	s_and_b32 s12, ttmp6, 15
	s_mul_i32 s15, ttmp9, s15
	s_getreg_b32 s20, hwreg(HW_REG_IB_STS2, 6, 4)
	s_add_co_i32 s12, s12, s15
	s_load_b128 s[16:19], s[0:1], 0x3c
	s_cmp_eq_u32 s20, 0
	s_cselect_b32 s12, ttmp9, s12
	s_cselect_b32 s13, s14, s13
	s_wait_kmcnt 0x0
	s_mul_hi_u32 s7, s7, s12
	s_cselect_b32 s14, s3, s2
	s_add_co_i32 s2, s12, s7
	s_delay_alu instid0(SALU_CYCLE_1) | instskip(NEXT) | instid1(SALU_CYCLE_1)
	s_lshr_b32 s7, s2, s8
	s_mul_i32 s2, s7, s9
	s_delay_alu instid0(SALU_CYCLE_1) | instskip(NEXT) | instid1(SALU_CYCLE_1)
	s_sub_co_i32 s8, s12, s2
	s_mul_hi_u32 s2, s8, s10
	s_delay_alu instid0(SALU_CYCLE_1) | instskip(SKIP_2) | instid1(SALU_CYCLE_1)
	s_add_co_i32 s9, s8, s2
	s_load_b64 s[2:3], s[0:1], 0x10
	s_lshr_b32 s15, s9, s11
	s_mul_i32 s9, s15, s16
	s_delay_alu instid0(SALU_CYCLE_1) | instskip(NEXT) | instid1(SALU_CYCLE_1)
	s_sub_co_i32 s8, s8, s9
	s_mul_hi_u32 s9, s8, s17
	s_delay_alu instid0(SALU_CYCLE_1) | instskip(NEXT) | instid1(SALU_CYCLE_1)
	s_add_co_i32 s9, s8, s9
	s_lshr_b32 s16, s9, s18
	s_delay_alu instid0(SALU_CYCLE_1) | instskip(NEXT) | instid1(SALU_CYCLE_1)
	s_mul_i32 s9, s16, s19
	s_sub_co_i32 s17, s8, s9
	s_delay_alu instid0(SALU_CYCLE_1) | instskip(NEXT) | instid1(SALU_CYCLE_1)
	s_lshl_b32 s8, s17, 5
	s_add_co_i32 s8, s8, s13
	s_wait_kmcnt 0x0
	s_cmp_lt_i32 s8, s2
	s_cselect_b32 s8, -1, 0
	s_add_co_i32 s16, s16, s14
	s_delay_alu instid0(SALU_CYCLE_1) | instskip(SKIP_1) | instid1(SALU_CYCLE_1)
	s_cmp_lt_i32 s16, s5
	s_cselect_b32 s9, -1, 0
	s_and_b32 s8, s8, s9
	s_delay_alu instid0(SALU_CYCLE_1)
	s_and_not1_b32 vcc_lo, exec_lo, s8
	s_cbranch_vccnz .LBB57_6
; %bb.1:
	s_load_b128 s[8:11], s[0:1], 0x0
	s_wait_xcnt 0x0
	s_mul_i32 s1, s3, s17
	s_mul_i32 s0, s7, s2
	s_mulk_i32 s1, 0xc00
	s_mul_i32 s15, s15, s5
	s_add_co_i32 s0, s0, s13
	v_or_b32_e32 v1, s1, v0
	s_mul_i32 s0, s0, s3
	s_add_co_i32 s1, s16, s15
	s_mul_i32 s7, s6, s12
	s_add_co_i32 s1, s1, s0
	s_add_co_i32 s5, s7, s6
	v_mad_u32 v4, 0x60, s1, v1
	s_add_co_i32 s13, s13, s14
	s_lshl_b32 s0, s5, 5
	s_add_co_i32 s2, s5, -2
	s_add_co_i32 s0, s13, s0
	s_delay_alu instid0(SALU_CYCLE_1) | instskip(NEXT) | instid1(SALU_CYCLE_1)
	s_sub_co_i32 s0, s0, 32
	s_ashr_i32 s1, s0, 31
	s_delay_alu instid0(SALU_CYCLE_1)
	s_lshl_b64 s[0:1], s[0:1], 3
	s_wait_kmcnt 0x0
	global_load_b32 v3, v4, s[8:9] scale_offset
	s_add_nc_u64 s[0:1], s[10:11], s[0:1]
	v_ashrrev_i32_e32 v5, 31, v4
	s_load_b32 s14, s[0:1], 0x4
	s_cmp_lt_i32 s2, s7
	s_cbranch_scc1 .LBB57_4
; %bb.2:
	s_wait_xcnt 0x0
	s_load_b32 s0, s[0:1], 0x0
	s_add_co_i32 s12, s12, 1
	s_lshl_b32 s2, s4, 7
	s_wait_xcnt 0x0
	s_mul_i32 s1, s6, s12
	s_mul_i32 s6, s13, 0x60
	s_lshl_b32 s12, s1, 5
	s_mulk_i32 s1, 0xc00
	s_ashr_i32 s3, s2, 31
	s_add_co_i32 s6, s6, s1
	s_add_co_i32 s12, s13, s12
	s_lshl_b32 s1, s4, 5
	v_add3_u32 v0, s6, v0, 0xffffe800
	s_wait_kmcnt 0x0
	v_mov_b32_e32 v2, s14
	s_lshl_b64 s[2:3], s[2:3], 2
	s_add_co_i32 s12, s12, s1
	s_add_nc_u64 s[2:3], s[10:11], s[2:3]
	s_add_co_i32 s1, s5, -1
	s_sub_co_i32 s4, s12, 64
.LBB57_3:                               ; =>This Inner Loop Header: Depth=1
	global_load_b32 v7, v0, s[2:3] scale_offset
	s_ashr_i32 s5, s4, 31
	v_max_num_f32_e64 v1, s0, s0
	s_lshl_b64 s[12:13], s[4:5], 3
	s_delay_alu instid0(SALU_CYCLE_1) | instskip(SKIP_1) | instid1(VALU_DEP_1)
	s_add_nc_u64 s[12:13], s[10:11], s[12:13]
	s_load_b64 s[12:13], s[12:13], 0x0
	v_readfirstlane_b32 s5, v1
	v_add_nc_u32_e32 v0, 0xfffff400, v0
	s_wait_kmcnt 0x0
	v_max_num_f32_e64 v1, s12, s12
	s_delay_alu instid0(VALU_DEP_1) | instskip(SKIP_1) | instid1(SALU_CYCLE_3)
	v_readfirstlane_b32 s6, v1
	s_max_num_f32 s5, s5, s6
	s_sub_f32 s0, s0, s5
	s_sub_f32 s6, s12, s5
	s_delay_alu instid0(SALU_CYCLE_2) | instskip(NEXT) | instid1(SALU_CYCLE_2)
	s_mul_f32 s12, s0, 0x3fb8aa3b
	s_mul_f32 s14, s6, 0x3fb8aa3b
	s_delay_alu instid0(SALU_CYCLE_2)
	s_xor_b32 s15, s12, 0x80000000
	s_rndne_f32 s16, s12
	s_fmamk_f32 s15, s0, 0x3fb8aa3b, s15
	s_cmp_nlt_f32 s0, 0xc2ce8ed0
	s_rndne_f32 s17, s14
	s_sub_f32 s12, s12, s16
	s_fmamk_f32 s15, s0, 0x32a5705f, s15
	s_cselect_b32 vcc_lo, -1, 0
	s_cmp_ngt_f32 s0, 0x42b17218
	s_delay_alu instid0(SALU_CYCLE_1) | instskip(SKIP_2) | instid1(SALU_CYCLE_1)
	s_add_f32 s12, s12, s15
	s_cvt_i32_f32 s15, s16
	s_sub_f32 s16, s14, s17
	v_s_exp_f32 s12, s12
	v_nop
	s_delay_alu instid0(TRANS32_DEP_1) | instskip(SKIP_1) | instid1(VALU_DEP_1)
	v_ldexp_f32 v1, s12, s15
	s_cvt_i32_f32 s12, s17
	v_cndmask_b32_e32 v1, 0, v1, vcc_lo
	s_cselect_b32 vcc_lo, -1, 0
	s_cmp_ge_f32 s0, 0xc1a00000
	s_delay_alu instid0(VALU_DEP_1)
	v_cndmask_b32_e32 v1, 0x7f800000, v1, vcc_lo
	s_cselect_b32 vcc_lo, -1, 0
	s_xor_b32 s0, s14, 0x80000000
	s_cmp_nlt_f32 s6, 0xc2ce8ed0
	s_fmamk_f32 s0, s6, 0x3fb8aa3b, s0
	v_cndmask_b32_e32 v10, 0, v1, vcc_lo
	s_delay_alu instid0(SALU_CYCLE_2) | instskip(NEXT) | instid1(SALU_CYCLE_3)
	s_fmamk_f32 s0, s6, 0x32a5705f, s0
	s_add_f32 s0, s16, s0
	s_delay_alu instid0(SALU_CYCLE_3) | instskip(SKIP_1) | instid1(TRANS32_DEP_1)
	v_s_exp_f32 s0, s0
	v_nop
	v_ldexp_f32 v6, s0, s12
	s_cselect_b32 s0, -1, 0
	s_cmp_ngt_f32 s6, 0x42b17218
	s_delay_alu instid0(VALU_DEP_1) | instskip(SKIP_2) | instid1(VALU_DEP_1)
	v_cndmask_b32_e64 v6, 0, v6, s0
	s_cselect_b32 s0, -1, 0
	s_cmp_ge_f32 s6, 0xc1a00000
	v_cndmask_b32_e64 v8, 0x7f800000, v6, s0
	s_cselect_b32 s0, -1, 0
	v_mov_b32_e32 v6, s13
	s_add_co_i32 s1, s1, -1
	s_sub_co_i32 s4, s4, 32
	v_cndmask_b32_e64 v8, 0, v8, s0
	s_cmp_le_i32 s1, s7
	s_mov_b32 s0, s5
	s_wait_loadcnt 0x0
	s_delay_alu instid0(VALU_DEP_1) | instskip(NEXT) | instid1(VALU_DEP_1)
	v_pk_mul_f32 v[6:7], v[6:7], v[8:9] op_sel_hi:[1,0]
	v_pk_fma_f32 v[2:3], v[2:3], v[10:11], v[6:7] op_sel_hi:[1,0,1]
	s_cbranch_scc0 .LBB57_3
	s_branch .LBB57_5
.LBB57_4:
	s_wait_kmcnt 0x0
	v_mov_b32_e32 v2, s14
.LBB57_5:
	v_lshl_add_u64 v[0:1], v[4:5], 2, s[8:9]
	s_wait_loadcnt 0x0
	s_delay_alu instid0(VALU_DEP_2) | instskip(NEXT) | instid1(VALU_DEP_1)
	v_div_scale_f32 v4, null, v2, v2, v3
	v_rcp_f32_e32 v5, v4
	v_nop
	s_delay_alu instid0(TRANS32_DEP_1) | instskip(NEXT) | instid1(VALU_DEP_1)
	v_fma_f32 v6, -v4, v5, 1.0
	v_fmac_f32_e32 v5, v6, v5
	v_div_scale_f32 v6, vcc_lo, v3, v2, v3
	s_delay_alu instid0(VALU_DEP_1) | instskip(NEXT) | instid1(VALU_DEP_1)
	v_mul_f32_e32 v7, v6, v5
	v_fma_f32 v8, -v4, v7, v6
	s_delay_alu instid0(VALU_DEP_1) | instskip(NEXT) | instid1(VALU_DEP_1)
	v_fmac_f32_e32 v7, v8, v5
	v_fma_f32 v4, -v4, v7, v6
	s_delay_alu instid0(VALU_DEP_1) | instskip(NEXT) | instid1(VALU_DEP_1)
	v_div_fmas_f32 v4, v4, v5, v7
	v_div_fixup_f32 v2, v4, v2, v3
	global_store_b32 v[0:1], v2, off
.LBB57_6:
	s_endpgm
	.section	.rodata,"a",@progbits
	.p2align	6, 0x0
	.amdhsa_kernel _ZL33flash_attn_stream_k_fixup_uniformILi96ELi32ELi1EEvPfPK15HIP_vector_typeIfLj2EEiiiiiiS1_IjLj3EES5_S5_
		.amdhsa_group_segment_fixed_size 0
		.amdhsa_private_segment_fixed_size 0
		.amdhsa_kernarg_size 76
		.amdhsa_user_sgpr_count 2
		.amdhsa_user_sgpr_dispatch_ptr 0
		.amdhsa_user_sgpr_queue_ptr 0
		.amdhsa_user_sgpr_kernarg_segment_ptr 1
		.amdhsa_user_sgpr_dispatch_id 0
		.amdhsa_user_sgpr_kernarg_preload_length 0
		.amdhsa_user_sgpr_kernarg_preload_offset 0
		.amdhsa_user_sgpr_private_segment_size 0
		.amdhsa_wavefront_size32 1
		.amdhsa_uses_dynamic_stack 0
		.amdhsa_enable_private_segment 0
		.amdhsa_system_sgpr_workgroup_id_x 1
		.amdhsa_system_sgpr_workgroup_id_y 1
		.amdhsa_system_sgpr_workgroup_id_z 1
		.amdhsa_system_sgpr_workgroup_info 0
		.amdhsa_system_vgpr_workitem_id 0
		.amdhsa_next_free_vgpr 12
		.amdhsa_next_free_sgpr 21
		.amdhsa_named_barrier_count 0
		.amdhsa_reserve_vcc 1
		.amdhsa_float_round_mode_32 0
		.amdhsa_float_round_mode_16_64 0
		.amdhsa_float_denorm_mode_32 3
		.amdhsa_float_denorm_mode_16_64 3
		.amdhsa_fp16_overflow 0
		.amdhsa_memory_ordered 1
		.amdhsa_forward_progress 1
		.amdhsa_inst_pref_size 9
		.amdhsa_round_robin_scheduling 0
		.amdhsa_exception_fp_ieee_invalid_op 0
		.amdhsa_exception_fp_denorm_src 0
		.amdhsa_exception_fp_ieee_div_zero 0
		.amdhsa_exception_fp_ieee_overflow 0
		.amdhsa_exception_fp_ieee_underflow 0
		.amdhsa_exception_fp_ieee_inexact 0
		.amdhsa_exception_int_div_zero 0
	.end_amdhsa_kernel
	.section	.text._ZL33flash_attn_stream_k_fixup_uniformILi96ELi32ELi1EEvPfPK15HIP_vector_typeIfLj2EEiiiiiiS1_IjLj3EES5_S5_,"axG",@progbits,_ZL33flash_attn_stream_k_fixup_uniformILi96ELi32ELi1EEvPfPK15HIP_vector_typeIfLj2EEiiiiiiS1_IjLj3EES5_S5_,comdat
.Lfunc_end57:
	.size	_ZL33flash_attn_stream_k_fixup_uniformILi96ELi32ELi1EEvPfPK15HIP_vector_typeIfLj2EEiiiiiiS1_IjLj3EES5_S5_, .Lfunc_end57-_ZL33flash_attn_stream_k_fixup_uniformILi96ELi32ELi1EEvPfPK15HIP_vector_typeIfLj2EEiiiiiiS1_IjLj3EES5_S5_
                                        ; -- End function
	.set _ZL33flash_attn_stream_k_fixup_uniformILi96ELi32ELi1EEvPfPK15HIP_vector_typeIfLj2EEiiiiiiS1_IjLj3EES5_S5_.num_vgpr, 12
	.set _ZL33flash_attn_stream_k_fixup_uniformILi96ELi32ELi1EEvPfPK15HIP_vector_typeIfLj2EEiiiiiiS1_IjLj3EES5_S5_.num_agpr, 0
	.set _ZL33flash_attn_stream_k_fixup_uniformILi96ELi32ELi1EEvPfPK15HIP_vector_typeIfLj2EEiiiiiiS1_IjLj3EES5_S5_.numbered_sgpr, 21
	.set _ZL33flash_attn_stream_k_fixup_uniformILi96ELi32ELi1EEvPfPK15HIP_vector_typeIfLj2EEiiiiiiS1_IjLj3EES5_S5_.num_named_barrier, 0
	.set _ZL33flash_attn_stream_k_fixup_uniformILi96ELi32ELi1EEvPfPK15HIP_vector_typeIfLj2EEiiiiiiS1_IjLj3EES5_S5_.private_seg_size, 0
	.set _ZL33flash_attn_stream_k_fixup_uniformILi96ELi32ELi1EEvPfPK15HIP_vector_typeIfLj2EEiiiiiiS1_IjLj3EES5_S5_.uses_vcc, 1
	.set _ZL33flash_attn_stream_k_fixup_uniformILi96ELi32ELi1EEvPfPK15HIP_vector_typeIfLj2EEiiiiiiS1_IjLj3EES5_S5_.uses_flat_scratch, 0
	.set _ZL33flash_attn_stream_k_fixup_uniformILi96ELi32ELi1EEvPfPK15HIP_vector_typeIfLj2EEiiiiiiS1_IjLj3EES5_S5_.has_dyn_sized_stack, 0
	.set _ZL33flash_attn_stream_k_fixup_uniformILi96ELi32ELi1EEvPfPK15HIP_vector_typeIfLj2EEiiiiiiS1_IjLj3EES5_S5_.has_recursion, 0
	.set _ZL33flash_attn_stream_k_fixup_uniformILi96ELi32ELi1EEvPfPK15HIP_vector_typeIfLj2EEiiiiiiS1_IjLj3EES5_S5_.has_indirect_call, 0
	.section	.AMDGPU.csdata,"",@progbits
; Kernel info:
; codeLenInByte = 1080
; TotalNumSgprs: 23
; NumVgprs: 12
; ScratchSize: 0
; MemoryBound: 0
; FloatMode: 240
; IeeeMode: 1
; LDSByteSize: 0 bytes/workgroup (compile time only)
; SGPRBlocks: 0
; VGPRBlocks: 0
; NumSGPRsForWavesPerEU: 23
; NumVGPRsForWavesPerEU: 12
; NamedBarCnt: 0
; Occupancy: 16
; WaveLimiterHint : 0
; COMPUTE_PGM_RSRC2:SCRATCH_EN: 0
; COMPUTE_PGM_RSRC2:USER_SGPR: 2
; COMPUTE_PGM_RSRC2:TRAP_HANDLER: 0
; COMPUTE_PGM_RSRC2:TGID_X_EN: 1
; COMPUTE_PGM_RSRC2:TGID_Y_EN: 1
; COMPUTE_PGM_RSRC2:TGID_Z_EN: 1
; COMPUTE_PGM_RSRC2:TIDIG_COMP_CNT: 0
	.section	.text._ZL33flash_attn_stream_k_fixup_generalILi96ELi32ELi1EEvPfPK15HIP_vector_typeIfLj2EEiiiiS1_IjLj3EES5_S5_S5_,"axG",@progbits,_ZL33flash_attn_stream_k_fixup_generalILi96ELi32ELi1EEvPfPK15HIP_vector_typeIfLj2EEiiiiS1_IjLj3EES5_S5_S5_,comdat
	.globl	_ZL33flash_attn_stream_k_fixup_generalILi96ELi32ELi1EEvPfPK15HIP_vector_typeIfLj2EEiiiiS1_IjLj3EES5_S5_S5_ ; -- Begin function _ZL33flash_attn_stream_k_fixup_generalILi96ELi32ELi1EEvPfPK15HIP_vector_typeIfLj2EEiiiiS1_IjLj3EES5_S5_S5_
	.p2align	8
	.type	_ZL33flash_attn_stream_k_fixup_generalILi96ELi32ELi1EEvPfPK15HIP_vector_typeIfLj2EEiiiiS1_IjLj3EES5_S5_S5_,@function
_ZL33flash_attn_stream_k_fixup_generalILi96ELi32ELi1EEvPfPK15HIP_vector_typeIfLj2EEiiiiS1_IjLj3EES5_S5_S5_: ; @_ZL33flash_attn_stream_k_fixup_generalILi96ELi32ELi1EEvPfPK15HIP_vector_typeIfLj2EEiiiiS1_IjLj3EES5_S5_S5_
; %bb.0:
	s_clause 0x1
	s_load_b128 s[4:7], s[0:1], 0x10
	s_load_b32 s16, s[0:1], 0x50
	s_bfe_u32 s2, ttmp6, 0x4000c
	s_and_b32 s3, ttmp6, 15
	s_add_co_i32 s2, s2, 1
	s_getreg_b32 s15, hwreg(HW_REG_IB_STS2, 6, 4)
	s_mul_i32 s2, ttmp9, s2
	s_mov_b32 s17, 0
	s_add_co_i32 s3, s3, s2
	s_cmp_eq_u32 s15, 0
	s_cselect_b32 s2, ttmp9, s3
	s_delay_alu instid0(SALU_CYCLE_1) | instskip(SKIP_3) | instid1(SALU_CYCLE_1)
	s_ashr_i32 s3, s2, 31
	s_wait_kmcnt 0x0
	s_ashr_i32 s19, s7, 31
	s_mov_b32 s18, s7
	s_mul_u64 s[8:9], s[18:19], s[2:3]
	s_delay_alu instid0(SALU_CYCLE_1) | instskip(NEXT) | instid1(SALU_CYCLE_1)
	s_and_b64 s[10:11], s[8:9], 0xffffffff00000000
	s_cmp_lg_u64 s[10:11], 0
	s_cbranch_scc0 .LBB58_21
; %bb.1:
	s_add_nc_u64 s[10:11], s[16:17], 0
	s_mov_b32 s23, s17
	s_xor_b64 s[10:11], s[10:11], 0
	s_mov_b32 s27, s17
	s_cvt_f32_u32 s3, s10
	s_cvt_f32_u32 s7, s11
	s_sub_nc_u64 s[20:21], 0, s[10:11]
	s_delay_alu instid0(SALU_CYCLE_2) | instskip(NEXT) | instid1(SALU_CYCLE_3)
	s_fmamk_f32 s3, s7, 0x4f800000, s3
	v_s_rcp_f32 s3, s3
	s_delay_alu instid0(TRANS32_DEP_1) | instskip(NEXT) | instid1(SALU_CYCLE_3)
	s_mul_f32 s3, s3, 0x5f7ffffc
	s_mul_f32 s7, s3, 0x2f800000
	s_delay_alu instid0(SALU_CYCLE_3) | instskip(NEXT) | instid1(SALU_CYCLE_3)
	s_trunc_f32 s7, s7
	s_fmamk_f32 s3, s7, 0xcf800000, s3
	s_cvt_u32_f32 s13, s7
	s_delay_alu instid0(SALU_CYCLE_2) | instskip(NEXT) | instid1(SALU_CYCLE_3)
	s_cvt_u32_f32 s12, s3
	s_mul_u64 s[24:25], s[20:21], s[12:13]
	s_delay_alu instid0(SALU_CYCLE_1)
	s_mul_hi_u32 s29, s12, s25
	s_mul_i32 s28, s12, s25
	s_mul_hi_u32 s22, s12, s24
	s_mul_i32 s7, s13, s24
	s_add_nc_u64 s[22:23], s[22:23], s[28:29]
	s_mul_hi_u32 s3, s13, s24
	s_mul_hi_u32 s14, s13, s25
	s_add_co_u32 s7, s22, s7
	s_add_co_ci_u32 s26, s23, s3
	s_mul_i32 s24, s13, s25
	s_add_co_ci_u32 s25, s14, 0
	s_delay_alu instid0(SALU_CYCLE_1) | instskip(SKIP_3) | instid1(SALU_CYCLE_1)
	s_add_nc_u64 s[22:23], s[26:27], s[24:25]
	s_mov_b32 s25, s17
	s_add_co_u32 s12, s12, s22
	s_cselect_b32 s3, -1, 0
	s_cmp_lg_u32 s3, 0
	s_add_co_ci_u32 s13, s13, s23
	s_mov_b32 s23, s17
	s_mul_u64 s[20:21], s[20:21], s[12:13]
	s_delay_alu instid0(SALU_CYCLE_1)
	s_mul_hi_u32 s27, s12, s21
	s_mul_i32 s26, s12, s21
	s_mul_hi_u32 s22, s12, s20
	s_mul_i32 s7, s13, s20
	s_add_nc_u64 s[22:23], s[22:23], s[26:27]
	s_mul_hi_u32 s3, s13, s20
	s_mul_hi_u32 s14, s13, s21
	s_add_co_u32 s7, s22, s7
	s_add_co_ci_u32 s24, s23, s3
	s_mul_i32 s20, s13, s21
	s_add_co_ci_u32 s21, s14, 0
	s_mov_b32 s23, s17
	s_add_nc_u64 s[20:21], s[24:25], s[20:21]
	s_delay_alu instid0(SALU_CYCLE_1) | instskip(SKIP_1) | instid1(SALU_CYCLE_1)
	s_add_co_u32 s3, s12, s20
	s_cselect_b32 s7, -1, 0
	s_cmp_lg_u32 s7, 0
	s_add_co_ci_u32 s7, s13, s21
	s_ashr_i32 s12, s9, 31
	s_delay_alu instid0(SALU_CYCLE_1) | instskip(NEXT) | instid1(SALU_CYCLE_1)
	s_mov_b32 s13, s12
	s_add_nc_u64 s[20:21], s[8:9], s[12:13]
	s_delay_alu instid0(SALU_CYCLE_1) | instskip(NEXT) | instid1(SALU_CYCLE_1)
	s_xor_b64 s[20:21], s[20:21], s[12:13]
	s_mul_hi_u32 s27, s20, s7
	s_mul_i32 s26, s20, s7
	s_mul_hi_u32 s22, s20, s3
	s_mul_hi_u32 s14, s21, s3
	s_mul_i32 s3, s21, s3
	s_add_nc_u64 s[22:23], s[22:23], s[26:27]
	s_mul_hi_u32 s9, s21, s7
	s_add_co_u32 s3, s22, s3
	s_add_co_ci_u32 s24, s23, s14
	s_mul_i32 s26, s21, s7
	s_add_co_ci_u32 s27, s9, 0
	s_delay_alu instid0(SALU_CYCLE_1) | instskip(NEXT) | instid1(SALU_CYCLE_1)
	s_add_nc_u64 s[22:23], s[24:25], s[26:27]
	s_and_b64 s[24:25], s[22:23], 0xffffffff00000000
	s_delay_alu instid0(SALU_CYCLE_1) | instskip(NEXT) | instid1(SALU_CYCLE_1)
	s_or_b32 s24, s24, s22
	s_mul_u64 s[22:23], s[10:11], s[24:25]
	s_add_nc_u64 s[26:27], s[24:25], 1
	s_sub_co_u32 s3, s20, s22
	s_cselect_b32 s7, -1, 0
	s_sub_co_i32 s9, s21, s23
	s_cmp_lg_u32 s7, 0
	s_add_nc_u64 s[28:29], s[24:25], 2
	s_sub_co_ci_u32 s9, s9, s11
	s_sub_co_u32 s14, s3, s10
	s_cselect_b32 s20, -1, 0
	s_delay_alu instid0(SALU_CYCLE_1) | instskip(SKIP_1) | instid1(SALU_CYCLE_1)
	s_cmp_lg_u32 s20, 0
	s_sub_co_ci_u32 s9, s9, 0
	s_cmp_ge_u32 s9, s11
	s_cselect_b32 s20, -1, 0
	s_cmp_ge_u32 s14, s10
	s_cselect_b32 s14, -1, 0
	s_cmp_eq_u32 s9, s11
	s_cselect_b32 s9, s14, s20
	s_delay_alu instid0(SALU_CYCLE_1) | instskip(SKIP_4) | instid1(SALU_CYCLE_1)
	s_cmp_lg_u32 s9, 0
	s_cselect_b32 s9, s28, s26
	s_cselect_b32 s14, s29, s27
	s_cmp_lg_u32 s7, 0
	s_sub_co_ci_u32 s7, s21, s23
	s_cmp_ge_u32 s7, s11
	s_cselect_b32 s20, -1, 0
	s_cmp_ge_u32 s3, s10
	s_cselect_b32 s3, -1, 0
	s_cmp_eq_u32 s7, s11
	s_cselect_b32 s3, s3, s20
	s_delay_alu instid0(SALU_CYCLE_1) | instskip(SKIP_4) | instid1(SALU_CYCLE_1)
	s_cmp_lg_u32 s3, 0
	s_mov_b32 s3, s17
	s_cselect_b32 s11, s14, s25
	s_cselect_b32 s10, s9, s24
	s_xor_b64 s[12:13], s[12:13], 0
	s_xor_b64 s[10:11], s[10:11], s[12:13]
	s_delay_alu instid0(SALU_CYCLE_1)
	s_sub_nc_u64 s[20:21], s[10:11], s[12:13]
	s_and_not1_b32 vcc_lo, exec_lo, s3
	s_cbranch_vccnz .LBB58_3
.LBB58_2:
	v_cvt_f32_u32_e32 v1, s16
	s_sub_co_i32 s7, 0, s16
	s_mov_b32 s21, 0
	s_delay_alu instid0(VALU_DEP_1) | instskip(SKIP_1) | instid1(TRANS32_DEP_1)
	v_rcp_iflag_f32_e32 v1, v1
	v_nop
	v_mul_f32_e32 v1, 0x4f7ffffe, v1
	s_delay_alu instid0(VALU_DEP_1) | instskip(NEXT) | instid1(VALU_DEP_1)
	v_cvt_u32_f32_e32 v1, v1
	v_readfirstlane_b32 s3, v1
	s_mul_i32 s7, s7, s3
	s_delay_alu instid0(SALU_CYCLE_1) | instskip(NEXT) | instid1(SALU_CYCLE_1)
	s_mul_hi_u32 s7, s3, s7
	s_add_co_i32 s3, s3, s7
	s_delay_alu instid0(SALU_CYCLE_1) | instskip(NEXT) | instid1(SALU_CYCLE_1)
	s_mul_hi_u32 s3, s8, s3
	s_mul_i32 s7, s3, s16
	s_delay_alu instid0(SALU_CYCLE_1)
	s_sub_co_i32 s7, s8, s7
	s_add_co_i32 s8, s3, 1
	s_sub_co_i32 s9, s7, s16
	s_cmp_ge_u32 s7, s16
	s_cselect_b32 s3, s8, s3
	s_cselect_b32 s7, s9, s7
	s_add_co_i32 s8, s3, 1
	s_cmp_ge_u32 s7, s16
	s_cselect_b32 s20, s8, s3
.LBB58_3:
	s_add_co_i32 s8, s2, 1
	s_delay_alu instid0(SALU_CYCLE_1) | instskip(NEXT) | instid1(SALU_CYCLE_1)
	s_ashr_i32 s9, s8, 31
	s_mul_u64 s[8:9], s[18:19], s[8:9]
	s_delay_alu instid0(SALU_CYCLE_1) | instskip(NEXT) | instid1(SALU_CYCLE_1)
	s_and_b64 s[10:11], s[8:9], 0xffffffff00000000
	s_cmp_lg_u64 s[10:11], 0
	s_cbranch_scc0 .LBB58_22
; %bb.4:
	s_add_nc_u64 s[10:11], s[16:17], 0
	s_delay_alu instid0(SALU_CYCLE_1) | instskip(SKIP_4) | instid1(SALU_CYCLE_2)
	s_xor_b64 s[12:13], s[10:11], 0
	s_mov_b32 s11, 0
	s_cvt_f32_u32 s3, s12
	s_cvt_f32_u32 s7, s13
	s_sub_nc_u64 s[24:25], 0, s[12:13]
	s_fmamk_f32 s3, s7, 0x4f800000, s3
	s_delay_alu instid0(SALU_CYCLE_3) | instskip(NEXT) | instid1(TRANS32_DEP_1)
	v_s_rcp_f32 s3, s3
	s_mul_f32 s3, s3, 0x5f7ffffc
	s_delay_alu instid0(SALU_CYCLE_3) | instskip(NEXT) | instid1(SALU_CYCLE_3)
	s_mul_f32 s7, s3, 0x2f800000
	s_trunc_f32 s7, s7
	s_delay_alu instid0(SALU_CYCLE_3) | instskip(SKIP_1) | instid1(SALU_CYCLE_2)
	s_fmamk_f32 s3, s7, 0xcf800000, s3
	s_cvt_u32_f32 s23, s7
	s_cvt_u32_f32 s22, s3
	s_delay_alu instid0(SALU_CYCLE_3) | instskip(NEXT) | instid1(SALU_CYCLE_1)
	s_mul_u64 s[26:27], s[24:25], s[22:23]
	s_mul_hi_u32 s29, s22, s27
	s_mul_i32 s28, s22, s27
	s_mul_hi_u32 s10, s22, s26
	s_mul_i32 s7, s23, s26
	s_add_nc_u64 s[28:29], s[10:11], s[28:29]
	s_mul_hi_u32 s3, s23, s26
	s_mul_hi_u32 s14, s23, s27
	s_add_co_u32 s7, s28, s7
	s_add_co_ci_u32 s10, s29, s3
	s_mul_i32 s26, s23, s27
	s_add_co_ci_u32 s27, s14, 0
	s_delay_alu instid0(SALU_CYCLE_1) | instskip(NEXT) | instid1(SALU_CYCLE_1)
	s_add_nc_u64 s[26:27], s[10:11], s[26:27]
	s_add_co_u32 s22, s22, s26
	s_cselect_b32 s3, -1, 0
	s_delay_alu instid0(SALU_CYCLE_1) | instskip(SKIP_1) | instid1(SALU_CYCLE_1)
	s_cmp_lg_u32 s3, 0
	s_add_co_ci_u32 s23, s23, s27
	s_mul_u64 s[24:25], s[24:25], s[22:23]
	s_delay_alu instid0(SALU_CYCLE_1)
	s_mul_hi_u32 s27, s22, s25
	s_mul_i32 s26, s22, s25
	s_mul_hi_u32 s10, s22, s24
	s_mul_i32 s7, s23, s24
	s_add_nc_u64 s[26:27], s[10:11], s[26:27]
	s_mul_hi_u32 s3, s23, s24
	s_mul_hi_u32 s14, s23, s25
	s_add_co_u32 s7, s26, s7
	s_add_co_ci_u32 s10, s27, s3
	s_mul_i32 s24, s23, s25
	s_add_co_ci_u32 s25, s14, 0
	s_delay_alu instid0(SALU_CYCLE_1) | instskip(NEXT) | instid1(SALU_CYCLE_1)
	s_add_nc_u64 s[24:25], s[10:11], s[24:25]
	s_add_co_u32 s3, s22, s24
	s_cselect_b32 s7, -1, 0
	s_delay_alu instid0(SALU_CYCLE_1) | instskip(SKIP_2) | instid1(SALU_CYCLE_1)
	s_cmp_lg_u32 s7, 0
	s_add_co_ci_u32 s7, s23, s25
	s_ashr_i32 s22, s9, 31
	s_mov_b32 s23, s22
	s_delay_alu instid0(SALU_CYCLE_1) | instskip(NEXT) | instid1(SALU_CYCLE_1)
	s_add_nc_u64 s[24:25], s[8:9], s[22:23]
	s_xor_b64 s[24:25], s[24:25], s[22:23]
	s_delay_alu instid0(SALU_CYCLE_1)
	s_mul_hi_u32 s27, s24, s7
	s_mul_i32 s26, s24, s7
	s_mul_hi_u32 s10, s24, s3
	s_mul_hi_u32 s14, s25, s3
	s_mul_i32 s3, s25, s3
	s_add_nc_u64 s[26:27], s[10:11], s[26:27]
	s_mul_hi_u32 s9, s25, s7
	s_add_co_u32 s3, s26, s3
	s_add_co_ci_u32 s10, s27, s14
	s_mul_i32 s28, s25, s7
	s_add_co_ci_u32 s29, s9, 0
	s_delay_alu instid0(SALU_CYCLE_1) | instskip(NEXT) | instid1(SALU_CYCLE_1)
	s_add_nc_u64 s[26:27], s[10:11], s[28:29]
	s_and_b64 s[28:29], s[26:27], 0xffffffff00000000
	s_delay_alu instid0(SALU_CYCLE_1) | instskip(NEXT) | instid1(SALU_CYCLE_1)
	s_or_b32 s28, s28, s26
	s_mul_u64 s[26:27], s[12:13], s[28:29]
	s_add_nc_u64 s[30:31], s[28:29], 1
	s_sub_co_u32 s3, s24, s26
	s_cselect_b32 s7, -1, 0
	s_sub_co_i32 s9, s25, s27
	s_cmp_lg_u32 s7, 0
	s_add_nc_u64 s[34:35], s[28:29], 2
	s_sub_co_ci_u32 s9, s9, s13
	s_sub_co_u32 s10, s3, s12
	s_cselect_b32 s14, -1, 0
	s_delay_alu instid0(SALU_CYCLE_1) | instskip(SKIP_1) | instid1(SALU_CYCLE_1)
	s_cmp_lg_u32 s14, 0
	s_sub_co_ci_u32 s9, s9, 0
	s_cmp_ge_u32 s9, s13
	s_cselect_b32 s14, -1, 0
	s_cmp_ge_u32 s10, s12
	s_cselect_b32 s10, -1, 0
	s_cmp_eq_u32 s9, s13
	s_cselect_b32 s9, s10, s14
	s_delay_alu instid0(SALU_CYCLE_1) | instskip(SKIP_4) | instid1(SALU_CYCLE_1)
	s_cmp_lg_u32 s9, 0
	s_cselect_b32 s9, s34, s30
	s_cselect_b32 s10, s35, s31
	s_cmp_lg_u32 s7, 0
	s_sub_co_ci_u32 s7, s25, s27
	s_cmp_ge_u32 s7, s13
	s_cselect_b32 s14, -1, 0
	s_cmp_ge_u32 s3, s12
	s_cselect_b32 s3, -1, 0
	s_cmp_eq_u32 s7, s13
	s_cselect_b32 s3, s3, s14
	s_delay_alu instid0(SALU_CYCLE_1) | instskip(SKIP_3) | instid1(SALU_CYCLE_1)
	s_cmp_lg_u32 s3, 0
	s_cselect_b32 s13, s10, s29
	s_cselect_b32 s12, s9, s28
	s_xor_b64 s[22:23], s[22:23], 0
	s_xor_b64 s[12:13], s[12:13], s[22:23]
	s_delay_alu instid0(SALU_CYCLE_1)
	s_sub_nc_u64 s[24:25], s[12:13], s[22:23]
	s_load_b96 s[12:14], s[0:1], 0x44
	s_cbranch_execnz .LBB58_6
.LBB58_5:
	v_cvt_f32_u32_e32 v1, s16
	s_sub_co_i32 s7, 0, s16
	s_delay_alu instid0(VALU_DEP_1) | instskip(SKIP_1) | instid1(TRANS32_DEP_1)
	v_rcp_iflag_f32_e32 v1, v1
	v_nop
	v_mul_f32_e32 v1, 0x4f7ffffe, v1
	s_delay_alu instid0(VALU_DEP_1) | instskip(NEXT) | instid1(VALU_DEP_1)
	v_cvt_u32_f32_e32 v1, v1
	v_readfirstlane_b32 s3, v1
	s_mul_i32 s7, s7, s3
	s_delay_alu instid0(SALU_CYCLE_1) | instskip(NEXT) | instid1(SALU_CYCLE_1)
	s_mul_hi_u32 s7, s3, s7
	s_add_co_i32 s3, s3, s7
	s_delay_alu instid0(SALU_CYCLE_1) | instskip(NEXT) | instid1(SALU_CYCLE_1)
	s_mul_hi_u32 s3, s8, s3
	s_mul_i32 s7, s3, s16
	s_delay_alu instid0(SALU_CYCLE_1)
	s_sub_co_i32 s7, s8, s7
	s_add_co_i32 s8, s3, 1
	s_sub_co_i32 s9, s7, s16
	s_cmp_ge_u32 s7, s16
	s_cselect_b32 s3, s8, s3
	s_cselect_b32 s7, s9, s7
	s_add_co_i32 s8, s3, 1
	s_cmp_ge_u32 s7, s16
	s_cselect_b32 s24, s8, s3
.LBB58_6:
	s_delay_alu instid0(SALU_CYCLE_1)
	s_cmp_eq_u32 s20, s24
	s_mov_b64 s[8:9], 0xffffffff
	s_cselect_b32 s3, -1, 0
	s_and_b64 s[8:9], s[20:21], s[8:9]
	s_mov_b32 s23, 0
	s_wait_kmcnt 0x0
	s_mov_b32 s22, s12
	s_mov_b32 s25, s23
	s_mul_u64 s[10:11], s[8:9], s[22:23]
	s_delay_alu instid0(SALU_CYCLE_1) | instskip(SKIP_2) | instid1(SALU_CYCLE_1)
	s_add_co_i32 s7, s11, s20
	s_mul_u64 s[10:11], s[24:25], s[22:23]
	s_lshr_b32 s12, s7, s13
	s_mul_i32 s7, s12, s14
	s_delay_alu instid0(SALU_CYCLE_1) | instskip(SKIP_2) | instid1(SALU_CYCLE_1)
	s_cmp_eq_u32 s7, s20
	s_cselect_b32 s7, -1, 0
	s_add_co_i32 s10, s11, s24
	s_lshr_b32 s10, s10, s13
	s_delay_alu instid0(SALU_CYCLE_1)
	s_cmp_eq_u32 s12, s10
	s_mul_i32 s10, s10, s14
	s_cselect_b32 s11, -1, 0
	s_cmp_lg_u32 s10, s24
	s_cselect_b32 s10, -1, 0
	s_or_b32 s3, s3, s7
	s_and_b32 s10, s11, s10
	s_delay_alu instid0(SALU_CYCLE_1) | instskip(NEXT) | instid1(SALU_CYCLE_1)
	s_or_b32 s3, s3, s10
	s_and_b32 vcc_lo, exec_lo, s3
	s_cbranch_vccnz .LBB58_24
; %bb.7:
	s_load_b256 s[24:31], s[0:1], 0x20
	s_bfe_u32 s7, ttmp6, 0x40014
	s_bfe_u32 s33, ttmp6, 0x40010
	s_lshr_b32 s3, ttmp7, 16
	s_add_co_i32 s7, s7, 1
	s_and_b32 s21, ttmp7, 0xffff
	s_add_co_i32 s33, s33, 1
	s_bfe_u32 s10, ttmp6, 0x40008
	s_mul_i32 s7, s3, s7
	s_bfe_u32 s34, ttmp6, 0x40004
	s_mul_i32 s33, s21, s33
	s_mov_b32 s11, s23
	s_add_co_i32 s7, s10, s7
	s_add_co_i32 s34, s34, s33
	s_cmp_eq_u32 s15, 0
	s_cselect_b32 s15, s21, s34
	s_cselect_b32 s3, s3, s7
	s_wait_kmcnt 0x0
	s_mov_b32 s10, s24
	s_delay_alu instid0(SALU_CYCLE_1) | instskip(SKIP_2) | instid1(SALU_CYCLE_1)
	s_mul_u64 s[8:9], s[8:9], s[10:11]
	s_load_b32 s8, s[0:1], 0x40
	s_add_co_i32 s7, s9, s20
	s_lshr_b32 s7, s7, s25
	s_delay_alu instid0(SALU_CYCLE_1) | instskip(NEXT) | instid1(SALU_CYCLE_1)
	s_mul_i32 s9, s7, s26
	s_sub_co_i32 s9, s20, s9
	s_delay_alu instid0(SALU_CYCLE_1) | instskip(NEXT) | instid1(SALU_CYCLE_1)
	s_mul_hi_u32 s10, s9, s27
	s_add_co_i32 s10, s9, s10
	s_delay_alu instid0(SALU_CYCLE_1) | instskip(NEXT) | instid1(SALU_CYCLE_1)
	s_lshr_b32 s21, s10, s28
	s_mul_i32 s10, s21, s29
	s_delay_alu instid0(SALU_CYCLE_1) | instskip(NEXT) | instid1(SALU_CYCLE_1)
	s_sub_co_i32 s10, s9, s10
	s_mul_hi_u32 s9, s10, s30
	s_delay_alu instid0(SALU_CYCLE_1) | instskip(NEXT) | instid1(SALU_CYCLE_1)
	s_add_co_i32 s9, s10, s9
	s_lshr_b32 s25, s9, s31
	s_mov_b32 s9, s23
	s_wait_kmcnt 0x0
	s_mul_i32 s8, s25, s8
	s_delay_alu instid0(SALU_CYCLE_1) | instskip(NEXT) | instid1(SALU_CYCLE_1)
	s_sub_co_i32 s8, s10, s8
	s_mul_u64 s[10:11], s[8:9], s[22:23]
	s_delay_alu instid0(SALU_CYCLE_1) | instskip(NEXT) | instid1(SALU_CYCLE_1)
	s_add_co_i32 s8, s8, s11
	s_lshr_b32 s24, s8, s13
	s_delay_alu instid0(SALU_CYCLE_1) | instskip(NEXT) | instid1(SALU_CYCLE_1)
	s_lshl_b32 s8, s24, 5
	s_add_co_i32 s8, s8, s15
	s_delay_alu instid0(SALU_CYCLE_1) | instskip(SKIP_2) | instid1(SALU_CYCLE_1)
	s_cmp_lt_i32 s8, s4
	s_cselect_b32 s8, -1, 0
	s_add_co_i32 s25, s25, s3
	s_cmp_lt_i32 s25, s6
	s_cselect_b32 s9, -1, 0
	s_delay_alu instid0(SALU_CYCLE_1) | instskip(NEXT) | instid1(SALU_CYCLE_1)
	s_and_b32 s8, s8, s9
	s_and_not1_b32 vcc_lo, exec_lo, s8
	s_cbranch_vccnz .LBB58_24
; %bb.8:
	s_load_b128 s[8:11], s[0:1], 0x0
	s_wait_xcnt 0x0
	s_mul_i32 s0, s7, s4
	s_mul_i32 s21, s21, s6
	s_add_co_i32 s0, s0, s15
	s_add_co_i32 s1, s25, s21
	s_mul_i32 s0, s0, s5
	s_mul_i32 s4, s5, s24
	s_add_co_i32 s0, s1, s0
	s_mulk_i32 s4, 0xc00
	s_mulk_i32 s0, 0x60
	s_add_co_i32 s15, s15, s3
	v_add3_u32 v2, s4, s0, v0
	s_add_nc_u64 s[0:1], s[16:17], 0
	v_cvt_f32_u32_e32 v4, s16
	s_xor_b64 s[6:7], s[0:1], 0
	s_lshl_b32 s0, s2, 5
	s_cvt_f32_u32 s3, s6
	s_cvt_f32_u32 s4, s7
	s_add_co_i32 s0, s0, s15
	v_rcp_iflag_f32_e32 v4, v4
	s_wait_kmcnt 0x0
	global_load_b32 v1, v2, s[8:9] scale_offset
	s_fmamk_f32 s3, s4, 0x4f800000, s3
	s_ashr_i32 s1, s0, 31
	s_lshl_b32 s24, s16, 7
	s_lshl_b64 s[0:1], s[0:1], 3
	v_s_rcp_f32 s3, s3
	s_add_nc_u64 s[0:1], s[10:11], s[0:1]
	s_mov_b32 s25, 0
	s_load_b64 s[28:29], s[0:1], 0x0
	v_mad_u32 v6, 0x60, s15, v0
	v_dual_mul_f32 v4, 0x4f7ffffe, v4 :: v_dual_ashrrev_i32 v3, 31, v2
	s_wait_xcnt 0x0
	s_lshl_b64 s[0:1], s[24:25], 2
	s_mul_f32 s3, s3, 0x5f7ffffc
	s_add_nc_u64 s[26:27], s[10:11], s[0:1]
	v_lshl_add_u64 v[2:3], v[2:3], 2, s[8:9]
	v_cvt_u32_f32_e32 v7, v4
	s_mul_f32 s4, s3, 0x2f800000
	s_mov_b64 s[8:9], 0xffffffff
	s_add_co_i32 s36, s2, -1
	s_sub_nc_u64 s[34:35], 0, s[6:7]
	s_trunc_f32 s4, s4
	s_delay_alu instid0(SALU_CYCLE_3)
	s_fmamk_f32 s0, s4, 0xcf800000, s3
	s_cvt_u32_f32 s31, s4
	s_wait_kmcnt 0x0
	v_mov_b32_e32 v0, s29
	s_cvt_u32_f32 s30, s0
.LBB58_9:                               ; =>This Inner Loop Header: Depth=1
	s_ashr_i32 s37, s36, 31
                                        ; implicit-def: $sgpr40_sgpr41
	s_delay_alu instid0(SALU_CYCLE_1) | instskip(NEXT) | instid1(SALU_CYCLE_1)
	s_mul_u64 s[0:1], s[36:37], s[18:19]
	s_and_b64 s[2:3], s[0:1], 0xffffffff00000000
	s_delay_alu instid0(SALU_CYCLE_1)
	s_cmp_lg_u64 s[2:3], 0
	s_mov_b32 s2, -1
	s_cbranch_scc0 .LBB58_11
; %bb.10:                               ;   in Loop: Header=BB58_9 Depth=1
	s_mul_u64 s[2:3], s[34:35], s[30:31]
	s_delay_alu instid0(SALU_CYCLE_1)
	s_mul_hi_u32 s5, s30, s3
	s_mul_i32 s4, s30, s3
	s_mul_hi_u32 s24, s30, s2
	s_mul_hi_u32 s17, s31, s2
	s_add_nc_u64 s[4:5], s[24:25], s[4:5]
	s_mul_i32 s2, s31, s2
	s_mul_hi_u32 s21, s31, s3
	s_add_co_u32 s2, s4, s2
	s_add_co_ci_u32 s24, s5, s17
	s_add_co_ci_u32 s5, s21, 0
	s_mul_i32 s4, s31, s3
	s_delay_alu instid0(SALU_CYCLE_1) | instskip(NEXT) | instid1(SALU_CYCLE_1)
	s_add_nc_u64 s[2:3], s[24:25], s[4:5]
	s_add_co_u32 s2, s30, s2
	s_cselect_b32 s4, -1, 0
	s_delay_alu instid0(SALU_CYCLE_1) | instskip(SKIP_1) | instid1(SALU_CYCLE_1)
	s_cmp_lg_u32 s4, 0
	s_add_co_ci_u32 s3, s31, s3
	s_mul_u64 s[4:5], s[34:35], s[2:3]
	s_delay_alu instid0(SALU_CYCLE_1)
	s_mul_hi_u32 s39, s2, s5
	s_mul_i32 s38, s2, s5
	s_mul_hi_u32 s24, s2, s4
	s_mul_hi_u32 s17, s3, s4
	s_mul_i32 s4, s3, s4
	s_add_nc_u64 s[38:39], s[24:25], s[38:39]
	s_mul_hi_u32 s21, s3, s5
	s_add_co_u32 s4, s38, s4
	s_add_co_ci_u32 s24, s39, s17
	s_mul_i32 s4, s3, s5
	s_add_co_ci_u32 s5, s21, 0
	s_delay_alu instid0(SALU_CYCLE_1) | instskip(NEXT) | instid1(SALU_CYCLE_1)
	s_add_nc_u64 s[4:5], s[24:25], s[4:5]
	s_add_co_u32 s17, s2, s4
	s_cselect_b32 s2, -1, 0
	s_delay_alu instid0(SALU_CYCLE_1) | instskip(SKIP_2) | instid1(SALU_CYCLE_1)
	s_cmp_lg_u32 s2, 0
	s_add_co_ci_u32 s21, s3, s5
	s_ashr_i32 s2, s1, 31
	s_mov_b32 s3, s2
	s_delay_alu instid0(SALU_CYCLE_1) | instskip(NEXT) | instid1(SALU_CYCLE_1)
	s_add_nc_u64 s[4:5], s[0:1], s[2:3]
	s_xor_b64 s[4:5], s[4:5], s[2:3]
	s_delay_alu instid0(SALU_CYCLE_1)
	s_mul_hi_u32 s39, s4, s21
	s_mul_i32 s38, s4, s21
	s_mul_hi_u32 s24, s4, s17
	s_mul_hi_u32 s29, s5, s17
	s_mul_i32 s17, s5, s17
	s_add_nc_u64 s[38:39], s[24:25], s[38:39]
	s_mul_hi_u32 s1, s5, s21
	s_add_co_u32 s17, s38, s17
	s_add_co_ci_u32 s24, s39, s29
	s_mul_i32 s40, s5, s21
	s_add_co_ci_u32 s41, s1, 0
	s_delay_alu instid0(SALU_CYCLE_1) | instskip(NEXT) | instid1(SALU_CYCLE_1)
	s_add_nc_u64 s[38:39], s[24:25], s[40:41]
	s_and_b64 s[40:41], s[38:39], 0xffffffff00000000
	s_delay_alu instid0(SALU_CYCLE_1) | instskip(NEXT) | instid1(SALU_CYCLE_1)
	s_or_b32 s40, s40, s38
	s_mul_u64 s[38:39], s[6:7], s[40:41]
	s_add_nc_u64 s[42:43], s[40:41], 1
	s_sub_co_u32 s1, s4, s38
	s_cselect_b32 s4, -1, 0
	s_sub_co_i32 s17, s5, s39
	s_cmp_lg_u32 s4, 0
	s_add_nc_u64 s[44:45], s[40:41], 2
	s_sub_co_ci_u32 s17, s17, s7
	s_sub_co_u32 s21, s1, s6
	s_cselect_b32 s24, -1, 0
	s_delay_alu instid0(SALU_CYCLE_1) | instskip(SKIP_1) | instid1(SALU_CYCLE_1)
	s_cmp_lg_u32 s24, 0
	s_sub_co_ci_u32 s17, s17, 0
	s_cmp_ge_u32 s17, s7
	s_cselect_b32 s24, -1, 0
	s_cmp_ge_u32 s21, s6
	s_cselect_b32 s21, -1, 0
	s_cmp_eq_u32 s17, s7
	s_cselect_b32 s17, s21, s24
	s_delay_alu instid0(SALU_CYCLE_1) | instskip(SKIP_4) | instid1(SALU_CYCLE_1)
	s_cmp_lg_u32 s17, 0
	s_cselect_b32 s17, s44, s42
	s_cselect_b32 s21, s45, s43
	s_cmp_lg_u32 s4, 0
	s_sub_co_ci_u32 s4, s5, s39
	s_cmp_ge_u32 s4, s7
	s_cselect_b32 s5, -1, 0
	s_cmp_ge_u32 s1, s6
	s_cselect_b32 s1, -1, 0
	s_cmp_eq_u32 s4, s7
	s_cselect_b32 s1, s1, s5
	s_delay_alu instid0(SALU_CYCLE_1) | instskip(SKIP_3) | instid1(SALU_CYCLE_1)
	s_cmp_lg_u32 s1, 0
	s_cselect_b32 s5, s21, s41
	s_cselect_b32 s4, s17, s40
	s_xor_b64 s[2:3], s[2:3], 0
	s_xor_b64 s[4:5], s[4:5], s[2:3]
	s_delay_alu instid0(SALU_CYCLE_1)
	s_sub_nc_u64 s[40:41], s[4:5], s[2:3]
	s_mov_b32 s2, 0
.LBB58_11:                              ;   in Loop: Header=BB58_9 Depth=1
	s_delay_alu instid0(SALU_CYCLE_1)
	s_and_not1_b32 vcc_lo, exec_lo, s2
	s_cbranch_vccnz .LBB58_13
; %bb.12:                               ;   in Loop: Header=BB58_9 Depth=1
	v_readfirstlane_b32 s1, v7
	s_sub_co_i32 s2, 0, s16
	s_delay_alu instid0(SALU_CYCLE_1) | instskip(NEXT) | instid1(SALU_CYCLE_1)
	s_mul_i32 s2, s2, s1
	s_mul_hi_u32 s2, s1, s2
	s_delay_alu instid0(SALU_CYCLE_1) | instskip(NEXT) | instid1(SALU_CYCLE_1)
	s_add_co_i32 s1, s1, s2
	s_mul_hi_u32 s1, s0, s1
	s_delay_alu instid0(SALU_CYCLE_1) | instskip(NEXT) | instid1(SALU_CYCLE_1)
	s_mul_i32 s2, s1, s16
	s_sub_co_i32 s0, s0, s2
	s_add_co_i32 s2, s1, 1
	s_sub_co_i32 s3, s0, s16
	s_cmp_ge_u32 s0, s16
	s_cselect_b32 s1, s2, s1
	s_cselect_b32 s0, s3, s0
	s_add_co_i32 s2, s1, 1
	s_cmp_ge_u32 s0, s16
	s_cselect_b32 s24, s2, s1
	s_delay_alu instid0(SALU_CYCLE_1)
	s_mov_b64 s[40:41], s[24:25]
.LBB58_13:                              ;   in Loop: Header=BB58_9 Depth=1
	s_delay_alu instid0(SALU_CYCLE_1)
	s_cmp_lg_u32 s20, s40
	s_mov_b32 s0, -1
                                        ; implicit-def: $vgpr4_vgpr5
                                        ; implicit-def: $sgpr24
                                        ; implicit-def: $sgpr17
                                        ; implicit-def: $sgpr21
                                        ; implicit-def: $sgpr29
	s_cbranch_scc0 .LBB58_18
; %bb.14:                               ;   in Loop: Header=BB58_9 Depth=1
	s_add_co_i32 s0, s36, s16
	v_max_num_f32_e64 v4, s28, s28
	s_lshl_b32 s0, s0, 5
	s_mov_b32 s29, s20
	s_add_co_i32 s0, s0, s15
	s_load_b64 s[38:39], s[10:11], s0 offset:0x0 scale_offset
	s_wait_xcnt 0x0
	v_readfirstlane_b32 s0, v4
	s_wait_kmcnt 0x0
	v_max_num_f32_e64 v5, s38, s38
	s_delay_alu instid0(VALU_DEP_1) | instskip(SKIP_1) | instid1(SALU_CYCLE_3)
	v_readfirstlane_b32 s1, v5
	s_max_num_f32 s17, s0, s1
	s_sub_f32 s33, s28, s17
	s_sub_f32 s37, s38, s17
	s_delay_alu instid0(SALU_CYCLE_2)
	s_cmp_nlt_f32 s33, 0xc2ce8ed0
	s_cselect_b32 s1, -1, 0
	s_cmp_ngt_f32 s33, 0x42b17218
	s_cselect_b32 s2, -1, 0
	s_cmp_ge_f32 s33, 0xc1a00000
	s_cselect_b32 s0, -1, 0
	s_cmp_nlt_f32 s37, 0xc2ce8ed0
	s_cselect_b32 s3, -1, 0
	s_cmp_ngt_f32 s37, 0x42b17218
	s_cselect_b32 s4, -1, 0
	s_cmp_ge_f32 s37, 0xc1a00000
	s_cselect_b32 s5, -1, 0
	s_and_b64 s[42:43], s[40:41], s[8:9]
	s_delay_alu instid0(SALU_CYCLE_1) | instskip(NEXT) | instid1(SALU_CYCLE_1)
	s_mul_u64 s[42:43], s[42:43], s[22:23]
	s_add_co_i32 s21, s43, s40
	s_delay_alu instid0(SALU_CYCLE_1) | instskip(NEXT) | instid1(SALU_CYCLE_1)
	s_lshr_b32 s21, s21, s13
	s_mul_i32 s24, s21, s14
	s_delay_alu instid0(SALU_CYCLE_1) | instskip(SKIP_3) | instid1(SALU_CYCLE_1)
	s_cmp_eq_u32 s24, s40
	s_cselect_b32 s24, -1, 0
	s_cmp_lt_u32 s21, s12
	s_cselect_b32 s21, -1, 0
	s_or_b32 s21, s21, s24
	s_mov_b32 s24, -1
	s_and_b32 vcc_lo, exec_lo, s21
	s_mov_b32 s21, s36
	s_cbranch_vccnz .LBB58_16
; %bb.15:                               ;   in Loop: Header=BB58_9 Depth=1
	s_add_co_i32 s21, s36, -1
	s_mov_b32 s24, 0
	s_mov_b32 s29, s40
.LBB58_16:                              ;   in Loop: Header=BB58_9 Depth=1
	v_mad_u32 v4, 0xc00, s36, v6
	s_mul_f32 s40, s33, 0x3fb8aa3b
	s_mul_f32 s38, s37, 0x3fb8aa3b
	s_delay_alu instid0(SALU_CYCLE_2)
	s_xor_b32 s42, s40, 0x80000000
	s_rndne_f32 s44, s40
	s_fmamk_f32 s42, s33, 0x3fb8aa3b, s42
	s_xor_b32 s41, s38, 0x80000000
	s_rndne_f32 s43, s38
	s_sub_f32 s40, s40, s44
	global_load_b32 v5, v4, s[26:27] scale_offset
	s_fmamk_f32 s33, s33, 0x32a5705f, s42
	s_fmamk_f32 s41, s37, 0x3fb8aa3b, s41
	s_sub_f32 s38, s38, s43
	s_delay_alu instid0(SALU_CYCLE_1) | instskip(NEXT) | instid1(SALU_CYCLE_1)
	s_add_f32 s33, s40, s33
	s_fmamk_f32 s37, s37, 0x32a5705f, s41
	s_cvt_i32_f32 s40, s44
	s_delay_alu instid0(SALU_CYCLE_1) | instskip(NEXT) | instid1(SALU_CYCLE_1)
	v_s_exp_f32 s33, s33
	s_add_f32 s37, s38, s37
	s_cvt_i32_f32 s38, s43
	s_delay_alu instid0(SALU_CYCLE_2) | instskip(NEXT) | instid1(TRANS32_DEP_2)
	v_s_exp_f32 s37, s37
	v_ldexp_f32 v8, s33, s40
	s_wait_xcnt 0x0
	s_delay_alu instid0(TRANS32_DEP_1) | instskip(NEXT) | instid1(VALU_DEP_2)
	v_ldexp_f32 v4, s37, s38
	v_cndmask_b32_e64 v8, 0, v8, s1
	s_delay_alu instid0(VALU_DEP_1) | instskip(NEXT) | instid1(VALU_DEP_1)
	v_cndmask_b32_e64 v9, 0x7f800000, v8, s2
	v_dual_cndmask_b32 v4, 0, v4, s3 :: v_dual_cndmask_b32 v10, 0, v9, s0
	s_delay_alu instid0(VALU_DEP_1) | instskip(NEXT) | instid1(VALU_DEP_1)
	v_cndmask_b32_e64 v4, 0x7f800000, v4, s4
	v_dual_cndmask_b32 v8, 0, v4, s5 :: v_dual_mov_b32 v4, s39
	s_wait_loadcnt 0x0
	s_delay_alu instid0(VALU_DEP_1) | instskip(NEXT) | instid1(VALU_DEP_1)
	v_pk_mul_f32 v[4:5], v[4:5], v[8:9] op_sel_hi:[1,0]
	v_pk_fma_f32 v[4:5], v[0:1], v[10:11], v[4:5] op_sel_hi:[1,0,1]
	s_cbranch_execz .LBB58_19
.LBB58_17:                              ;   in Loop: Header=BB58_9 Depth=1
	s_and_not1_b32 vcc_lo, exec_lo, s24
	s_cbranch_vccnz .LBB58_20
	s_branch .LBB58_23
.LBB58_18:                              ;   in Loop: Header=BB58_9 Depth=1
	s_and_not1_b32 vcc_lo, exec_lo, s0
	s_cbranch_vccnz .LBB58_17
.LBB58_19:                              ;   in Loop: Header=BB58_9 Depth=1
	s_wait_loadcnt 0x0
	v_mov_b64_e32 v[4:5], v[0:1]
	s_add_co_i32 s21, s36, -1
	s_mov_b32 s29, s20
	s_mov_b32 s17, s28
	s_cbranch_execz .LBB58_23
.LBB58_20:                              ;   in Loop: Header=BB58_9 Depth=1
	s_wait_loadcnt 0x0
	s_delay_alu instid0(VALU_DEP_1)
	v_mov_b64_e32 v[0:1], v[4:5]
	s_mov_b32 s20, s29
	s_mov_b32 s36, s21
	;; [unrolled: 1-line block ×3, first 2 shown]
	s_branch .LBB58_9
.LBB58_21:
                                        ; implicit-def: $sgpr20_sgpr21
	s_branch .LBB58_2
.LBB58_22:
                                        ; implicit-def: $sgpr24_sgpr25
	s_load_b96 s[12:14], s[0:1], 0x44
	s_branch .LBB58_5
.LBB58_23:
	s_delay_alu instid0(VALU_DEP_1) | instskip(SKIP_1) | instid1(VALU_DEP_1)
	v_div_scale_f32 v0, null, v4, v4, v5
	s_wait_loadcnt 0x0
	v_rcp_f32_e32 v1, v0
	v_nop
	s_delay_alu instid0(TRANS32_DEP_1) | instskip(NEXT) | instid1(VALU_DEP_1)
	v_fma_f32 v6, -v0, v1, 1.0
	v_fmac_f32_e32 v1, v6, v1
	v_div_scale_f32 v6, vcc_lo, v5, v4, v5
	s_delay_alu instid0(VALU_DEP_1) | instskip(NEXT) | instid1(VALU_DEP_1)
	v_mul_f32_e32 v7, v6, v1
	v_fma_f32 v8, -v0, v7, v6
	s_delay_alu instid0(VALU_DEP_1) | instskip(NEXT) | instid1(VALU_DEP_1)
	v_fmac_f32_e32 v7, v8, v1
	v_fma_f32 v0, -v0, v7, v6
	s_delay_alu instid0(VALU_DEP_1) | instskip(NEXT) | instid1(VALU_DEP_1)
	v_div_fmas_f32 v0, v0, v1, v7
	v_div_fixup_f32 v0, v0, v4, v5
	global_store_b32 v[2:3], v0, off
.LBB58_24:
	s_endpgm
	.section	.rodata,"a",@progbits
	.p2align	6, 0x0
	.amdhsa_kernel _ZL33flash_attn_stream_k_fixup_generalILi96ELi32ELi1EEvPfPK15HIP_vector_typeIfLj2EEiiiiS1_IjLj3EES5_S5_S5_
		.amdhsa_group_segment_fixed_size 0
		.amdhsa_private_segment_fixed_size 0
		.amdhsa_kernarg_size 336
		.amdhsa_user_sgpr_count 2
		.amdhsa_user_sgpr_dispatch_ptr 0
		.amdhsa_user_sgpr_queue_ptr 0
		.amdhsa_user_sgpr_kernarg_segment_ptr 1
		.amdhsa_user_sgpr_dispatch_id 0
		.amdhsa_user_sgpr_kernarg_preload_length 0
		.amdhsa_user_sgpr_kernarg_preload_offset 0
		.amdhsa_user_sgpr_private_segment_size 0
		.amdhsa_wavefront_size32 1
		.amdhsa_uses_dynamic_stack 0
		.amdhsa_enable_private_segment 0
		.amdhsa_system_sgpr_workgroup_id_x 1
		.amdhsa_system_sgpr_workgroup_id_y 1
		.amdhsa_system_sgpr_workgroup_id_z 1
		.amdhsa_system_sgpr_workgroup_info 0
		.amdhsa_system_vgpr_workitem_id 0
		.amdhsa_next_free_vgpr 12
		.amdhsa_next_free_sgpr 46
		.amdhsa_named_barrier_count 0
		.amdhsa_reserve_vcc 1
		.amdhsa_float_round_mode_32 0
		.amdhsa_float_round_mode_16_64 0
		.amdhsa_float_denorm_mode_32 3
		.amdhsa_float_denorm_mode_16_64 3
		.amdhsa_fp16_overflow 0
		.amdhsa_memory_ordered 1
		.amdhsa_forward_progress 1
		.amdhsa_inst_pref_size 27
		.amdhsa_round_robin_scheduling 0
		.amdhsa_exception_fp_ieee_invalid_op 0
		.amdhsa_exception_fp_denorm_src 0
		.amdhsa_exception_fp_ieee_div_zero 0
		.amdhsa_exception_fp_ieee_overflow 0
		.amdhsa_exception_fp_ieee_underflow 0
		.amdhsa_exception_fp_ieee_inexact 0
		.amdhsa_exception_int_div_zero 0
	.end_amdhsa_kernel
	.section	.text._ZL33flash_attn_stream_k_fixup_generalILi96ELi32ELi1EEvPfPK15HIP_vector_typeIfLj2EEiiiiS1_IjLj3EES5_S5_S5_,"axG",@progbits,_ZL33flash_attn_stream_k_fixup_generalILi96ELi32ELi1EEvPfPK15HIP_vector_typeIfLj2EEiiiiS1_IjLj3EES5_S5_S5_,comdat
.Lfunc_end58:
	.size	_ZL33flash_attn_stream_k_fixup_generalILi96ELi32ELi1EEvPfPK15HIP_vector_typeIfLj2EEiiiiS1_IjLj3EES5_S5_S5_, .Lfunc_end58-_ZL33flash_attn_stream_k_fixup_generalILi96ELi32ELi1EEvPfPK15HIP_vector_typeIfLj2EEiiiiS1_IjLj3EES5_S5_S5_
                                        ; -- End function
	.set _ZL33flash_attn_stream_k_fixup_generalILi96ELi32ELi1EEvPfPK15HIP_vector_typeIfLj2EEiiiiS1_IjLj3EES5_S5_S5_.num_vgpr, 12
	.set _ZL33flash_attn_stream_k_fixup_generalILi96ELi32ELi1EEvPfPK15HIP_vector_typeIfLj2EEiiiiS1_IjLj3EES5_S5_S5_.num_agpr, 0
	.set _ZL33flash_attn_stream_k_fixup_generalILi96ELi32ELi1EEvPfPK15HIP_vector_typeIfLj2EEiiiiS1_IjLj3EES5_S5_S5_.numbered_sgpr, 46
	.set _ZL33flash_attn_stream_k_fixup_generalILi96ELi32ELi1EEvPfPK15HIP_vector_typeIfLj2EEiiiiS1_IjLj3EES5_S5_S5_.num_named_barrier, 0
	.set _ZL33flash_attn_stream_k_fixup_generalILi96ELi32ELi1EEvPfPK15HIP_vector_typeIfLj2EEiiiiS1_IjLj3EES5_S5_S5_.private_seg_size, 0
	.set _ZL33flash_attn_stream_k_fixup_generalILi96ELi32ELi1EEvPfPK15HIP_vector_typeIfLj2EEiiiiS1_IjLj3EES5_S5_S5_.uses_vcc, 1
	.set _ZL33flash_attn_stream_k_fixup_generalILi96ELi32ELi1EEvPfPK15HIP_vector_typeIfLj2EEiiiiS1_IjLj3EES5_S5_S5_.uses_flat_scratch, 0
	.set _ZL33flash_attn_stream_k_fixup_generalILi96ELi32ELi1EEvPfPK15HIP_vector_typeIfLj2EEiiiiS1_IjLj3EES5_S5_S5_.has_dyn_sized_stack, 0
	.set _ZL33flash_attn_stream_k_fixup_generalILi96ELi32ELi1EEvPfPK15HIP_vector_typeIfLj2EEiiiiS1_IjLj3EES5_S5_S5_.has_recursion, 0
	.set _ZL33flash_attn_stream_k_fixup_generalILi96ELi32ELi1EEvPfPK15HIP_vector_typeIfLj2EEiiiiS1_IjLj3EES5_S5_S5_.has_indirect_call, 0
	.section	.AMDGPU.csdata,"",@progbits
; Kernel info:
; codeLenInByte = 3344
; TotalNumSgprs: 48
; NumVgprs: 12
; ScratchSize: 0
; MemoryBound: 0
; FloatMode: 240
; IeeeMode: 1
; LDSByteSize: 0 bytes/workgroup (compile time only)
; SGPRBlocks: 0
; VGPRBlocks: 0
; NumSGPRsForWavesPerEU: 48
; NumVGPRsForWavesPerEU: 12
; NamedBarCnt: 0
; Occupancy: 16
; WaveLimiterHint : 0
; COMPUTE_PGM_RSRC2:SCRATCH_EN: 0
; COMPUTE_PGM_RSRC2:USER_SGPR: 2
; COMPUTE_PGM_RSRC2:TRAP_HANDLER: 0
; COMPUTE_PGM_RSRC2:TGID_X_EN: 1
; COMPUTE_PGM_RSRC2:TGID_Y_EN: 1
; COMPUTE_PGM_RSRC2:TGID_Z_EN: 1
; COMPUTE_PGM_RSRC2:TIDIG_COMP_CNT: 0
	.section	.text._ZL15flash_attn_tileILi96ELi96ELi16ELi1ELb0EEvPKcS1_S1_S1_S1_PKiPfP15HIP_vector_typeIfLj2EEffffjfiS5_IjLj3EEiiiiiiiiiiiliiliiiiil,"axG",@progbits,_ZL15flash_attn_tileILi96ELi96ELi16ELi1ELb0EEvPKcS1_S1_S1_S1_PKiPfP15HIP_vector_typeIfLj2EEffffjfiS5_IjLj3EEiiiiiiiiiiiliiliiiiil,comdat
	.globl	_ZL15flash_attn_tileILi96ELi96ELi16ELi1ELb0EEvPKcS1_S1_S1_S1_PKiPfP15HIP_vector_typeIfLj2EEffffjfiS5_IjLj3EEiiiiiiiiiiiliiliiiiil ; -- Begin function _ZL15flash_attn_tileILi96ELi96ELi16ELi1ELb0EEvPKcS1_S1_S1_S1_PKiPfP15HIP_vector_typeIfLj2EEffffjfiS5_IjLj3EEiiiiiiiiiiiliiliiiiil
	.p2align	8
	.type	_ZL15flash_attn_tileILi96ELi96ELi16ELi1ELb0EEvPKcS1_S1_S1_S1_PKiPfP15HIP_vector_typeIfLj2EEffffjfiS5_IjLj3EEiiiiiiiiiiiliiliiiiil,@function
_ZL15flash_attn_tileILi96ELi96ELi16ELi1ELb0EEvPKcS1_S1_S1_S1_PKiPfP15HIP_vector_typeIfLj2EEffffjfiS5_IjLj3EEiiiiiiiiiiiliiliiiiil: ; @_ZL15flash_attn_tileILi96ELi96ELi16ELi1ELb0EEvPKcS1_S1_S1_S1_PKiPfP15HIP_vector_typeIfLj2EEffffjfiS5_IjLj3EEiiiiiiiiiiiliiliiiiil
; %bb.0:
	s_clause 0x1
	s_load_b128 s[20:23], s[0:1], 0x5c
	s_load_b64 s[38:39], s[0:1], 0x80
	s_bfe_u32 s4, ttmp6, 0x40014
	s_lshr_b32 s3, ttmp7, 16
	s_add_co_i32 s4, s4, 1
	s_bfe_u32 s5, ttmp6, 0x40008
	s_mul_i32 s4, s3, s4
	s_getreg_b32 s42, hwreg(HW_REG_IB_STS2, 6, 4)
	s_add_co_i32 s5, s5, s4
	s_mov_b32 s41, 0
	s_mov_b64 s[36:37], 0
	s_wait_kmcnt 0x0
	s_cvt_f32_u32 s2, s23
	s_sub_co_i32 s6, 0, s23
	s_delay_alu instid0(SALU_CYCLE_2) | instskip(SKIP_1) | instid1(TRANS32_DEP_1)
	v_rcp_iflag_f32_e32 v1, s2
	v_nop
	v_readfirstlane_b32 s2, v1
	s_mul_f32 s2, s2, 0x4f7ffffe
	s_delay_alu instid0(SALU_CYCLE_3) | instskip(NEXT) | instid1(SALU_CYCLE_3)
	s_cvt_u32_f32 s2, s2
	s_mul_i32 s6, s6, s2
	s_delay_alu instid0(SALU_CYCLE_1) | instskip(NEXT) | instid1(SALU_CYCLE_1)
	s_mul_hi_u32 s6, s2, s6
	s_add_co_i32 s2, s2, s6
	s_cmp_eq_u32 s42, 0
	s_cselect_b32 s28, s3, s5
	s_delay_alu instid0(SALU_CYCLE_1) | instskip(NEXT) | instid1(SALU_CYCLE_1)
	s_mul_hi_u32 s2, s28, s2
	s_mul_i32 s3, s2, s23
	s_add_co_i32 s4, s2, 1
	s_sub_co_i32 s3, s28, s3
	s_delay_alu instid0(SALU_CYCLE_1)
	s_sub_co_i32 s5, s3, s23
	s_cmp_ge_u32 s3, s23
	s_cselect_b32 s2, s4, s2
	s_cselect_b32 s3, s5, s3
	s_add_co_i32 s4, s2, 1
	s_cmp_ge_u32 s3, s23
	s_cselect_b32 s34, s4, s2
	s_abs_i32 s2, s39
	s_abs_i32 s5, s23
	s_cvt_f32_u32 s3, s2
	s_sub_co_i32 s4, 0, s2
	s_mul_i32 s29, s34, s23
	s_delay_alu instid0(SALU_CYCLE_1) | instskip(SKIP_1) | instid1(TRANS32_DEP_1)
	v_rcp_iflag_f32_e32 v1, s3
	v_nop
	v_readfirstlane_b32 s3, v1
	s_mul_f32 s3, s3, 0x4f7ffffe
	s_delay_alu instid0(SALU_CYCLE_3) | instskip(NEXT) | instid1(SALU_CYCLE_3)
	s_cvt_u32_f32 s3, s3
	s_mul_i32 s4, s4, s3
	s_delay_alu instid0(SALU_CYCLE_1) | instskip(NEXT) | instid1(SALU_CYCLE_1)
	s_mul_hi_u32 s4, s3, s4
	s_add_co_i32 s3, s3, s4
	s_xor_b32 s4, s23, s39
	s_mul_hi_u32 s3, s5, s3
	s_ashr_i32 s4, s4, 31
	s_mul_i32 s6, s3, s2
	s_delay_alu instid0(SALU_CYCLE_1)
	s_sub_co_i32 s5, s5, s6
	s_add_co_i32 s6, s3, 1
	s_sub_co_i32 s7, s5, s2
	s_cmp_ge_u32 s5, s2
	s_cselect_b32 s3, s6, s3
	s_cselect_b32 s5, s7, s5
	s_add_co_i32 s6, s3, 1
	s_cmp_ge_u32 s5, s2
	s_cselect_b32 s2, s6, s3
	s_delay_alu instid0(SALU_CYCLE_1) | instskip(NEXT) | instid1(SALU_CYCLE_1)
	s_xor_b32 s2, s2, s4
	s_sub_co_i32 s35, s2, s4
	s_load_b512 s[4:19], s[0:1], 0x0
	s_abs_i32 s43, s35
	s_delay_alu instid0(SALU_CYCLE_1) | instskip(SKIP_1) | instid1(SALU_CYCLE_2)
	s_cvt_f32_u32 s2, s43
	s_sub_co_i32 s30, 0, s43
	v_rcp_iflag_f32_e32 v1, s2
	s_load_b64 s[2:3], s[0:1], 0xb8
	v_nop
	s_delay_alu instid0(TRANS32_DEP_1) | instskip(SKIP_3) | instid1(SALU_CYCLE_1)
	v_readfirstlane_b32 s24, v1
	s_mul_f32 s24, s24, 0x4f7ffffe
	s_wait_kmcnt 0x0
	s_cmp_eq_u64 s[10:11], 0
	s_cvt_u32_f32 s31, s24
	s_delay_alu instid0(SALU_CYCLE_3)
	s_mul_i32 s30, s30, s31
	s_cbranch_scc1 .LBB59_2
; %bb.1:
	s_abs_i32 s2, s2
	s_abs_i32 s26, s34
	s_cvt_f32_u32 s24, s2
	s_sub_co_i32 s25, 0, s2
	s_delay_alu instid0(SALU_CYCLE_2) | instskip(SKIP_1) | instid1(TRANS32_DEP_1)
	v_rcp_iflag_f32_e32 v1, s24
	v_nop
	v_readfirstlane_b32 s24, v1
	s_mul_f32 s24, s24, 0x4f7ffffe
	s_delay_alu instid0(SALU_CYCLE_3) | instskip(NEXT) | instid1(SALU_CYCLE_3)
	s_cvt_u32_f32 s24, s24
	s_mul_i32 s25, s25, s24
	s_delay_alu instid0(SALU_CYCLE_1) | instskip(NEXT) | instid1(SALU_CYCLE_1)
	s_mul_hi_u32 s25, s24, s25
	s_add_co_i32 s24, s24, s25
	s_delay_alu instid0(SALU_CYCLE_1) | instskip(SKIP_2) | instid1(SALU_CYCLE_1)
	s_mul_hi_u32 s27, s26, s24
	s_load_b64 s[24:25], s[0:1], 0xc8
	s_mul_i32 s27, s27, s2
	s_sub_co_i32 s26, s26, s27
	s_ashr_i32 s27, s34, 31
	s_sub_co_i32 s33, s26, s2
	s_cmp_ge_u32 s26, s2
	s_cselect_b32 s26, s33, s26
	s_delay_alu instid0(SALU_CYCLE_1) | instskip(SKIP_2) | instid1(SALU_CYCLE_1)
	s_sub_co_i32 s33, s26, s2
	s_cmp_ge_u32 s26, s2
	s_cselect_b32 s2, s33, s26
	s_xor_b32 s2, s2, s27
	s_delay_alu instid0(SALU_CYCLE_1) | instskip(NEXT) | instid1(SALU_CYCLE_1)
	s_sub_co_i32 s26, s2, s27
	s_ashr_i32 s27, s26, 31
	s_wait_kmcnt 0x0
	s_mul_u64 s[24:25], s[24:25], s[26:27]
	s_delay_alu instid0(SALU_CYCLE_1)
	s_add_nc_u64 s[36:37], s[10:11], s[24:25]
.LBB59_2:
	s_clause 0x1
	s_load_b128 s[24:27], s[0:1], 0x40
	s_load_b32 s10, s[0:1], 0x50
	s_sub_co_i32 s33, s28, s29
	v_mov_b32_e32 v86, 1.0
	s_mul_hi_u32 s2, s31, s30
	s_wait_kmcnt 0x0
	s_cmp_le_f32 s25, 0
	s_cbranch_scc1 .LBB59_4
; %bb.3:
	v_sub_co_u32 v1, s10, s33, s10
	s_and_b32 s25, s10, exec_lo
	s_cselect_b32 s25, s26, s27
	s_add_co_i32 s26, s33, 1
	v_readfirstlane_b32 s11, v1
	s_lshl_b32 s11, s11, 1
	s_delay_alu instid0(SALU_CYCLE_1) | instskip(SKIP_4) | instid1(SALU_CYCLE_3)
	s_or_b32 s11, s11, 1
	s_and_b32 s10, s10, exec_lo
	s_cselect_b32 s10, s26, s11
	s_cmp_neq_f32 s25, 1.0
	s_cvt_f32_i32 s10, s10
	s_cselect_b32 s11, s10, 1.0
	s_delay_alu instid0(SALU_CYCLE_1) | instskip(SKIP_1) | instid1(SALU_CYCLE_1)
	s_cmp_neq_f32 s11, 0
	s_cselect_b32 s10, s25, 1.0
	v_cvt_f64_f32_e64 v[2:3], |s10|
	s_delay_alu instid0(VALU_DEP_1) | instskip(SKIP_1) | instid1(VALU_DEP_1)
	v_frexp_exp_i32_f64_e32 v1, v[2:3]
	v_frexp_mant_f32_e64 v2, |s10|
	v_readfirstlane_b32 s25, v2
	s_cmp_lt_f32 s25, 0x3f2aaaab
	s_cselect_b32 vcc_lo, -1, 0
	s_delay_alu instid0(SALU_CYCLE_1) | instskip(SKIP_1) | instid1(SALU_CYCLE_1)
	s_and_b32 s26, vcc_lo, exec_lo
	s_cselect_b32 s26, 2.0, 1.0
	s_mul_f32 s25, s25, s26
	s_delay_alu instid0(SALU_CYCLE_3) | instskip(SKIP_1) | instid1(SALU_CYCLE_2)
	s_add_f32 s26, s25, 1.0
	s_add_f32 s28, s25, -1.0
	v_s_rcp_f32 s27, s26
	s_add_f32 s39, s26, -1.0
	v_subrev_co_ci_u32_e64 v1, null, 0, v1, vcc_lo
	s_delay_alu instid0(SALU_CYCLE_2) | instskip(NEXT) | instid1(TRANS32_DEP_1)
	s_sub_f32 s25, s25, s39
	s_mul_f32 s29, s28, s27
	v_cvt_f32_i32_e32 v1, v1
	s_delay_alu instid0(SALU_CYCLE_2) | instskip(NEXT) | instid1(SALU_CYCLE_3)
	s_mul_f32 s30, s26, s29
	v_dual_mov_b32 v3, s28 :: v_dual_mov_b32 v4, s30
	s_xor_b32 s40, s30, 0x80000000
	s_delay_alu instid0(SALU_CYCLE_1) | instskip(NEXT) | instid1(SALU_CYCLE_3)
	s_fmac_f32 s40, s29, s26
	s_fmac_f32 s40, s29, s25
	s_delay_alu instid0(SALU_CYCLE_3) | instskip(SKIP_2) | instid1(SALU_CYCLE_1)
	s_add_f32 s25, s30, s40
	v_mov_b32_e32 v6, s40
	s_mov_b32 s30, 0x3e76c4e1
	s_sub_f32 s26, s28, s25
	v_dual_mov_b32 v2, s25 :: v_dual_mov_b32 v7, s25
	s_delay_alu instid0(SALU_CYCLE_2) | instskip(NEXT) | instid1(VALU_DEP_1)
	v_mov_b32_e32 v5, s26
	v_pk_add_f32 v[2:3], v[2:3], v[4:5] neg_lo:[0,1] neg_hi:[0,1]
	s_delay_alu instid0(VALU_DEP_1) | instskip(NEXT) | instid1(VALU_DEP_1)
	v_pk_add_f32 v[2:3], v[2:3], v[6:7] neg_lo:[0,1] neg_hi:[0,1]
	v_readfirstlane_b32 s25, v3
	s_delay_alu instid0(VALU_DEP_2) | instskip(SKIP_1) | instid1(SALU_CYCLE_3)
	v_readfirstlane_b32 s28, v2
	s_add_f32 s25, s28, s25
	s_add_f32 s25, s26, s25
	s_delay_alu instid0(SALU_CYCLE_3) | instskip(NEXT) | instid1(SALU_CYCLE_3)
	s_mul_f32 s25, s27, s25
	s_add_f32 s26, s29, s25
	s_delay_alu instid0(SALU_CYCLE_3) | instskip(SKIP_1) | instid1(SALU_CYCLE_2)
	s_sub_f32 s27, s26, s29
	s_mul_f32 s29, s26, s26
	s_sub_f32 s25, s25, s27
	s_delay_alu instid0(SALU_CYCLE_2) | instskip(NEXT) | instid1(SALU_CYCLE_1)
	s_xor_b32 s27, s29, 0x80000000
	s_fmac_f32 s27, s26, s26
	s_delay_alu instid0(SALU_CYCLE_1) | instskip(NEXT) | instid1(SALU_CYCLE_3)
	s_add_f32 s28, s25, s25
	s_fmac_f32 s27, s26, s28
	s_delay_alu instid0(SALU_CYCLE_3) | instskip(NEXT) | instid1(SALU_CYCLE_3)
	s_add_f32 s28, s29, s27
	s_fmaak_f32 s30, s28, s30, 0x3e91f4c4
	s_sub_f32 s29, s28, s29
	s_delay_alu instid0(SALU_CYCLE_2) | instskip(NEXT) | instid1(SALU_CYCLE_2)
	s_fmaak_f32 s30, s28, s30, 0x3ecccdef
	s_sub_f32 s44, s27, s29
	s_delay_alu instid0(SALU_CYCLE_2) | instskip(NEXT) | instid1(SALU_CYCLE_3)
	s_mul_f32 s39, s28, s30
	s_xor_b32 s40, s39, 0x80000000
	s_delay_alu instid0(SALU_CYCLE_1) | instskip(NEXT) | instid1(SALU_CYCLE_3)
	s_fmac_f32 s40, s28, s30
	s_fmac_f32 s40, s44, s30
	s_delay_alu instid0(SALU_CYCLE_3) | instskip(NEXT) | instid1(SALU_CYCLE_3)
	s_add_f32 s29, s39, s40
	s_sub_f32 s27, s29, s39
	s_add_f32 s30, s29, 0x3f2aaaaa
	s_delay_alu instid0(SALU_CYCLE_2) | instskip(NEXT) | instid1(SALU_CYCLE_2)
	s_sub_f32 s27, s40, s27
	s_add_f32 s39, s30, 0xbf2aaaaa
	s_delay_alu instid0(SALU_CYCLE_2) | instskip(NEXT) | instid1(SALU_CYCLE_2)
	s_add_f32 s27, s27, 0x31739010
	s_sub_f32 s29, s29, s39
	s_delay_alu instid0(SALU_CYCLE_2) | instskip(NEXT) | instid1(SALU_CYCLE_2)
	v_mov_b64_e32 v[2:3], s[26:27]
	v_mov_b64_e32 v[4:5], s[28:29]
	s_delay_alu instid0(VALU_DEP_1) | instskip(SKIP_2) | instid1(VALU_DEP_3)
	v_pk_mul_f32 v[6:7], v[2:3], v[4:5]
	v_pk_add_f32 v[2:3], v[2:3], v[4:5]
	v_mov_b32_e32 v9, s30
	v_xor_b32_e32 v8, 0x80000000, v6
	s_delay_alu instid0(VALU_DEP_3) | instskip(NEXT) | instid1(VALU_DEP_2)
	v_mov_b32_e32 v7, v3
	v_fmac_f32_e64 v8, s28, s26
	s_delay_alu instid0(VALU_DEP_1) | instskip(NEXT) | instid1(VALU_DEP_1)
	v_fmac_f32_e64 v8, s28, s25
	v_fmac_f32_e64 v8, s44, s26
	s_delay_alu instid0(VALU_DEP_1) | instskip(NEXT) | instid1(VALU_DEP_1)
	v_pk_add_f32 v[4:5], v[6:7], v[8:9]
	v_dual_mov_b32 v2, v5 :: v_dual_sub_f32 v7, s30, v5
	v_mul_f32_e32 v12, 0x3f317218, v1
	s_delay_alu instid0(VALU_DEP_2) | instskip(NEXT) | instid1(VALU_DEP_3)
	v_pk_mul_f32 v[10:11], v[4:5], v[2:3]
	v_add_f32_e32 v3, v3, v7
	s_delay_alu instid0(VALU_DEP_3) | instskip(NEXT) | instid1(VALU_DEP_3)
	v_xor_b32_e32 v7, 0x80000000, v12
	v_xor_b32_e32 v2, 0x80000000, v10
	s_delay_alu instid0(VALU_DEP_2) | instskip(NEXT) | instid1(VALU_DEP_2)
	v_dual_sub_f32 v6, v4, v6 :: v_dual_fmac_f32 v7, 0x3f317218, v1
	v_fmac_f32_e32 v2, v4, v5
	s_delay_alu instid0(VALU_DEP_2) | instskip(NEXT) | instid1(VALU_DEP_2)
	v_sub_f32_e32 v6, v8, v6
	v_fmac_f32_e32 v2, v4, v3
	s_delay_alu instid0(VALU_DEP_1) | instskip(SKIP_3) | instid1(VALU_DEP_2)
	v_fmac_f32_e32 v2, v6, v5
	v_fmamk_f32 v4, v1, 0xb102e308, v7
	v_ldexp_f32 v5, s26, 1
	v_ldexp_f32 v1, s25, 1
	v_dual_add_f32 v13, v10, v2 :: v_dual_mov_b32 v11, v5
	s_delay_alu instid0(VALU_DEP_1) | instskip(SKIP_1) | instid1(VALU_DEP_2)
	v_pk_add_f32 v[6:7], v[12:13], v[4:5]
	v_dual_mov_b32 v8, v13 :: v_dual_mov_b32 v3, v13
	v_dual_mov_b32 v9, v7 :: v_dual_mov_b32 v5, v6
	v_mov_b32_e32 v14, v7
	s_delay_alu instid0(VALU_DEP_2) | instskip(NEXT) | instid1(VALU_DEP_1)
	v_pk_add_f32 v[8:9], v[8:9], v[10:11] neg_lo:[0,1] neg_hi:[0,1]
	v_pk_add_f32 v[2:3], v[2:3], v[8:9] neg_lo:[0,1] neg_hi:[0,1]
	s_delay_alu instid0(VALU_DEP_1) | instskip(NEXT) | instid1(VALU_DEP_1)
	v_add_f32_e32 v1, v1, v2
	v_add_f32_e32 v13, v1, v3
	s_delay_alu instid0(VALU_DEP_1) | instskip(SKIP_1) | instid1(VALU_DEP_2)
	v_pk_add_f32 v[2:3], v[6:7], v[12:13]
	v_pk_add_f32 v[8:9], v[6:7], v[12:13] neg_lo:[0,1] neg_hi:[0,1]
	v_mov_b32_e32 v9, v3
	s_delay_alu instid0(VALU_DEP_1) | instskip(SKIP_2) | instid1(VALU_DEP_3)
	v_pk_add_f32 v[10:11], v[4:5], v[8:9]
	v_pk_add_f32 v[4:5], v[4:5], v[8:9] neg_lo:[0,1] neg_hi:[0,1]
	v_dual_mov_b32 v16, v3 :: v_dual_mov_b32 v5, v6
	v_dual_mov_b32 v12, v11 :: v_dual_mov_b32 v17, v11
	s_delay_alu instid0(VALU_DEP_3) | instskip(NEXT) | instid1(VALU_DEP_2)
	v_readfirstlane_b32 s25, v4
	v_pk_add_f32 v[8:9], v[12:13], v[6:7] neg_lo:[0,1] neg_hi:[0,1]
	s_delay_alu instid0(VALU_DEP_2) | instskip(NEXT) | instid1(VALU_DEP_2)
	v_dual_mov_b32 v4, v13 :: v_dual_mov_b32 v10, s25
	v_dual_mov_b32 v15, v8 :: v_dual_mov_b32 v1, v8
	s_delay_alu instid0(VALU_DEP_1) | instskip(NEXT) | instid1(VALU_DEP_2)
	v_pk_add_f32 v[6:7], v[16:17], v[14:15] neg_lo:[0,1] neg_hi:[0,1]
	v_pk_add_f32 v[2:3], v[2:3], v[0:1] neg_lo:[0,1] neg_hi:[0,1]
	v_mov_b32_e32 v2, s25
	s_delay_alu instid0(VALU_DEP_3) | instskip(NEXT) | instid1(VALU_DEP_1)
	v_pk_add_f32 v[4:5], v[4:5], v[6:7] neg_lo:[0,1] neg_hi:[0,1]
	v_pk_add_f32 v[2:3], v[2:3], v[4:5]
	s_delay_alu instid0(VALU_DEP_1) | instskip(NEXT) | instid1(VALU_DEP_2)
	v_readfirstlane_b32 s26, v2
	v_mov_b32_e32 v6, v3
	s_delay_alu instid0(VALU_DEP_1) | instskip(NEXT) | instid1(VALU_DEP_3)
	v_pk_add_f32 v[6:7], v[2:3], v[6:7]
	v_mov_b32_e32 v2, s26
	s_delay_alu instid0(VALU_DEP_2) | instskip(SKIP_1) | instid1(VALU_DEP_2)
	v_pk_add_f32 v[8:9], v[12:13], v[6:7]
	v_mov_b32_e32 v5, v6
	v_readfirstlane_b32 s27, v8
	s_delay_alu instid0(VALU_DEP_1) | instskip(NEXT) | instid1(VALU_DEP_1)
	v_mov_b32_e32 v3, s27
	v_pk_add_f32 v[2:3], v[2:3], v[10:11] neg_lo:[0,1] neg_hi:[0,1]
	s_delay_alu instid0(VALU_DEP_1) | instskip(NEXT) | instid1(VALU_DEP_2)
	v_readfirstlane_b32 s28, v2
	v_pk_add_f32 v[2:3], v[4:5], v[2:3] neg_lo:[0,1] neg_hi:[0,1]
	s_sub_f32 s26, s26, s28
	s_delay_alu instid0(VALU_DEP_1) | instskip(NEXT) | instid1(SALU_CYCLE_2)
	v_readfirstlane_b32 s28, v2
	s_sub_f32 s25, s25, s26
	v_readfirstlane_b32 s26, v3
	s_delay_alu instid0(SALU_CYCLE_2) | instskip(NEXT) | instid1(SALU_CYCLE_3)
	s_add_f32 s25, s28, s25
	s_add_f32 s25, s25, s26
	s_delay_alu instid0(SALU_CYCLE_3) | instskip(NEXT) | instid1(SALU_CYCLE_3)
	s_add_f32 s26, s27, s25
	s_mul_f32 s28, s11, s26
	s_sub_f32 s27, s26, s27
	s_delay_alu instid0(SALU_CYCLE_2) | instskip(NEXT) | instid1(SALU_CYCLE_2)
	s_xor_b32 s29, s28, 0x80000000
	s_sub_f32 s25, s25, s27
	s_fmac_f32 s29, s11, s26
	s_delay_alu instid0(SALU_CYCLE_3) | instskip(SKIP_1) | instid1(SALU_CYCLE_2)
	s_fmac_f32 s29, s11, s25
	v_cmp_class_f32_e64 s25, s28, 0x204
	s_add_f32 s26, s28, s29
	s_and_b32 s25, s25, exec_lo
	s_delay_alu instid0(SALU_CYCLE_2) | instskip(SKIP_1) | instid1(SALU_CYCLE_1)
	s_sub_f32 s25, s26, s28
	s_cselect_b32 s26, s28, s26
	s_and_b32 s27, s26, 0x7fffffff
	s_delay_alu instid0(SALU_CYCLE_1) | instskip(SKIP_1) | instid1(SALU_CYCLE_2)
	s_sub_f32 s25, s29, s25
	s_cmp_neq_f32 s27, 0x7f800000
	s_cselect_b32 s25, s25, 0
	s_cmp_eq_f32 s26, 0x42b17218
	s_cselect_b32 s27, 0x37000000, 0
	s_delay_alu instid0(SALU_CYCLE_1) | instskip(SKIP_1) | instid1(SALU_CYCLE_2)
	s_sub_f32 s26, s26, s27
	s_add_f32 s25, s27, s25
	s_mul_f32 s28, s26, 0x3fb8aa3b
	s_delay_alu instid0(SALU_CYCLE_3) | instskip(SKIP_3) | instid1(SALU_CYCLE_1)
	s_xor_b32 s29, s28, 0x80000000
	s_rndne_f32 s30, s28
	s_fmamk_f32 s29, s26, 0x3fb8aa3b, s29
	s_cmp_nlt_f32 s26, 0xc2ce8ed0
	s_sub_f32 s28, s28, s30
	s_delay_alu instid0(SALU_CYCLE_1)
	s_fmamk_f32 s29, s26, 0x32a5705f, s29
	s_cselect_b32 vcc_lo, -1, 0
	s_cmp_ngt_f32 s26, 0x42b17218
	s_trunc_f32 s26, s11
	s_add_f32 s28, s28, s29
	s_cvt_i32_f32 s29, s30
	s_delay_alu instid0(SALU_CYCLE_2)
	v_s_exp_f32 s28, s28
	v_nop
	s_delay_alu instid0(TRANS32_DEP_1) | instid1(SALU_CYCLE_1)
	v_ldexp_f32 v1, s28, s29
	s_mul_f32 s28, s11, 0.5
	s_delay_alu instid0(VALU_DEP_1) | instskip(SKIP_3) | instid1(VALU_DEP_1)
	v_cndmask_b32_e32 v1, 0, v1, vcc_lo
	s_cselect_b32 vcc_lo, -1, 0
	s_cmp_eq_f32 s26, s11
	s_trunc_f32 s29, s28
	v_cndmask_b32_e32 v1, 0x7f800000, v1, vcc_lo
	s_cselect_b32 s30, -1, 0
	s_delay_alu instid0(SALU_CYCLE_1) | instskip(NEXT) | instid1(VALU_DEP_1)
	s_cmp_neq_f32 s29, s28
	v_fma_f32 v2, s25, v1, v1
	v_cmp_class_f32_e64 vcc_lo, v1, 0x204
	s_cselect_b32 s27, -1, 0
	s_delay_alu instid0(SALU_CYCLE_1)
	s_and_b32 s25, s30, s27
	v_cndmask_b32_e32 v1, v2, v1, vcc_lo
	s_and_b32 s27, s25, exec_lo
	s_cselect_b32 s27, s10, 1.0
	s_cmp_eq_f32 s26, s11
	v_cmp_class_f32_e64 s26, s10, 0x204
	v_bfi_b32 v1, 0x7fffffff, v1, s27
	s_cselect_b32 vcc_lo, -1, 0
	s_cmp_lt_f32 s10, 0
	s_delay_alu instid0(VALU_DEP_1) | instskip(SKIP_2) | instid1(VALU_DEP_1)
	v_cndmask_b32_e32 v2, 0x7fc00000, v1, vcc_lo
	s_cselect_b32 vcc_lo, -1, 0
	s_cmp_eq_f32 s10, 0
	v_cndmask_b32_e32 v1, v1, v2, vcc_lo
	s_cselect_b32 s27, -1, 0
	s_delay_alu instid0(SALU_CYCLE_1) | instskip(SKIP_2) | instid1(SALU_CYCLE_1)
	s_or_b32 vcc_lo, s27, s26
	s_cmp_lt_f32 s11, 0
	s_cselect_b32 s11, -1, 0
	s_xor_b32 s11, s11, s27
	s_delay_alu instid0(SALU_CYCLE_1)
	s_and_b32 s11, s11, exec_lo
	s_cselect_b32 s11, 0, 0x7f800000
	s_and_b32 s25, s25, exec_lo
	s_cselect_b32 s25, s10, 0
	s_cmp_o_f32 s10, s10
	v_mov_b32_e32 v2, s25
	s_delay_alu instid0(VALU_DEP_1) | instskip(NEXT) | instid1(VALU_DEP_1)
	v_bfi_b32 v2, 0x7fffffff, s11, v2
	v_cndmask_b32_e32 v1, v1, v2, vcc_lo
	s_cselect_b32 vcc_lo, -1, 0
	s_delay_alu instid0(VALU_DEP_1)
	v_cndmask_b32_e32 v86, 0x7fc00000, v1, vcc_lo
.LBB59_4:
	s_load_b96 s[28:30], s[0:1], 0x70
	s_bfe_u32 s11, ttmp6, 0x4000c
	s_add_co_i32 s10, s31, s2
	s_add_co_i32 s11, s11, 1
	s_and_b32 s2, ttmp6, 15
	s_mul_i32 s11, ttmp9, s11
	v_and_b32_e32 v55, 0x3ff, v0
	s_abs_i32 s40, s33
	s_add_co_i32 s2, s2, s11
	v_bfe_u32 v82, v0, 10, 10
	s_cmp_eq_u32 s42, 0
	v_dual_mov_b32 v51, 0 :: v_dual_lshlrev_b32 v50, 4, v55
	s_cselect_b32 s25, ttmp9, s2
	s_delay_alu instid0(VALU_DEP_2)
	v_dual_lshlrev_b32 v78, 3, v55 :: v_dual_lshlrev_b32 v61, 1, v82
	s_lshl_b32 s39, s25, 4
	v_cmp_gt_u32_e64 s2, 24, v55
	s_mov_b32 s31, 0
	v_add_nc_u32_e32 v2, 0xe80, v78
	s_wait_kmcnt 0x0
	s_mul_i32 s26, s34, s30
	s_mul_i32 s44, s33, s29
	s_ashr_i32 s27, s26, 31
	s_ashr_i32 s45, s44, 31
	s_add_nc_u64 s[4:5], s[4:5], s[26:27]
	s_ashr_i32 s29, s28, 31
	s_add_nc_u64 s[4:5], s[4:5], s[44:45]
	s_mov_b32 s30, s20
	v_add_nc_u64_e32 v[0:1], s[4:5], v[50:51]
	v_add_nc_u32_e32 v50, s39, v61
	s_lshr_b64 s[4:5], s[28:29], 2
	s_and_saveexec_b32 s11, s2
	s_cbranch_execz .LBB59_6
; %bb.5:
	s_delay_alu instid0(VALU_DEP_1) | instskip(NEXT) | instid1(VALU_DEP_1)
	v_mul_u64_e32 v[4:5], s[30:31], v[50:51]
	v_dual_add_nc_u32 v3, v50, v5 :: v_dual_mov_b32 v5, v51
	s_delay_alu instid0(VALU_DEP_1) | instskip(NEXT) | instid1(VALU_DEP_1)
	v_lshrrev_b32_e32 v3, s21, v3
	v_mul_lo_u32 v3, v3, s22
	s_delay_alu instid0(VALU_DEP_1) | instskip(NEXT) | instid1(VALU_DEP_1)
	v_sub_nc_u32_e32 v4, v50, v3
	v_mul_u64_e32 v[4:5], s[4:5], v[4:5]
	s_delay_alu instid0(VALU_DEP_1) | instskip(SKIP_4) | instid1(VALU_DEP_2)
	v_lshl_add_u64 v[4:5], v[4:5], 2, v[0:1]
	global_load_b128 v[4:7], v[4:5], off
	s_wait_loadcnt 0x0
	v_fma_mixlo_f16 v3, s24, v4, 0
	v_mov_b32_e32 v4, v7
	v_and_b32_e32 v3, 0xffff, v3
	s_delay_alu instid0(VALU_DEP_2) | instskip(NEXT) | instid1(VALU_DEP_1)
	v_pk_mul_f32 v[4:5], s[24:25], v[4:5] op_sel_hi:[0,1]
	v_cvt_pk_f16_f32 v4, v4, v5
	v_fma_mixlo_f16 v5, s24, v6, 0
	s_delay_alu instid0(VALU_DEP_2) | instskip(NEXT) | instid1(VALU_DEP_2)
	v_and_b32_e32 v6, 0xffff0000, v4
	v_and_b32_e32 v5, 0xffff, v5
	s_delay_alu instid0(VALU_DEP_2) | instskip(SKIP_1) | instid1(VALU_DEP_2)
	v_dual_lshlrev_b32 v4, 16, v4 :: v_dual_bitop2_b32 v3, v6, v3 bitop3:0x54
	v_mad_u32_u24 v6, 0x180, v82, v2
	v_or3_b32 v5, v4, v5, 0
	s_delay_alu instid0(VALU_DEP_3)
	v_or3_b32 v4, 0, 0, v3
	ds_store_b64 v6, v[4:5]
.LBB59_6:
	s_or_b32 exec_lo, exec_lo, s11
	v_or_b32_e32 v57, 1, v61
	s_mov_b32 s11, s41
	s_delay_alu instid0(VALU_DEP_1)
	v_add_nc_u32_e32 v48, s39, v57
	s_and_saveexec_b32 s20, s2
	s_cbranch_execz .LBB59_8
; %bb.7:
	v_mov_b32_e32 v49, 0
	v_mad_u32_u24 v2, 0xc0, v57, v2
	s_delay_alu instid0(VALU_DEP_2) | instskip(NEXT) | instid1(VALU_DEP_1)
	v_mul_u64_e32 v[4:5], s[30:31], v[48:49]
	v_dual_add_nc_u32 v3, v48, v5 :: v_dual_mov_b32 v5, v49
	s_delay_alu instid0(VALU_DEP_1) | instskip(NEXT) | instid1(VALU_DEP_1)
	v_lshrrev_b32_e32 v3, s21, v3
	v_mul_lo_u32 v3, v3, s22
	s_delay_alu instid0(VALU_DEP_1) | instskip(NEXT) | instid1(VALU_DEP_1)
	v_sub_nc_u32_e32 v4, v48, v3
	v_mul_u64_e32 v[4:5], s[4:5], v[4:5]
	s_delay_alu instid0(VALU_DEP_1) | instskip(SKIP_4) | instid1(VALU_DEP_2)
	v_lshl_add_u64 v[0:1], v[4:5], 2, v[0:1]
	global_load_b128 v[4:7], v[0:1], off
	s_wait_loadcnt 0x0
	v_fma_mixlo_f16 v3, s24, v4, 0
	v_mov_b32_e32 v4, v7
	v_and_b32_e32 v3, 0xffff, v3
	s_delay_alu instid0(VALU_DEP_2) | instskip(NEXT) | instid1(VALU_DEP_1)
	v_pk_mul_f32 v[0:1], s[24:25], v[4:5] op_sel_hi:[0,1]
	v_cvt_pk_f16_f32 v0, v0, v1
	v_fma_mixlo_f16 v1, s24, v6, 0
	s_delay_alu instid0(VALU_DEP_2) | instskip(NEXT) | instid1(VALU_DEP_2)
	v_and_b32_e32 v4, 0xffff0000, v0
	v_and_b32_e32 v1, 0xffff, v1
	s_delay_alu instid0(VALU_DEP_2) | instskip(NEXT) | instid1(VALU_DEP_1)
	v_dual_lshlrev_b32 v0, 16, v0 :: v_dual_bitop2_b32 v3, v4, v3 bitop3:0x54
	v_or3_b32 v1, v0, v1, 0
	s_delay_alu instid0(VALU_DEP_2)
	v_or3_b32 v0, 0, 0, v3
	ds_store_b64 v2, v[0:1]
.LBB59_8:
	s_or_b32 exec_lo, exec_lo, s20
	s_ashr_i32 s20, s33, 31
	s_ashr_i32 s28, s35, 31
	s_mul_u64 s[4:5], s[40:41], s[10:11]
	s_cmp_eq_u64 s[14:15], 0
	s_wait_dscnt 0x0
	s_barrier_signal -1
	s_barrier_wait -1
	s_cbranch_scc1 .LBB59_10
; %bb.9:
	s_load_b32 s4, s[0:1], 0xd0
	s_wait_kmcnt 0x0
	s_mul_i32 s4, s4, s34
	s_delay_alu instid0(SALU_CYCLE_1)
	s_add_co_i32 s4, s4, s25
	s_load_b32 s38, s[14:15], s4 offset:0x0 scale_offset
.LBB59_10:
	s_clause 0x1
	s_load_b64 s[10:11], s[0:1], 0x8c
	s_load_b128 s[24:27], s[0:1], 0x98
	s_wait_xcnt 0x0
	s_load_b64 s[14:15], s[0:1], 0xa8
	s_mul_i32 s4, s5, s43
	s_ashr_i32 s44, s3, 1
	s_sub_co_i32 s4, s40, s4
	s_ashr_i32 s35, s34, 31
	s_xor_b32 s3, s20, s28
	s_add_co_i32 s20, s5, 1
	s_sub_co_i32 s29, s4, s43
	v_dual_lshlrev_b32 v49, 2, v55 :: v_dual_lshrrev_b32 v90, 1, v55
	v_lshrrev_b32_e32 v89, 2, v55
	v_mul_u32_u24_e32 v88, 0x70, v55
	v_lshl_add_u32 v80, v82, 7, 0x1a80
	s_delay_alu instid0(VALU_DEP_4)
	v_and_b32_e32 v60, 4, v49
	v_dual_lshrrev_b32 v87, 3, v55 :: v_dual_bitop2_b32 v56, 12, v49 bitop3:0x40
	v_and_b32_e32 v54, 28, v49
	v_mbcnt_lo_u32_b32 v79, -1, 0
	s_wait_kmcnt 0x0
	s_ashr_i32 s28, s10, 2
	s_ashr_i32 s10, s26, 2
	s_cmp_ge_u32 s4, s43
	s_mul_u64 s[24:25], s[24:25], s[34:35]
	s_cselect_b32 s20, s20, s5
	s_cselect_b32 s4, s29, s4
	s_add_co_i32 s26, s20, 1
	s_cmp_ge_u32 s4, s43
	s_add_nc_u64 s[4:5], s[6:7], s[24:25]
	s_cselect_b32 s6, s26, s20
	s_bfe_u32 s7, ttmp6, 0x40010
	s_xor_b32 s6, s6, s3
	s_and_b32 s20, ttmp7, 0xffff
	s_add_co_i32 s7, s7, 1
	s_sub_co_i32 s3, s6, s3
	s_bfe_u32 s24, ttmp6, 0x40004
	s_mul_i32 s7, s20, s7
	s_mul_i32 s6, s3, s11
	;; [unrolled: 1-line block ×3, first 2 shown]
	s_add_co_i32 s24, s24, s7
	s_ashr_i32 s7, s6, 31
	s_ashr_i32 s41, s40, 31
	s_cmp_eq_u32 s42, 0
	s_mul_u64 s[14:15], s[14:15], s[34:35]
	s_cselect_b32 s20, s20, s24
	s_add_nc_u64 s[26:27], s[4:5], s[6:7]
	s_sub_co_i32 s35, s38, 32
	s_lshl_b32 s24, s20, 5
	s_add_nc_u64 s[4:5], s[8:9], s[14:15]
	s_cmp_ge_i32 s24, s35
	s_add_nc_u64 s[14:15], s[4:5], s[40:41]
	s_cbranch_scc1 .LBB59_34
; %bb.11:
	v_dual_mov_b32 v63, 0 :: v_dual_bitop2_b32 v62, 1, v50 bitop3:0x54
	s_movk_i32 s3, 0x180
	v_lshl_add_u32 v6, v82, 2, v87
	v_mad_u32_u24 v91, v82, s3, 0xe80
	s_delay_alu instid0(VALU_DEP_3) | instskip(SKIP_3) | instid1(VALU_DEP_4)
	v_dual_mov_b32 v51, v63 :: v_dual_lshlrev_b32 v4, 2, v60
	v_mul_u64_e32 v[0:1], s[30:31], v[62:63]
	v_lshl_add_u32 v0, v82, 4, v90
	v_mov_b32_e32 v98, 0xfeffffff
	v_mul_u64_e32 v[2:3], s[30:31], v[50:51]
	v_lshlrev_b32_e32 v64, 2, v56
	v_lshl_add_u32 v2, v82, 3, v89
	v_cmp_gt_u32_e64 s3, 32, v0
	v_mul_u32_u24_e32 v8, 0x70, v0
	v_mul_lo_u32 v66, s28, v0
	v_mul_lo_u32 v72, s10, v6
	;; [unrolled: 1-line block ×4, first 2 shown]
	v_dual_lshlrev_b32 v5, 2, v56 :: v_dual_lshlrev_b32 v7, 2, v54
	s_ashr_i32 s29, s28, 31
	v_mbcnt_lo_u32_b32 v51, -1, 0
	v_cmp_gt_u32_e64 s4, 32, v2
	s_delay_alu instid0(VALU_DEP_3)
	v_mad_u32_u24 v92, 0x70, v2, v5
	v_cmp_gt_u32_e64 s5, 16, v2
	v_cmp_gt_u32_e64 s6, 16, v6
	v_mad_u32_u24 v93, 0xc0, v6, v7
	v_add3_u32 v94, v8, v4, 64
	v_dual_ashrrev_i32 v73, 31, v72 :: v_dual_mov_b32 v83, v63
	v_dual_mov_b32 v85, v63 :: v_dual_mov_b32 v52, v63
	v_mov_b32_e32 v99, 0xfeffffff
	v_mov_b32_e32 v53, v63
	s_cmp_lg_u64 s[36:37], 0
	s_add_nc_u64 s[40:41], s[0:1], 0xd0
	s_cselect_b32 s45, -1, 0
	s_ashr_i32 s11, s10, 31
	v_dual_add_nc_u32 v1, v62, v1 :: v_dual_ashrrev_i32 v67, 31, v66
	v_dual_mov_b32 v84, v63 :: v_dual_add_nc_u32 v3, v50, v3
	s_delay_alu instid0(VALU_DEP_2) | instskip(NEXT) | instid1(VALU_DEP_2)
	v_dual_ashrrev_i32 v71, 31, v70 :: v_dual_lshrrev_b32 v0, s21, v1
	v_dual_mov_b32 v81, v63 :: v_dual_lshrrev_b32 v1, s21, v3
	v_mul_u32_u24_e32 v3, 0xc0, v2
	s_delay_alu instid0(VALU_DEP_3) | instskip(NEXT) | instid1(VALU_DEP_3)
	v_mul_lo_u32 v0, v0, s22
	v_mul_lo_u32 v1, v1, s22
	s_delay_alu instid0(VALU_DEP_3) | instskip(NEXT) | instid1(VALU_DEP_1)
	v_dual_ashrrev_i32 v69, 31, v68 :: v_dual_bitop2_b32 v3, v3, v5 bitop3:0x54
	v_add_nc_u32_e32 v95, 0x80, v3
	s_delay_alu instid0(VALU_DEP_4) | instskip(NEXT) | instid1(VALU_DEP_4)
	v_sub_nc_u32_e32 v0, v62, v0
	v_dual_lshlrev_b32 v62, 2, v60 :: v_dual_sub_nc_u32 v1, v50, v1
	s_delay_alu instid0(VALU_DEP_2) | instskip(NEXT) | instid1(VALU_DEP_2)
	v_mul_lo_u32 v96, v0, s44
	v_mul_lo_u32 v97, v1, s44
.LBB59_12:                              ; =>This Inner Loop Header: Depth=1
	s_ashr_i32 s25, s24, 31
	s_delay_alu instid0(SALU_CYCLE_1) | instskip(NEXT) | instid1(SALU_CYCLE_1)
	s_mul_u64 s[8:9], s[24:25], s[28:29]
	s_lshl_b64 s[8:9], s[8:9], 2
	s_delay_alu instid0(SALU_CYCLE_1) | instskip(NEXT) | instid1(SALU_CYCLE_1)
	s_add_nc_u64 s[8:9], s[26:27], s[8:9]
	v_lshl_add_u64 v[0:1], v[66:67], 2, s[8:9]
	s_and_saveexec_b32 s7, s3
	s_cbranch_execz .LBB59_14
; %bb.13:                               ;   in Loop: Header=BB59_12 Depth=1
	s_delay_alu instid0(VALU_DEP_1)
	v_add_nc_u64_e32 v[2:3], v[0:1], v[62:63]
	global_load_b128 v[2:5], v[2:3], off offset:64
	s_wait_loadcnt 0x0
	ds_store_b128 v94, v[2:5]
.LBB59_14:                              ;   in Loop: Header=BB59_12 Depth=1
	s_or_b32 exec_lo, exec_lo, s7
	v_lshl_add_u64 v[2:3], v[68:69], 2, s[8:9]
	s_and_saveexec_b32 s7, s4
	s_cbranch_execz .LBB59_16
; %bb.15:                               ;   in Loop: Header=BB59_12 Depth=1
	v_mov_b32_e32 v65, v63
	s_delay_alu instid0(VALU_DEP_1)
	v_add_nc_u64_e32 v[4:5], v[2:3], v[64:65]
	global_load_b128 v[4:7], v[4:5], off
	s_wait_loadcnt 0x0
	ds_store_b128 v92, v[4:7]
.LBB59_16:                              ;   in Loop: Header=BB59_12 Depth=1
	s_or_b32 exec_lo, exec_lo, s7
	s_wait_dscnt 0x0
	s_barrier_signal -1
	s_barrier_wait -1
	ds_load_b128 v[6:9], v88
	ds_load_b128 v[12:15], v91
	ds_load_b128 v[16:19], v91 offset:192
	v_dual_mov_b32 v4, 0 :: v_dual_mov_b32 v10, 0
	s_wait_dscnt 0x1
	;;#ASMSTART
	v_dot2_f32_f16 v4, v6, v12, v4
	;;#ASMEND
	;;#ASMSTART
	v_dot2_f32_f16 v4, v7, v13, v4
	;;#ASMEND
	;;#ASMSTART
	v_dot2_f32_f16 v4, v8, v14, v4
	;;#ASMEND
	;;#ASMSTART
	v_dot2_f32_f16 v4, v9, v15, v4
	;;#ASMEND
	s_wait_dscnt 0x0
	;;#ASMSTART
	v_dot2_f32_f16 v10, v6, v16, v10
	;;#ASMEND
	;;#ASMSTART
	v_dot2_f32_f16 v10, v7, v17, v10
	;;#ASMEND
	;;#ASMSTART
	v_dot2_f32_f16 v10, v8, v18, v10
	;;#ASMEND
	;;#ASMSTART
	v_dot2_f32_f16 v10, v9, v19, v10
	;;#ASMEND
	ds_load_b128 v[6:9], v88 offset:16
	ds_load_b128 v[12:15], v91 offset:16
	ds_load_b128 v[16:19], v91 offset:208
	s_wait_dscnt 0x1
	;;#ASMSTART
	v_dot2_f32_f16 v4, v6, v12, v4
	;;#ASMEND
	;;#ASMSTART
	v_dot2_f32_f16 v4, v7, v13, v4
	;;#ASMEND
	;;#ASMSTART
	v_dot2_f32_f16 v4, v8, v14, v4
	;;#ASMEND
	;;#ASMSTART
	v_dot2_f32_f16 v4, v9, v15, v4
	;;#ASMEND
	s_wait_dscnt 0x0
	;;#ASMSTART
	v_dot2_f32_f16 v10, v6, v16, v10
	;;#ASMEND
	;;#ASMSTART
	v_dot2_f32_f16 v10, v7, v17, v10
	;;#ASMEND
	;;#ASMSTART
	v_dot2_f32_f16 v10, v8, v18, v10
	;;#ASMEND
	;;#ASMSTART
	v_dot2_f32_f16 v10, v9, v19, v10
	;;#ASMEND
	ds_load_b128 v[6:9], v88 offset:32
	ds_load_b128 v[12:15], v91 offset:32
	ds_load_b128 v[16:19], v91 offset:224
	;; [unrolled: 29-line block ×5, first 2 shown]
	s_wait_dscnt 0x1
	;;#ASMSTART
	v_dot2_f32_f16 v4, v6, v12, v4
	;;#ASMEND
	;;#ASMSTART
	v_dot2_f32_f16 v4, v7, v13, v4
	;;#ASMEND
	;; [unrolled: 3-line block ×4, first 2 shown]
	s_wait_dscnt 0x0
	;;#ASMSTART
	v_dot2_f32_f16 v10, v6, v16, v10
	;;#ASMEND
	;;#ASMSTART
	v_dot2_f32_f16 v10, v7, v17, v10
	;;#ASMEND
	;; [unrolled: 3-line block ×4, first 2 shown]
	s_barrier_signal -1
	s_barrier_wait -1
	s_and_saveexec_b32 s7, s3
	s_cbranch_execz .LBB59_18
; %bb.17:                               ;   in Loop: Header=BB59_12 Depth=1
	v_add_nc_u64_e32 v[0:1], v[0:1], v[62:63]
	global_load_b128 v[6:9], v[0:1], off offset:160
	s_wait_loadcnt 0x0
	ds_store_b128 v94, v[6:9]
.LBB59_18:                              ;   in Loop: Header=BB59_12 Depth=1
	s_or_b32 exec_lo, exec_lo, s7
	s_and_saveexec_b32 s7, s4
	s_cbranch_execz .LBB59_20
; %bb.19:                               ;   in Loop: Header=BB59_12 Depth=1
	v_mov_b32_e32 v65, v63
	s_delay_alu instid0(VALU_DEP_1)
	v_add_nc_u64_e32 v[0:1], v[2:3], v[64:65]
	global_load_b128 v[0:3], v[0:1], off offset:96
	s_wait_loadcnt 0x0
	ds_store_b128 v92, v[0:3]
.LBB59_20:                              ;   in Loop: Header=BB59_12 Depth=1
	s_or_b32 exec_lo, exec_lo, s7
	s_wait_dscnt 0x0
	s_barrier_signal -1
	s_barrier_wait -1
	ds_load_b128 v[0:3], v88
	ds_load_b128 v[6:9], v91 offset:96
	ds_load_b128 v[12:15], v91 offset:288
	s_and_not1_b32 vcc_lo, exec_lo, s45
	s_wait_dscnt 0x1
	;;#ASMSTART
	v_dot2_f32_f16 v4, v0, v6, v4
	;;#ASMEND
	;;#ASMSTART
	v_dot2_f32_f16 v4, v1, v7, v4
	;;#ASMEND
	;;#ASMSTART
	v_dot2_f32_f16 v4, v2, v8, v4
	;;#ASMEND
	;;#ASMSTART
	v_dot2_f32_f16 v4, v3, v9, v4
	;;#ASMEND
	s_wait_dscnt 0x0
	;;#ASMSTART
	v_dot2_f32_f16 v10, v0, v12, v10
	;;#ASMEND
	;;#ASMSTART
	v_dot2_f32_f16 v10, v1, v13, v10
	;;#ASMEND
	;;#ASMSTART
	v_dot2_f32_f16 v10, v2, v14, v10
	;;#ASMEND
	;;#ASMSTART
	v_dot2_f32_f16 v10, v3, v15, v10
	;;#ASMEND
	ds_load_b128 v[0:3], v88 offset:16
	ds_load_b128 v[6:9], v91 offset:112
	ds_load_b128 v[12:15], v91 offset:304
	s_wait_dscnt 0x1
	;;#ASMSTART
	v_dot2_f32_f16 v4, v0, v6, v4
	;;#ASMEND
	;;#ASMSTART
	v_dot2_f32_f16 v4, v1, v7, v4
	;;#ASMEND
	;;#ASMSTART
	v_dot2_f32_f16 v4, v2, v8, v4
	;;#ASMEND
	;;#ASMSTART
	v_dot2_f32_f16 v4, v3, v9, v4
	;;#ASMEND
	s_wait_dscnt 0x0
	;;#ASMSTART
	v_dot2_f32_f16 v10, v0, v12, v10
	;;#ASMEND
	;;#ASMSTART
	v_dot2_f32_f16 v10, v1, v13, v10
	;;#ASMEND
	;;#ASMSTART
	v_dot2_f32_f16 v10, v2, v14, v10
	;;#ASMEND
	;;#ASMSTART
	v_dot2_f32_f16 v10, v3, v15, v10
	;;#ASMEND
	ds_load_b128 v[0:3], v88 offset:32
	ds_load_b128 v[6:9], v91 offset:128
	ds_load_b128 v[12:15], v91 offset:320
	;; [unrolled: 29-line block ×5, first 2 shown]
	v_dual_mov_b32 v0, 0 :: v_dual_add_nc_u32 v1, s24, v55
	v_mov_b32_e32 v2, 0
	s_wait_dscnt 0x1
	;;#ASMSTART
	v_dot2_f32_f16 v4, v6, v12, v4
	;;#ASMEND
	;;#ASMSTART
	v_dot2_f32_f16 v4, v7, v13, v4
	;;#ASMEND
	;; [unrolled: 3-line block ×4, first 2 shown]
	s_wait_dscnt 0x0
	;;#ASMSTART
	v_dot2_f32_f16 v10, v6, v16, v10
	;;#ASMEND
	;;#ASMSTART
	v_dot2_f32_f16 v10, v7, v17, v10
	;;#ASMEND
	;; [unrolled: 3-line block ×4, first 2 shown]
	s_cbranch_vccnz .LBB59_22
; %bb.21:                               ;   in Loop: Header=BB59_12 Depth=1
	v_add_nc_u32_e32 v2, v1, v97
	global_load_u16 v2, v2, s[36:37] scale_offset
	s_wait_loadcnt 0x0
	v_cvt_f32_f16_e32 v2, v2
	s_delay_alu instid0(VALU_DEP_1)
	v_mul_f32_e32 v2, v86, v2
.LBB59_22:                              ;   in Loop: Header=BB59_12 Depth=1
	s_delay_alu instid0(VALU_DEP_1) | instskip(NEXT) | instid1(VALU_DEP_1)
	v_dual_add_f32 v2, v4, v2 :: v_dual_bitop2_b32 v3, 16, v51 bitop3:0x14
	v_cmp_gt_i32_e32 vcc_lo, 32, v3
	v_max_num_f32_e32 v4, v98, v98
	s_delay_alu instid0(VALU_DEP_3) | instskip(NEXT) | instid1(VALU_DEP_1)
	v_add_f32_e32 v5, 0x40051340, v2
	v_dual_cndmask_b32 v3, v51, v3, vcc_lo :: v_dual_max_num_f32 v5, v4, v5
	s_delay_alu instid0(VALU_DEP_1) | instskip(SKIP_3) | instid1(VALU_DEP_1)
	v_lshlrev_b32_e32 v3, 2, v3
	ds_bpermute_b32 v4, v3, v5
	s_wait_dscnt 0x0
	v_dual_max_num_f32 v7, v4, v4 :: v_dual_bitop2_b32 v6, 8, v51 bitop3:0x14
	v_cmp_gt_i32_e32 vcc_lo, 32, v6
	v_cndmask_b32_e32 v6, v51, v6, vcc_lo
	s_delay_alu instid0(VALU_DEP_1)
	v_dual_lshlrev_b32 v4, 2, v6 :: v_dual_max_num_f32 v6, v5, v7
	v_xor_b32_e32 v7, 4, v51
	ds_bpermute_b32 v5, v4, v6
	v_cmp_gt_i32_e32 vcc_lo, 32, v7
	s_wait_dscnt 0x0
	v_dual_cndmask_b32 v7, v51, v7 :: v_dual_max_num_f32 v8, v5, v5
	s_delay_alu instid0(VALU_DEP_1) | instskip(SKIP_3) | instid1(VALU_DEP_1)
	v_dual_lshlrev_b32 v5, 2, v7 :: v_dual_max_num_f32 v7, v6, v8
	ds_bpermute_b32 v6, v5, v7
	s_wait_dscnt 0x0
	v_dual_max_num_f32 v9, v6, v6 :: v_dual_bitop2_b32 v8, 2, v51 bitop3:0x14
	v_cmp_gt_i32_e32 vcc_lo, 32, v8
	s_delay_alu instid0(VALU_DEP_2) | instskip(SKIP_1) | instid1(VALU_DEP_1)
	v_max_num_f32_e32 v7, v7, v9
	v_cndmask_b32_e32 v8, v51, v8, vcc_lo
	v_lshlrev_b32_e32 v6, 2, v8
	ds_bpermute_b32 v8, v6, v7
	s_wait_dscnt 0x0
	v_dual_max_num_f32 v11, v8, v8 :: v_dual_bitop2_b32 v9, 1, v51 bitop3:0x14
	s_delay_alu instid0(VALU_DEP_1) | instskip(NEXT) | instid1(VALU_DEP_2)
	v_cmp_gt_i32_e32 vcc_lo, 32, v9
	v_max_num_f32_e32 v7, v7, v11
	v_cndmask_b32_e32 v9, v51, v9, vcc_lo
	s_and_not1_b32 vcc_lo, exec_lo, s45
	s_delay_alu instid0(VALU_DEP_1)
	v_lshlrev_b32_e32 v8, 2, v9
	ds_bpermute_b32 v9, v8, v7
	s_cbranch_vccnz .LBB59_24
; %bb.23:                               ;   in Loop: Header=BB59_12 Depth=1
	v_add_nc_u32_e32 v0, v1, v96
	global_load_u16 v0, v0, s[36:37] scale_offset
	s_wait_loadcnt 0x0
	v_cvt_f32_f16_e32 v0, v0
	s_delay_alu instid0(VALU_DEP_1)
	v_mul_f32_e32 v0, v86, v0
.LBB59_24:                              ;   in Loop: Header=BB59_12 Depth=1
	s_delay_alu instid0(VALU_DEP_1) | instskip(SKIP_3) | instid1(VALU_DEP_1)
	v_dual_add_f32 v0, v10, v0 :: v_dual_max_num_f32 v1, v99, v99
	s_mul_u64 s[8:9], s[24:25], s[10:11]
	s_wait_dscnt 0x0
	s_lshl_b64 s[8:9], s[8:9], 2
	v_add_f32_e32 v10, 0x40051340, v0
	s_add_nc_u64 s[8:9], s[14:15], s[8:9]
	s_barrier_signal -1
	s_barrier_wait -1
	s_delay_alu instid0(VALU_DEP_1) | instskip(SKIP_3) | instid1(VALU_DEP_1)
	v_max_num_f32_e32 v1, v1, v10
	ds_bpermute_b32 v3, v3, v1
	s_wait_dscnt 0x0
	v_max_num_f32_e32 v3, v3, v3
	v_max_num_f32_e32 v1, v1, v3
	ds_bpermute_b32 v3, v4, v1
	s_wait_dscnt 0x0
	v_dual_max_num_f32 v4, v9, v9 :: v_dual_max_num_f32 v3, v3, v3
	s_delay_alu instid0(VALU_DEP_1) | instskip(SKIP_4) | instid1(VALU_DEP_1)
	v_max_num_f32_e32 v1, v1, v3
	ds_bpermute_b32 v3, v5, v1
	v_max_num_f32_e32 v5, v7, v7
	s_wait_dscnt 0x0
	v_max_num_f32_e32 v3, v3, v3
	v_max_num_f32_e32 v1, v1, v3
	ds_bpermute_b32 v3, v6, v1
	s_wait_dscnt 0x0
	v_max_num_f32_e32 v3, v3, v3
	s_delay_alu instid0(VALU_DEP_1) | instskip(SKIP_3) | instid1(VALU_DEP_1)
	v_max_num_f32_e32 v1, v1, v3
	ds_bpermute_b32 v3, v8, v1
	s_wait_dscnt 0x0
	v_max_num_f32_e32 v3, v3, v3
	v_max_num_f32_e32 v59, v1, v3
	s_delay_alu instid0(VALU_DEP_1) | instskip(NEXT) | instid1(VALU_DEP_1)
	v_dual_max_num_f32 v58, v5, v4 :: v_dual_sub_f32 v0, v0, v59
	v_sub_f32_e32 v1, v2, v58
	s_delay_alu instid0(VALU_DEP_1) | instskip(SKIP_1) | instid1(VALU_DEP_2)
	v_dual_mul_f32 v3, 0x3fb8aa3b, v0 :: v_dual_mul_f32 v2, 0x3fb8aa3b, v1
	v_cmp_ngt_f32_e32 vcc_lo, 0xc2ce8ed0, v1
	v_rndne_f32_e32 v7, v3
	s_delay_alu instid0(VALU_DEP_3) | instskip(SKIP_2) | instid1(VALU_DEP_3)
	v_fma_f32 v4, 0x3fb8aa3b, v1, -v2
	v_rndne_f32_e32 v5, v2
	v_fma_f32 v6, 0x3fb8aa3b, v0, -v3
	v_dual_sub_f32 v3, v3, v7 :: v_dual_fmac_f32 v4, 0x32a5705f, v1
	s_delay_alu instid0(VALU_DEP_3) | instskip(NEXT) | instid1(VALU_DEP_1)
	v_sub_f32_e32 v2, v2, v5
	v_add_f32_e32 v2, v2, v4
	v_cvt_i32_f32_e32 v4, v5
	v_cvt_i32_f32_e32 v5, v7
	s_delay_alu instid0(VALU_DEP_3) | instskip(SKIP_1) | instid1(TRANS32_DEP_1)
	v_exp_f32_e32 v2, v2
	v_nop
	v_ldexp_f32 v2, v2, v4
	s_delay_alu instid0(VALU_DEP_1) | instskip(SKIP_2) | instid1(VALU_DEP_1)
	v_cndmask_b32_e32 v2, 0, v2, vcc_lo
	v_cmp_ngt_f32_e32 vcc_lo, 0xc2ce8ed0, v0
	v_fmac_f32_e32 v6, 0x32a5705f, v0
	v_add_f32_e32 v3, v3, v6
	s_delay_alu instid0(VALU_DEP_1) | instskip(SKIP_1) | instid1(TRANS32_DEP_1)
	v_exp_f32_e32 v3, v3
	v_nop
	v_ldexp_f32 v3, v3, v5
	s_delay_alu instid0(VALU_DEP_1) | instskip(SKIP_3) | instid1(VALU_DEP_4)
	v_cndmask_b32_e32 v3, 0, v3, vcc_lo
	v_cmp_nlt_f32_e32 vcc_lo, 0x42b17218, v1
	v_cndmask_b32_e32 v74, 0x7f800000, v2, vcc_lo
	v_cmp_nlt_f32_e32 vcc_lo, 0x42b17218, v0
	v_dual_cndmask_b32 v75, 0x7f800000, v3 :: v_dual_add_nc_u32 v0, v80, v49
	s_delay_alu instid0(VALU_DEP_1)
	v_cvt_pk_f16_f32 v1, v74, v75
	ds_store_b32 v0, v1
	s_and_saveexec_b32 s7, s5
	s_cbranch_execz .LBB59_26
; %bb.25:                               ;   in Loop: Header=BB59_12 Depth=1
	v_lshl_add_u64 v[0:1], v[70:71], 2, s[8:9]
	v_mov_b32_e32 v65, v63
	s_delay_alu instid0(VALU_DEP_1)
	v_add_nc_u64_e32 v[0:1], v[0:1], v[64:65]
	global_load_b128 v[0:3], v[0:1], off offset:128
	s_wait_loadcnt 0x0
	ds_store_b128 v95, v[0:3]
.LBB59_26:                              ;   in Loop: Header=BB59_12 Depth=1
	s_or_b32 exec_lo, exec_lo, s7
	v_lshlrev_b32_e32 v76, 2, v54
	s_and_saveexec_b32 s7, s6
	s_cbranch_execz .LBB59_28
; %bb.27:                               ;   in Loop: Header=BB59_12 Depth=1
	v_lshl_add_u64 v[0:1], v[72:73], 2, s[8:9]
	v_mov_b32_e32 v77, v63
	s_delay_alu instid0(VALU_DEP_1)
	v_add_nc_u64_e32 v[0:1], v[0:1], v[76:77]
	global_load_b128 v[0:3], v[0:1], off
	s_wait_loadcnt 0x0
	ds_store_b128 v93, v[0:3]
.LBB59_28:                              ;   in Loop: Header=BB59_12 Depth=1
	s_or_b32 exec_lo, exec_lo, s7
	v_add_nc_u32_e32 v101, 0x400, v78
	v_add_nc_u32_e32 v100, 0x800, v78
	s_wait_dscnt 0x0
	s_barrier_signal -1
	s_barrier_wait -1
	ds_load_2addr_b64 v[28:31], v78 offset1:24
	ds_load_b128 v[44:47], v80
	ds_load_b128 v[40:43], v80 offset:16
	ds_load_b128 v[36:39], v80 offset:32
	;; [unrolled: 1-line block ×3, first 2 shown]
	ds_load_2addr_b64 v[24:27], v78 offset0:48 offset1:72
	v_dual_sub_f32 v102, v98, v58 :: v_dual_sub_f32 v98, v99, v59
	ds_load_2addr_b64 v[32:35], v78 offset0:96 offset1:120
	ds_load_2addr_b64 v[20:23], v78 offset0:144 offset1:168
	;; [unrolled: 1-line block ×6, first 2 shown]
	s_or_b32 s42, s24, 16
	s_wait_dscnt 0x0
	s_ashr_i32 s43, s42, 31
	v_cmp_ngt_f32_e64 s7, 0xc2ce8ed0, v102
	s_mul_u64 s[42:43], s[42:43], s[10:11]
	v_cmp_ngt_f32_e64 s8, 0xc2ce8ed0, v98
	v_cmp_nlt_f32_e64 s9, 0x42b17218, v98
	s_lshl_b64 s[42:43], s[42:43], 2
	v_cmp_nlt_f32_e32 vcc_lo, 0x42b17218, v102
	s_add_nc_u64 s[42:43], s[14:15], s[42:43]
	s_barrier_signal -1
	s_barrier_wait -1
	s_and_saveexec_b32 s25, s5
	s_cbranch_execz .LBB59_30
; %bb.29:                               ;   in Loop: Header=BB59_12 Depth=1
	v_lshl_add_u64 v[104:105], v[70:71], 2, s[42:43]
	v_mov_b32_e32 v65, v63
	s_delay_alu instid0(VALU_DEP_1)
	v_add_nc_u64_e32 v[104:105], v[104:105], v[64:65]
	global_load_b128 v[104:107], v[104:105], off offset:128
	s_wait_loadcnt 0x0
	ds_store_b128 v95, v[104:107]
.LBB59_30:                              ;   in Loop: Header=BB59_12 Depth=1
	s_or_b32 exec_lo, exec_lo, s25
	s_and_saveexec_b32 s25, s6
	s_cbranch_execz .LBB59_32
; %bb.31:                               ;   in Loop: Header=BB59_12 Depth=1
	v_lshl_add_u64 v[104:105], v[72:73], 2, s[42:43]
	v_mov_b32_e32 v77, v63
	s_delay_alu instid0(VALU_DEP_1)
	v_add_nc_u64_e32 v[76:77], v[104:105], v[76:77]
	global_load_b128 v[104:107], v[76:77], off
	s_wait_loadcnt 0x0
	ds_store_b128 v93, v[104:107]
.LBB59_32:                              ;   in Loop: Header=BB59_12 Depth=1
	s_or_b32 exec_lo, exec_lo, s25
	v_dual_mul_f32 v76, 0x3fb8aa3b, v98 :: v_dual_lshrrev_b32 v105, 16, v44
	v_and_b32_e32 v106, 0xffff, v40
	v_and_b32_e32 v108, 0xffff, v43
	;; [unrolled: 1-line block ×3, first 2 shown]
	s_delay_alu instid0(VALU_DEP_4)
	v_rndne_f32_e32 v104, v76
	v_mul_f32_e32 v65, 0x3fb8aa3b, v102
	v_fma_f32 v103, 0x3fb8aa3b, v98, -v76
	v_and_b32_e32 v44, 0xffff, v44
	v_mul_u32_u24_e32 v106, 0x10001, v106
	v_sub_f32_e32 v76, v76, v104
	v_fma_f32 v77, 0x3fb8aa3b, v102, -v65
	v_rndne_f32_e32 v99, v65
	v_fmac_f32_e32 v103, 0x32a5705f, v98
	v_mul_u32_u24_e32 v44, 0x10001, v44
	s_delay_alu instid0(VALU_DEP_4) | instskip(NEXT) | instid1(VALU_DEP_4)
	v_dual_fmac_f32 v77, 0x32a5705f, v102 :: v_dual_lshrrev_b32 v98, 16, v45
	v_sub_f32_e32 v65, v65, v99
	v_lshrrev_b32_e32 v102, 16, v47
	v_cvt_i32_f32_e32 v99, v99
	v_add_f32_e32 v76, v76, v103
	v_cvt_i32_f32_e32 v103, v104
	v_dual_add_f32 v65, v65, v77 :: v_dual_lshrrev_b32 v104, 16, v40
	v_and_b32_e32 v45, 0xffff, v45
	s_delay_alu instid0(VALU_DEP_4) | instskip(SKIP_1) | instid1(VALU_DEP_3)
	v_exp_f32_e32 v76, v76
	v_pk_mul_f16 v114, v28, v44
	v_exp_f32_e32 v65, v65
	v_lshrrev_b32_e32 v77, 16, v46
	v_and_b32_e32 v46, 0xffff, v46
	v_mul_u32_u24_e32 v45, 0x10001, v45
	v_mul_u32_u24_e32 v98, 0x10001, v98
	v_and_b32_e32 v47, 0xffff, v47
	v_mul_u32_u24_e32 v77, 0x10001, v77
	v_ldexp_f32 v40, v65, v99
	v_ldexp_f32 v65, v76, v103
	v_lshrrev_b32_e32 v76, 16, v41
	v_and_b32_e32 v99, 0xffff, v41
	s_delay_alu instid0(VALU_DEP_4) | instskip(NEXT) | instid1(VALU_DEP_4)
	v_dual_lshrrev_b32 v103, 16, v42 :: v_dual_cndmask_b32 v40, 0, v40, s7
	v_dual_cndmask_b32 v41, 0, v65, s8 :: v_dual_lshrrev_b32 v43, 16, v43
	v_mul_u32_u24_e32 v65, 0x10001, v105
	s_delay_alu instid0(VALU_DEP_3) | instskip(NEXT) | instid1(VALU_DEP_3)
	v_dual_cndmask_b32 v40, 0x7f800000, v40 :: v_dual_lshrrev_b32 v37, 16, v37
	v_cndmask_b32_e64 v41, 0x7f800000, v41, s9
	v_mul_u32_u24_e32 v46, 0x10001, v46
	s_delay_alu instid0(VALU_DEP_4)
	v_pk_mul_f16 v28, v28, v65
	v_mul_u32_u24_e32 v47, 0x10001, v47
	v_cvt_f16_f32_e32 v105, v40
	v_cvt_f16_f32_e32 v107, v41
	v_mul_u32_u24_e32 v102, 0x10001, v102
	v_mul_u32_u24_e32 v104, 0x10001, v104
	v_and_b32_e32 v42, 0xffff, v42
	v_and_b32_e32 v105, 0xffff, v105
	;; [unrolled: 1-line block ×3, first 2 shown]
	v_mul_u32_u24_e32 v99, 0x10001, v99
	v_mul_u32_u24_e32 v76, 0x10001, v76
	v_mul_u32_u24_e32 v42, 0x10001, v42
	v_mul_u32_u24_e32 v105, 0x10001, v105
	v_mul_u32_u24_e32 v107, 0x10001, v107
	v_mul_u32_u24_e32 v103, 0x10001, v103
	v_and_b32_e32 v109, 0xffff, v36
	v_lshrrev_b32_e32 v36, 16, v36
	v_pk_mul_f16 v85, v85, v105
	v_pk_mul_f16 v83, v83, v107
	v_pk_fma_f16 v84, v84, v105, v114
	v_pk_fma_f16 v28, v81, v107, v28
	v_mul_u32_u24_e32 v108, 0x10001, v108
	v_pk_fma_f16 v44, v29, v44, v85
	v_pk_fma_f16 v29, v29, v65, v83
	v_pk_fma_f16 v65, v30, v45, v84
	v_pk_fma_f16 v28, v30, v98, v28
	v_mul_u32_u24_e32 v43, 0x10001, v43
	v_pk_fma_f16 v30, v31, v45, v44
	v_pk_fma_f16 v29, v31, v98, v29
	;; [unrolled: 5-line block ×3, first 2 shown]
	v_pk_fma_f16 v29, v26, v47, v31
	v_pk_fma_f16 v24, v26, v102, v24
	v_and_b32_e32 v111, 0xffff, v38
	v_pk_fma_f16 v26, v27, v47, v28
	v_pk_fma_f16 v25, v27, v102, v25
	v_pk_fma_f16 v27, v32, v106, v29
	v_pk_fma_f16 v24, v32, v104, v24
	v_lshrrev_b32_e32 v38, 16, v38
	v_pk_fma_f16 v26, v33, v106, v26
	v_pk_fma_f16 v25, v33, v104, v25
	;; [unrolled: 1-line block ×4, first 2 shown]
	v_mul_u32_u24_e32 v36, 0x10001, v36
	v_pk_fma_f16 v26, v35, v99, v26
	v_pk_fma_f16 v25, v35, v76, v25
	;; [unrolled: 1-line block ×4, first 2 shown]
	v_lshrrev_b32_e32 v30, 16, v1
	v_pk_fma_f16 v24, v21, v42, v26
	v_pk_fma_f16 v21, v21, v103, v25
	v_lshrrev_b32_e32 v26, 16, v2
	v_pk_fma_f16 v25, v22, v108, v27
	v_pk_fma_f16 v20, v22, v43, v20
	;; [unrolled: 1-line block ×3, first 2 shown]
	v_and_b32_e32 v2, 0xffff, v2
	v_pk_fma_f16 v21, v23, v43, v21
	v_mul_u32_u24_e32 v110, 0x10001, v110
	v_mul_u32_u24_e32 v37, 0x10001, v37
	v_pk_fma_f16 v23, v16, v109, v25
	v_pk_fma_f16 v16, v16, v36, v20
	;; [unrolled: 1-line block ×3, first 2 shown]
	v_mul_u32_u24_e32 v22, 0x10001, v2
	v_pk_fma_f16 v2, v17, v36, v21
	v_and_b32_e32 v112, 0xffff, v39
	v_dual_lshrrev_b32 v39, 16, v39 :: v_dual_lshrrev_b32 v113, 16, v0
	v_mul_u32_u24_e32 v111, 0x10001, v111
	v_mul_u32_u24_e32 v38, 0x10001, v38
	v_pk_fma_f16 v17, v18, v110, v23
	v_pk_fma_f16 v16, v18, v37, v16
	;; [unrolled: 1-line block ×4, first 2 shown]
	v_mul_u32_u24_e32 v112, 0x10001, v112
	v_mul_u32_u24_e32 v39, 0x10001, v39
	v_and_b32_e32 v0, 0xffff, v0
	v_pk_fma_f16 v17, v12, v111, v17
	v_pk_fma_f16 v12, v12, v38, v16
	;; [unrolled: 1-line block ×4, first 2 shown]
	v_mul_u32_u24_e32 v0, 0x10001, v0
	v_mul_u32_u24_e32 v44, 0x10001, v113
	v_and_b32_e32 v1, 0xffff, v1
	v_pk_fma_f16 v13, v14, v112, v17
	v_pk_fma_f16 v12, v14, v39, v12
	;; [unrolled: 1-line block ×3, first 2 shown]
	s_wait_dscnt 0x0
	s_barrier_signal -1
	s_barrier_wait -1
	ds_load_b128 v[16:19], v80 offset:64
	v_pk_fma_f16 v2, v15, v39, v2
	v_mul_u32_u24_e32 v1, 0x10001, v1
	v_mul_u32_u24_e32 v28, 0x10001, v30
	v_lshrrev_b32_e32 v21, 16, v3
	v_and_b32_e32 v3, 0xffff, v3
	v_pk_fma_f16 v13, v8, v0, v13
	v_pk_fma_f16 v8, v8, v44, v12
	;; [unrolled: 1-line block ×4, first 2 shown]
	v_mul_u32_u24_e32 v12, 0x10001, v3
	v_pk_fma_f16 v9, v10, v1, v13
	v_pk_fma_f16 v8, v10, v28, v8
	;; [unrolled: 1-line block ×4, first 2 shown]
	ds_load_2addr_b64 v[0:3], v78 offset1:24
	v_mul_u32_u24_e32 v20, 0x10001, v26
	v_pk_fma_f16 v9, v4, v22, v9
	v_pk_fma_f16 v14, v5, v22, v10
	v_pk_fma_f32 v[52:53], v[52:53], v[40:41], v[74:75]
	s_delay_alu instid0(VALU_DEP_4)
	v_pk_fma_f16 v4, v4, v20, v8
	v_pk_fma_f16 v5, v5, v20, v11
	;; [unrolled: 1-line block ×3, first 2 shown]
	ds_load_b128 v[8:11], v80 offset:80
	s_wait_dscnt 0x2
	v_and_b32_e32 v15, 0xffff, v16
	v_lshrrev_b32_e32 v16, 16, v16
	v_mul_u32_u24_e32 v13, 0x10001, v21
	v_and_b32_e32 v29, 0xffff, v17
	v_pk_fma_f16 v26, v7, v12, v14
	v_mul_u32_u24_e32 v28, 0x10001, v15
	v_mul_u32_u24_e32 v16, 0x10001, v16
	v_pk_fma_f16 v25, v6, v13, v4
	v_pk_fma_f16 v27, v7, v13, v5
	v_lshrrev_b32_e32 v17, 16, v17
	s_wait_dscnt 0x1
	v_pk_fma_f16 v24, v0, v28, v24
	v_mul_u32_u24_e32 v29, 0x10001, v29
	ds_load_2addr_b64 v[4:7], v78 offset0:48 offset1:72
	ds_load_b128 v[12:15], v80 offset:96
	ds_load_b128 v[20:23], v80 offset:112
	v_pk_fma_f16 v0, v0, v16, v25
	v_pk_fma_f16 v25, v1, v28, v26
	;; [unrolled: 1-line block ×4, first 2 shown]
	v_and_b32_e32 v24, 0xffff, v18
	v_lshrrev_b32_e32 v18, 16, v18
	v_mul_u32_u24_e32 v17, 0x10001, v17
	v_pk_fma_f16 v25, v3, v29, v25
	v_and_b32_e32 v27, 0xffff, v19
	v_mul_u32_u24_e32 v24, 0x10001, v24
	v_mul_u32_u24_e32 v18, 0x10001, v18
	v_pk_fma_f16 v26, v2, v17, v0
	v_pk_fma_f16 v17, v3, v17, v1
	ds_load_2addr_b64 v[0:3], v78 offset0:96 offset1:120
	v_lshrrev_b32_e32 v19, 16, v19
	s_wait_dscnt 0x3
	v_pk_fma_f16 v16, v4, v24, v16
	v_pk_fma_f16 v4, v4, v18, v26
	v_pk_fma_f16 v24, v5, v24, v25
	v_mul_u32_u24_e32 v25, 0x10001, v27
	v_pk_fma_f16 v5, v5, v18, v17
	v_and_b32_e32 v17, 0xffff, v8
	v_lshrrev_b32_e32 v8, 16, v8
	v_mul_u32_u24_e32 v26, 0x10001, v19
	v_pk_fma_f16 v27, v6, v25, v16
	s_delay_alu instid0(VALU_DEP_3) | instskip(NEXT) | instid1(VALU_DEP_3)
	v_mul_u32_u24_e32 v8, 0x10001, v8
	v_pk_fma_f16 v4, v6, v26, v4
	v_pk_fma_f16 v6, v7, v25, v24
	v_mul_u32_u24_e32 v24, 0x10001, v17
	v_and_b32_e32 v25, 0xffff, v9
	ds_load_2addr_b64 v[16:19], v78 offset0:144 offset1:168
	v_pk_fma_f16 v5, v7, v26, v5
	v_lshrrev_b32_e32 v7, 16, v9
	s_wait_dscnt 0x1
	v_pk_fma_f16 v9, v0, v24, v27
	v_mul_u32_u24_e32 v25, 0x10001, v25
	v_pk_fma_f16 v0, v0, v8, v4
	v_pk_fma_f16 v4, v1, v24, v6
	;; [unrolled: 1-line block ×3, first 2 shown]
	v_lshrrev_b32_e32 v8, 16, v10
	v_mul_u32_u24_e32 v6, 0x10001, v7
	v_pk_fma_f16 v5, v2, v25, v9
	v_and_b32_e32 v7, 0xffff, v10
	v_pk_fma_f16 v4, v3, v25, v4
	v_mul_u32_u24_e32 v8, 0x10001, v8
	v_pk_fma_f16 v9, v2, v6, v0
	v_pk_fma_f16 v6, v3, v6, v1
	ds_load_2addr_b64 v[0:3], v78 offset0:192 offset1:216
	v_mul_u32_u24_e32 v7, 0x10001, v7
	v_and_b32_e32 v10, 0xffff, v11
	v_lshrrev_b32_e32 v11, 16, v11
	s_wait_dscnt 0x1
	v_pk_fma_f16 v9, v16, v8, v9
	v_pk_fma_f16 v8, v17, v8, v6
	;; [unrolled: 1-line block ×4, first 2 shown]
	v_mul_u32_u24_e32 v7, 0x10001, v10
	v_mul_u32_u24_e32 v10, 0x10001, v11
	v_and_b32_e32 v6, 0xffff, v12
	v_lshrrev_b32_e32 v11, 16, v12
	s_delay_alu instid0(VALU_DEP_4) | instskip(NEXT) | instid1(VALU_DEP_4)
	v_pk_fma_f16 v12, v18, v7, v5
	v_pk_fma_f16 v9, v18, v10, v9
	;; [unrolled: 1-line block ×3, first 2 shown]
	v_mul_u32_u24_e32 v17, 0x10001, v6
	v_mul_u32_u24_e32 v11, 0x10001, v11
	v_and_b32_e32 v18, 0xffff, v13
	ds_load_2addr_b64 v[4:7], v101 offset0:112 offset1:136
	v_pk_fma_f16 v8, v19, v10, v8
	v_lshrrev_b32_e32 v10, 16, v13
	s_wait_dscnt 0x1
	v_pk_fma_f16 v12, v0, v17, v12
	v_pk_fma_f16 v0, v0, v11, v9
	v_mul_u32_u24_e32 v9, 0x10001, v18
	v_pk_fma_f16 v13, v1, v17, v16
	v_mul_u32_u24_e32 v16, 0x10001, v10
	v_pk_fma_f16 v1, v1, v11, v8
	v_and_b32_e32 v8, 0xffff, v14
	v_pk_fma_f16 v12, v2, v9, v12
	v_lshrrev_b32_e32 v14, 16, v14
	v_pk_fma_f16 v0, v2, v16, v0
	v_pk_fma_f16 v2, v3, v9, v13
	v_mul_u32_u24_e32 v13, 0x10001, v8
	ds_load_2addr_b64 v[8:11], v100 offset0:32 offset1:56
	v_mul_u32_u24_e32 v14, 0x10001, v14
	v_pk_fma_f16 v1, v3, v16, v1
	v_and_b32_e32 v3, 0xffff, v15
	v_lshrrev_b32_e32 v15, 16, v15
	s_wait_dscnt 0x1
	v_pk_fma_f16 v12, v4, v13, v12
	v_pk_fma_f16 v0, v4, v14, v0
	v_pk_fma_f16 v2, v5, v13, v2
	v_mul_u32_u24_e32 v3, 0x10001, v3
	v_and_b32_e32 v13, 0xffff, v20
	v_pk_fma_f16 v1, v5, v14, v1
	v_lshrrev_b32_e32 v14, 16, v21
	v_mul_u32_u24_e32 v4, 0x10001, v15
	v_lshrrev_b32_e32 v15, 16, v20
	v_pk_fma_f16 v5, v6, v3, v12
	s_delay_alu instid0(VALU_DEP_3) | instskip(SKIP_4) | instid1(VALU_DEP_3)
	v_pk_fma_f16 v0, v6, v4, v0
	v_mul_u32_u24_e32 v6, 0x10001, v13
	v_pk_fma_f16 v13, v7, v3, v2
	v_pk_fma_f16 v4, v7, v4, v1
	s_wait_dscnt 0x0
	v_pk_fma_f16 v5, v8, v6, v5
	s_delay_alu instid0(VALU_DEP_3) | instskip(SKIP_2) | instid1(VALU_DEP_1)
	v_pk_fma_f16 v6, v9, v6, v13
	v_lshrrev_b32_e32 v13, 16, v22
	v_mul_u32_u24_e32 v12, 0x10001, v15
	v_pk_fma_f16 v7, v8, v12, v0
	ds_load_2addr_b64 v[0:3], v100 offset0:80 offset1:104
	s_wait_dscnt 0x0
	s_barrier_signal -1
	s_barrier_wait -1
	s_load_b32 s7, s[40:41], 0x4
	v_and_b32_e32 v8, 0xffff, v21
	v_pk_fma_f16 v4, v9, v12, v4
	v_mul_u32_u24_e32 v9, 0x10001, v14
	v_and_b32_e32 v12, 0xffff, v22
	s_delay_alu instid0(VALU_DEP_4) | instskip(NEXT) | instid1(VALU_DEP_3)
	v_mul_u32_u24_e32 v8, 0x10001, v8
	v_pk_fma_f16 v7, v10, v9, v7
	v_pk_fma_f16 v4, v11, v9, v4
	s_delay_alu instid0(VALU_DEP_3)
	v_pk_fma_f16 v5, v10, v8, v5
	v_pk_fma_f16 v6, v11, v8, v6
	v_mul_u32_u24_e32 v8, 0x10001, v12
	v_mul_u32_u24_e32 v10, 0x10001, v13
	v_and_b32_e32 v12, 0xffff, v23
	v_lshrrev_b32_e32 v13, 16, v23
	s_delay_alu instid0(VALU_DEP_4) | instskip(NEXT) | instid1(VALU_DEP_4)
	v_pk_fma_f16 v5, v0, v8, v5
	v_pk_fma_f16 v0, v0, v10, v7
	s_delay_alu instid0(VALU_DEP_4) | instskip(NEXT) | instid1(VALU_DEP_4)
	v_mul_u32_u24_e32 v7, 0x10001, v12
	v_mul_u32_u24_e32 v9, 0x10001, v13
	v_pk_fma_f16 v6, v1, v8, v6
	v_pk_fma_f16 v1, v1, v10, v4
	s_wait_kmcnt 0x0
	s_lshl_b32 s7, s7, 5
	v_pk_fma_f16 v84, v2, v7, v5
	v_pk_fma_f16 v81, v2, v9, v0
	;; [unrolled: 1-line block ×4, first 2 shown]
	s_add_co_i32 s24, s7, s24
	s_delay_alu instid0(SALU_CYCLE_1)
	s_cmp_lt_i32 s24, s35
	s_cbranch_scc0 .LBB59_35
; %bb.33:                               ;   in Loop: Header=BB59_12 Depth=1
	v_dual_mov_b32 v98, v58 :: v_dual_mov_b32 v99, v59
	s_branch .LBB59_12
.LBB59_34:
	v_dual_mov_b32 v53, 0 :: v_dual_mov_b32 v84, 0
	v_mov_b64_e32 v[58:59], 0xfefffffffeffffff
	v_dual_mov_b32 v85, 0 :: v_dual_mov_b32 v81, 0
	s_delay_alu instid0(VALU_DEP_3)
	v_dual_mov_b32 v52, v53 :: v_dual_mov_b32 v83, 0
.LBB59_35:
	s_cmp_gt_i32 s38, s24
	s_cbranch_scc1 .LBB59_38
; %bb.36:
	v_mbcnt_lo_u32_b32 v0, -1, 0
	s_delay_alu instid0(VALU_DEP_2) | instskip(SKIP_1) | instid1(VALU_DEP_3)
	v_mov_b64_e32 v[36:37], v[52:53]
	v_mov_b32_e32 v63, 32
	v_xor_b32_e32 v47, 16, v0
	v_xor_b32_e32 v51, 8, v0
	;; [unrolled: 1-line block ×5, first 2 shown]
	s_cbranch_execz .LBB59_39
; %bb.37:
	v_mov_b32_e32 v79, v0
	s_branch .LBB59_66
.LBB59_38:
                                        ; implicit-def: $vgpr0
                                        ; implicit-def: $vgpr63
                                        ; implicit-def: $vgpr47
                                        ; implicit-def: $vgpr51
                                        ; implicit-def: $vgpr62
                                        ; implicit-def: $vgpr64
                                        ; implicit-def: $vgpr65
                                        ; implicit-def: $vgpr36_vgpr37
.LBB59_39:
	v_lshl_add_u32 v7, v82, 4, v90
	s_ashr_i32 s25, s24, 31
	s_ashr_i32 s29, s28, 31
	v_dual_mov_b32 v2, 0 :: v_dual_lshlrev_b32 v3, 20, v79
	s_delay_alu instid0(VALU_DEP_2)
	v_mul_lo_u32 v0, s28, v7
	s_mul_u64 s[4:5], s[24:25], s[28:29]
	v_mul_u32_u24_e32 v8, 0x70, v7
	v_lshlrev_b32_e32 v6, 2, v60
	s_lshl_b64 s[4:5], s[4:5], 2
	v_add_nc_u64_e32 v[4:5], src_flat_scratch_base_lo, v[2:3]
	s_add_nc_u64 s[6:7], s[26:27], s[4:5]
	v_cmp_gt_u32_e64 s4, 32, v7
	v_add3_u32 v3, v8, v6, 64
	s_sub_co_i32 s8, s38, s24
	s_delay_alu instid0(SALU_CYCLE_1) | instskip(SKIP_1) | instid1(VALU_DEP_1)
	v_cmp_gt_i32_e32 vcc_lo, s8, v7
	v_ashrrev_i32_e32 v1, 31, v0
	v_lshl_add_u64 v[8:9], v[0:1], 2, s[6:7]
	s_and_saveexec_b32 s3, s4
	s_cbranch_execz .LBB59_41
; %bb.40:
	v_mov_b32_e32 v0, 0
	s_delay_alu instid0(VALU_DEP_1) | instskip(NEXT) | instid1(VALU_DEP_1)
	v_mov_b32_e32 v7, v0
	v_add_nc_u64_e32 v[10:11], v[8:9], v[6:7]
	s_delay_alu instid0(VALU_DEP_1) | instskip(NEXT) | instid1(VALU_DEP_1)
	v_add_nc_u64_e32 v[10:11], 64, v[10:11]
	v_dual_cndmask_b32 v11, v5, v11, vcc_lo :: v_dual_mov_b32 v1, v0
	v_mov_b32_e32 v2, v0
	s_delay_alu instid0(VALU_DEP_3)
	v_cndmask_b32_e32 v10, v4, v10, vcc_lo
	s_clause 0x1
	scratch_store_b32 off, v0, off
	scratch_store_b96 off, v[0:2], off offset:4
	flat_load_b128 v[10:13], v[10:11]
	s_wait_loadcnt_dscnt 0x0
	ds_store_b128 v3, v[10:13]
.LBB59_41:
	s_wait_xcnt 0x0
	s_or_b32 exec_lo, exec_lo, s3
	v_lshl_add_u32 v46, v82, 3, v89
	v_mov_b32_e32 v0, 0
	s_delay_alu instid0(VALU_DEP_2) | instskip(SKIP_3) | instid1(VALU_DEP_4)
	v_mul_lo_u32 v10, s28, v46
	v_lshlrev_b32_e32 v32, 2, v56
	v_cmp_gt_u32_e64 s5, 32, v46
	v_cmp_gt_i32_e64 s3, s8, v46
	v_ashrrev_i32_e32 v11, 31, v10
	s_delay_alu instid0(VALU_DEP_4) | instskip(NEXT) | instid1(VALU_DEP_2)
	v_mad_u32_u24 v12, 0x70, v46, v32
	v_lshl_add_u64 v[10:11], v[10:11], 2, s[6:7]
	s_and_saveexec_b32 s6, s5
	s_cbranch_execz .LBB59_43
; %bb.42:
	v_dual_mov_b32 v33, v0 :: v_dual_mov_b32 v1, v0
	s_delay_alu instid0(VALU_DEP_1) | instskip(NEXT) | instid1(VALU_DEP_1)
	v_add_nc_u64_e32 v[14:15], v[10:11], v[32:33]
	v_dual_mov_b32 v2, v0 :: v_dual_cndmask_b32 v15, v5, v15, s3
	s_delay_alu instid0(VALU_DEP_2)
	v_cndmask_b32_e64 v14, v4, v14, s3
	s_clause 0x1
	scratch_store_b32 off, v0, off
	scratch_store_b96 off, v[0:2], off offset:4
	flat_load_b128 v[14:17], v[14:15]
	s_wait_loadcnt_dscnt 0x0
	ds_store_b128 v12, v[14:17]
.LBB59_43:
	s_wait_xcnt 0x0
	s_or_b32 exec_lo, exec_lo, s6
	v_mul_u32_u24_e32 v7, 0x180, v82
	s_wait_storecnt_dscnt 0x0
	s_barrier_signal -1
	s_barrier_wait -1
	ds_load_b128 v[14:17], v88
	ds_load_b128 v[18:21], v7 offset:3712
	ds_load_b128 v[22:25], v7 offset:3904
	v_dual_mov_b32 v2, 0 :: v_dual_mov_b32 v1, 0
	s_movk_i32 s6, 0xe80
	s_wait_dscnt 0x1
	;;#ASMSTART
	v_dot2_f32_f16 v2, v14, v18, v2
	;;#ASMEND
	;;#ASMSTART
	v_dot2_f32_f16 v2, v15, v19, v2
	;;#ASMEND
	;;#ASMSTART
	v_dot2_f32_f16 v2, v16, v20, v2
	;;#ASMEND
	;;#ASMSTART
	v_dot2_f32_f16 v2, v17, v21, v2
	;;#ASMEND
	s_wait_dscnt 0x0
	;;#ASMSTART
	v_dot2_f32_f16 v1, v14, v22, v1
	;;#ASMEND
	;;#ASMSTART
	v_dot2_f32_f16 v1, v15, v23, v1
	;;#ASMEND
	;;#ASMSTART
	v_dot2_f32_f16 v1, v16, v24, v1
	;;#ASMEND
	;;#ASMSTART
	v_dot2_f32_f16 v1, v17, v25, v1
	;;#ASMEND
	ds_load_b128 v[14:17], v88 offset:16
	ds_load_b128 v[18:21], v7 offset:3728
	ds_load_b128 v[22:25], v7 offset:3920
	s_wait_dscnt 0x1
	;;#ASMSTART
	v_dot2_f32_f16 v2, v14, v18, v2
	;;#ASMEND
	;;#ASMSTART
	v_dot2_f32_f16 v2, v15, v19, v2
	;;#ASMEND
	;;#ASMSTART
	v_dot2_f32_f16 v2, v16, v20, v2
	;;#ASMEND
	;;#ASMSTART
	v_dot2_f32_f16 v2, v17, v21, v2
	;;#ASMEND
	s_wait_dscnt 0x0
	;;#ASMSTART
	v_dot2_f32_f16 v1, v14, v22, v1
	;;#ASMEND
	;;#ASMSTART
	v_dot2_f32_f16 v1, v15, v23, v1
	;;#ASMEND
	;;#ASMSTART
	v_dot2_f32_f16 v1, v16, v24, v1
	;;#ASMEND
	;;#ASMSTART
	v_dot2_f32_f16 v1, v17, v25, v1
	;;#ASMEND
	ds_load_b128 v[14:17], v88 offset:32
	ds_load_b128 v[18:21], v7 offset:3744
	ds_load_b128 v[22:25], v7 offset:3936
	;; [unrolled: 29-line block ×5, first 2 shown]
	s_wait_dscnt 0x1
	;;#ASMSTART
	v_dot2_f32_f16 v2, v14, v18, v2
	;;#ASMEND
	;;#ASMSTART
	v_dot2_f32_f16 v2, v15, v19, v2
	;;#ASMEND
	;; [unrolled: 3-line block ×4, first 2 shown]
	s_wait_dscnt 0x0
	;;#ASMSTART
	v_dot2_f32_f16 v1, v14, v22, v1
	;;#ASMEND
	;;#ASMSTART
	v_dot2_f32_f16 v1, v15, v23, v1
	;;#ASMEND
	;; [unrolled: 3-line block ×4, first 2 shown]
	s_barrier_signal -1
	s_barrier_wait -1
	s_and_saveexec_b32 s7, s4
	s_cbranch_execz .LBB59_45
; %bb.44:
	v_mov_b32_e32 v7, v0
	s_delay_alu instid0(VALU_DEP_1) | instskip(NEXT) | instid1(VALU_DEP_1)
	v_add_nc_u64_e32 v[6:7], v[8:9], v[6:7]
	v_add_nc_u64_e32 v[14:15], 0xa0, v[6:7]
	v_mov_b32_e32 v6, 0
	s_delay_alu instid0(VALU_DEP_1) | instskip(NEXT) | instid1(VALU_DEP_3)
	v_dual_mov_b32 v7, v6 :: v_dual_mov_b32 v8, v6
	v_dual_cndmask_b32 v15, v5, v15 :: v_dual_cndmask_b32 v14, v4, v14
	s_clause 0x1
	scratch_store_b32 off, v6, off
	scratch_store_b96 off, v[6:8], off offset:4
	flat_load_b128 v[6:9], v[14:15]
	s_wait_loadcnt_dscnt 0x0
	ds_store_b128 v3, v[6:9]
.LBB59_45:
	s_wait_xcnt 0x0
	s_or_b32 exec_lo, exec_lo, s7
	v_mad_u32_u24 v0, 0x180, v82, s6
	s_and_saveexec_b32 s4, s5
	s_cbranch_execz .LBB59_47
; %bb.46:
	v_mov_b32_e32 v6, 0
	s_delay_alu instid0(VALU_DEP_1) | instskip(NEXT) | instid1(VALU_DEP_1)
	v_mov_b32_e32 v33, v6
	v_add_nc_u64_e32 v[8:9], v[10:11], v[32:33]
	s_delay_alu instid0(VALU_DEP_1) | instskip(NEXT) | instid1(VALU_DEP_1)
	v_add_nc_u64_e32 v[10:11], 0x60, v[8:9]
	v_dual_cndmask_b32 v5, v5, v11, s3 :: v_dual_mov_b32 v7, v6
	s_delay_alu instid0(VALU_DEP_2)
	v_dual_mov_b32 v8, v6 :: v_dual_cndmask_b32 v4, v4, v10, s3
	s_clause 0x1
	scratch_store_b32 off, v6, off
	scratch_store_b96 off, v[6:8], off offset:4
	flat_load_b128 v[4:7], v[4:5]
	s_wait_loadcnt_dscnt 0x0
	ds_store_b128 v12, v[4:7]
.LBB59_47:
	s_wait_xcnt 0x0
	s_or_b32 exec_lo, exec_lo, s4
	s_wait_storecnt_dscnt 0x0
	s_barrier_signal -1
	s_barrier_wait -1
	ds_load_b128 v[4:7], v88
	ds_load_b128 v[8:11], v0 offset:96
	ds_load_b128 v[12:15], v0 offset:288
	s_cmp_lg_u64 s[36:37], 0
	v_cmp_gt_i32_e64 s4, s8, v55
	s_cselect_b32 s6, -1, 0
	s_wait_dscnt 0x1
	;;#ASMSTART
	v_dot2_f32_f16 v2, v4, v8, v2
	;;#ASMEND
	;;#ASMSTART
	v_dot2_f32_f16 v2, v5, v9, v2
	;;#ASMEND
	;;#ASMSTART
	v_dot2_f32_f16 v2, v6, v10, v2
	;;#ASMEND
	;;#ASMSTART
	v_dot2_f32_f16 v2, v7, v11, v2
	;;#ASMEND
	s_wait_dscnt 0x0
	;;#ASMSTART
	v_dot2_f32_f16 v1, v4, v12, v1
	;;#ASMEND
	;;#ASMSTART
	v_dot2_f32_f16 v1, v5, v13, v1
	;;#ASMEND
	;;#ASMSTART
	v_dot2_f32_f16 v1, v6, v14, v1
	;;#ASMEND
	;;#ASMSTART
	v_dot2_f32_f16 v1, v7, v15, v1
	;;#ASMEND
	ds_load_b128 v[4:7], v88 offset:16
	ds_load_b128 v[8:11], v0 offset:112
	ds_load_b128 v[12:15], v0 offset:304
	s_wait_dscnt 0x1
	;;#ASMSTART
	v_dot2_f32_f16 v2, v4, v8, v2
	;;#ASMEND
	;;#ASMSTART
	v_dot2_f32_f16 v2, v5, v9, v2
	;;#ASMEND
	;;#ASMSTART
	v_dot2_f32_f16 v2, v6, v10, v2
	;;#ASMEND
	;;#ASMSTART
	v_dot2_f32_f16 v2, v7, v11, v2
	;;#ASMEND
	s_wait_dscnt 0x0
	;;#ASMSTART
	v_dot2_f32_f16 v1, v4, v12, v1
	;;#ASMEND
	;;#ASMSTART
	v_dot2_f32_f16 v1, v5, v13, v1
	;;#ASMEND
	;;#ASMSTART
	v_dot2_f32_f16 v1, v6, v14, v1
	;;#ASMEND
	;;#ASMSTART
	v_dot2_f32_f16 v1, v7, v15, v1
	;;#ASMEND
	ds_load_b128 v[4:7], v88 offset:32
	ds_load_b128 v[8:11], v0 offset:128
	ds_load_b128 v[12:15], v0 offset:320
	;; [unrolled: 29-line block ×5, first 2 shown]
	v_dual_mov_b32 v3, v58 :: v_dual_add_nc_u32 v0, s24, v55
	v_cndmask_b32_e64 v4, 0, 1, s6
	s_wait_dscnt 0x1
	;;#ASMSTART
	v_dot2_f32_f16 v2, v6, v10, v2
	;;#ASMEND
	;;#ASMSTART
	v_dot2_f32_f16 v2, v7, v11, v2
	;;#ASMEND
	;; [unrolled: 3-line block ×4, first 2 shown]
	s_wait_dscnt 0x0
	;;#ASMSTART
	v_dot2_f32_f16 v1, v6, v14, v1
	;;#ASMEND
	;;#ASMSTART
	v_dot2_f32_f16 v1, v7, v15, v1
	;;#ASMEND
	;; [unrolled: 3-line block ×4, first 2 shown]
	s_and_saveexec_b32 s5, s4
	s_cbranch_execz .LBB59_52
; %bb.48:
	s_and_not1_b32 vcc_lo, exec_lo, s6
	s_cbranch_vccnz .LBB59_50
; %bb.49:
	v_mov_b32_e32 v51, 0
	s_delay_alu instid0(VALU_DEP_1) | instskip(NEXT) | instid1(VALU_DEP_1)
	v_mul_u64_e32 v[6:7], s[30:31], v[50:51]
	v_add_nc_u32_e32 v3, v50, v7
	s_delay_alu instid0(VALU_DEP_1) | instskip(NEXT) | instid1(VALU_DEP_1)
	v_lshrrev_b32_e32 v3, s21, v3
	v_mul_lo_u32 v3, v3, s22
	s_delay_alu instid0(VALU_DEP_1) | instskip(NEXT) | instid1(VALU_DEP_1)
	v_sub_nc_u32_e32 v3, v50, v3
	v_mad_u32 v3, v3, s44, v0
	global_load_u16 v3, v3, s[36:37] scale_offset
	s_wait_loadcnt 0x0
	v_cvt_f32_f16_e32 v3, v3
	s_delay_alu instid0(VALU_DEP_1)
	v_mul_f32_e32 v3, v86, v3
	s_branch .LBB59_51
.LBB59_50:
	v_mov_b32_e32 v3, 0
.LBB59_51:
	v_max_num_f32_e32 v5, v58, v58
	s_delay_alu instid0(VALU_DEP_2) | instskip(NEXT) | instid1(VALU_DEP_1)
	v_add_f32_e32 v2, v2, v3
	v_add_f32_e32 v3, 0x40051340, v2
	s_delay_alu instid0(VALU_DEP_1)
	v_max_num_f32_e32 v3, v5, v3
.LBB59_52:
	s_or_b32 exec_lo, exec_lo, s5
	v_xor_b32_e32 v47, 16, v79
	v_dual_mov_b32 v63, 32 :: v_dual_bitop2_b32 v65, 1, v79 bitop3:0x14
	s_delay_alu instid0(VALU_DEP_2) | instskip(SKIP_1) | instid1(VALU_DEP_1)
	v_cmp_gt_i32_e32 vcc_lo, 32, v47
	v_cndmask_b32_e32 v5, v79, v47, vcc_lo
	v_lshlrev_b32_e32 v5, 2, v5
	ds_bpermute_b32 v6, v5, v3
	s_wait_dscnt 0x0
	v_dual_max_num_f32 v3, v3, v3 :: v_dual_max_num_f32 v8, v6, v6
	s_delay_alu instid0(VALU_DEP_1) | instskip(NEXT) | instid1(VALU_DEP_1)
	v_dual_max_num_f32 v3, v3, v8 :: v_dual_bitop2_b32 v51, 8, v79 bitop3:0x14
	v_cmp_gt_i32_e32 vcc_lo, 32, v51
	v_xor_b32_e32 v62, 4, v79
	v_cndmask_b32_e32 v7, v79, v51, vcc_lo
	s_delay_alu instid0(VALU_DEP_2) | instskip(NEXT) | instid1(VALU_DEP_2)
	v_cmp_gt_i32_e32 vcc_lo, 32, v62
	v_dual_cndmask_b32 v8, v79, v62, vcc_lo :: v_dual_lshlrev_b32 v6, 2, v7
	ds_bpermute_b32 v7, v6, v3
	s_wait_dscnt 0x0
	v_dual_max_num_f32 v9, v7, v7 :: v_dual_lshlrev_b32 v7, 2, v8
	s_delay_alu instid0(VALU_DEP_1) | instskip(SKIP_3) | instid1(VALU_DEP_1)
	v_max_num_f32_e32 v3, v3, v9
	ds_bpermute_b32 v8, v7, v3
	s_wait_dscnt 0x0
	v_dual_max_num_f32 v10, v8, v8 :: v_dual_bitop2_b32 v64, 2, v79 bitop3:0x14
	v_cmp_gt_i32_e32 vcc_lo, 32, v64
	s_delay_alu instid0(VALU_DEP_2) | instskip(SKIP_2) | instid1(VALU_DEP_2)
	v_max_num_f32_e32 v3, v3, v10
	v_cndmask_b32_e32 v9, v79, v64, vcc_lo
	v_cmp_gt_i32_e32 vcc_lo, 32, v65
	v_lshlrev_b32_e32 v8, 2, v9
	v_cndmask_b32_e32 v10, v79, v65, vcc_lo
	ds_bpermute_b32 v9, v8, v3
	s_wait_dscnt 0x0
	v_dual_max_num_f32 v11, v9, v9 :: v_dual_lshlrev_b32 v9, 2, v10
	s_delay_alu instid0(VALU_DEP_1) | instskip(SKIP_3) | instid1(VALU_DEP_1)
	v_max_num_f32_e32 v3, v3, v11
	ds_bpermute_b32 v10, v9, v3
	s_wait_dscnt 0x0
	v_max_num_f32_e32 v10, v10, v10
	v_max_num_f32_e32 v34, v3, v10
	v_mov_b32_e32 v3, v59
	s_and_saveexec_b32 s5, s4
	s_cbranch_execz .LBB59_57
; %bb.53:
	v_cmp_ne_u32_e32 vcc_lo, 1, v4
	s_cbranch_vccnz .LBB59_55
; %bb.54:
	v_dual_mov_b32 v11, 0 :: v_dual_bitop2_b32 v10, 1, v50 bitop3:0x54
	s_delay_alu instid0(VALU_DEP_1) | instskip(NEXT) | instid1(VALU_DEP_1)
	v_mul_u64_e32 v[12:13], s[30:31], v[10:11]
	v_add_nc_u32_e32 v3, v10, v13
	s_delay_alu instid0(VALU_DEP_1) | instskip(NEXT) | instid1(VALU_DEP_1)
	v_lshrrev_b32_e32 v3, s21, v3
	v_mul_lo_u32 v3, v3, s22
	s_delay_alu instid0(VALU_DEP_1) | instskip(NEXT) | instid1(VALU_DEP_1)
	v_sub_nc_u32_e32 v3, v10, v3
	v_mad_u32 v0, v3, s44, v0
	global_load_u16 v0, v0, s[36:37] scale_offset
	s_wait_loadcnt 0x0
	v_cvt_f32_f16_e32 v0, v0
	s_delay_alu instid0(VALU_DEP_1)
	v_mul_f32_e32 v0, v86, v0
	s_branch .LBB59_56
.LBB59_55:
	v_mov_b32_e32 v0, 0
.LBB59_56:
	s_delay_alu instid0(VALU_DEP_1) | instskip(NEXT) | instid1(VALU_DEP_1)
	v_dual_add_f32 v1, v1, v0 :: v_dual_max_num_f32 v3, v59, v59
	v_add_f32_e32 v0, 0x40051340, v1
	s_delay_alu instid0(VALU_DEP_1)
	v_max_num_f32_e32 v3, v3, v0
.LBB59_57:
	s_or_b32 exec_lo, exec_lo, s5
	ds_bpermute_b32 v0, v5, v3
	v_max_num_f32_e32 v3, v3, v3
	v_mul_lo_u32 v44, s10, v46
	s_ashr_i32 s11, s10, 31
	s_wait_dscnt 0x0
	s_mul_u64 s[6:7], s[24:25], s[10:11]
	s_barrier_signal -1
	s_lshl_b64 s[6:7], s[6:7], 2
	s_barrier_wait -1
	s_add_nc_u64 s[6:7], s[14:15], s[6:7]
	s_delay_alu instid0(VALU_DEP_1) | instskip(NEXT) | instid1(VALU_DEP_1)
	v_dual_sub_f32 v2, v2, v34 :: v_dual_ashrrev_i32 v45, 31, v44
	v_cmp_ngt_f32_e32 vcc_lo, 0xc2ce8ed0, v2
	v_max_num_f32_e32 v0, v0, v0
	s_delay_alu instid0(VALU_DEP_1) | instskip(SKIP_3) | instid1(VALU_DEP_1)
	v_max_num_f32_e32 v0, v3, v0
	ds_bpermute_b32 v3, v6, v0
	s_wait_dscnt 0x0
	v_max_num_f32_e32 v3, v3, v3
	v_max_num_f32_e32 v0, v0, v3
	ds_bpermute_b32 v3, v7, v0
	s_wait_dscnt 0x0
	v_max_num_f32_e32 v3, v3, v3
	s_delay_alu instid0(VALU_DEP_1) | instskip(SKIP_3) | instid1(VALU_DEP_1)
	v_max_num_f32_e32 v0, v0, v3
	ds_bpermute_b32 v3, v8, v0
	s_wait_dscnt 0x0
	v_max_num_f32_e32 v3, v3, v3
	v_max_num_f32_e32 v0, v0, v3
	ds_bpermute_b32 v3, v9, v0
	s_wait_dscnt 0x0
	v_max_num_f32_e32 v3, v3, v3
	s_delay_alu instid0(VALU_DEP_1) | instskip(NEXT) | instid1(VALU_DEP_1)
	v_dual_max_num_f32 v35, v0, v3 :: v_dual_mul_f32 v0, 0x3fb8aa3b, v2
	v_sub_f32_e32 v1, v1, v35
	s_delay_alu instid0(VALU_DEP_2) | instskip(SKIP_1) | instid1(VALU_DEP_3)
	v_fma_f32 v4, 0x3fb8aa3b, v2, -v0
	v_rndne_f32_e32 v5, v0
	v_cmp_nlt_f32_e64 s4, 0x42b17218, v1
	s_delay_alu instid0(VALU_DEP_3) | instskip(NEXT) | instid1(VALU_DEP_3)
	v_fmac_f32_e32 v4, 0x32a5705f, v2
	v_sub_f32_e32 v0, v0, v5
	s_delay_alu instid0(VALU_DEP_1) | instskip(SKIP_1) | instid1(VALU_DEP_2)
	v_dual_mul_f32 v3, 0x3fb8aa3b, v1 :: v_dual_add_f32 v0, v0, v4
	v_cvt_i32_f32_e32 v4, v5
	v_fma_f32 v6, 0x3fb8aa3b, v1, -v3
	v_rndne_f32_e32 v7, v3
	s_delay_alu instid0(VALU_DEP_4) | instskip(NEXT) | instid1(VALU_DEP_1)
	v_exp_f32_e32 v0, v0
	v_sub_f32_e32 v3, v3, v7
	v_cvt_i32_f32_e32 v5, v7
	v_mbcnt_lo_u32_b32 v7, -1, 0
	s_delay_alu instid0(TRANS32_DEP_1) | instskip(NEXT) | instid1(VALU_DEP_1)
	v_ldexp_f32 v4, v0, v4
	v_dual_mov_b32 v0, 0 :: v_dual_cndmask_b32 v4, 0, v4, vcc_lo
	v_cmp_ngt_f32_e32 vcc_lo, 0xc2ce8ed0, v1
	s_delay_alu instid0(VALU_DEP_4) | instskip(NEXT) | instid1(VALU_DEP_1)
	v_dual_fmac_f32 v6, 0x32a5705f, v1 :: v_dual_lshlrev_b32 v1, 20, v7
	v_dual_add_f32 v3, v3, v6 :: v_dual_add_nc_u32 v6, v80, v49
	s_delay_alu instid0(VALU_DEP_2) | instskip(NEXT) | instid1(VALU_DEP_2)
	v_add_nc_u64_e32 v[38:39], src_flat_scratch_base_lo, v[0:1]
	v_exp_f32_e32 v3, v3
	v_nop
	s_delay_alu instid0(TRANS32_DEP_1) | instskip(SKIP_1) | instid1(VALU_DEP_2)
	v_ldexp_f32 v3, v3, v5
	v_mul_u32_u24_e32 v5, 0xc0, v46
	v_cndmask_b32_e32 v3, 0, v3, vcc_lo
	v_cmp_nlt_f32_e32 vcc_lo, 0x42b17218, v2
	s_delay_alu instid0(VALU_DEP_2) | instskip(SKIP_4) | instid1(VALU_DEP_4)
	v_cndmask_b32_e64 v3, 0x7f800000, v3, s4
	v_cndmask_b32_e32 v2, 0x7f800000, v4, vcc_lo
	v_cmp_gt_u32_e32 vcc_lo, s8, v55
	v_lshl_or_b32 v4, v56, 2, v5
	v_cmp_gt_u32_e64 s4, 16, v46
	v_dual_cndmask_b32 v36, 0, v2 :: v_dual_cndmask_b32 v37, 0, v3
	s_delay_alu instid0(VALU_DEP_3) | instskip(NEXT) | instid1(VALU_DEP_2)
	v_add_nc_u32_e32 v67, 0x80, v4
	v_cvt_pk_f16_f32 v0, v36, v37
	ds_store_b32 v6, v0
	s_and_saveexec_b32 s5, s4
	s_cbranch_execz .LBB59_59
; %bb.58:
	v_mov_b32_e32 v0, 0
	v_lshl_add_u64 v[2:3], v[44:45], 2, s[6:7]
	s_delay_alu instid0(VALU_DEP_2) | instskip(NEXT) | instid1(VALU_DEP_1)
	v_mov_b32_e32 v33, v0
	v_add_nc_u64_e32 v[2:3], v[2:3], v[32:33]
	s_delay_alu instid0(VALU_DEP_1) | instskip(NEXT) | instid1(VALU_DEP_1)
	v_add_nc_u64_e32 v[4:5], 0x80, v[2:3]
	v_dual_cndmask_b32 v5, v39, v5, s3 :: v_dual_mov_b32 v1, v0
	s_delay_alu instid0(VALU_DEP_2)
	v_dual_mov_b32 v2, v0 :: v_dual_cndmask_b32 v4, v38, v4, s3
	s_clause 0x1
	scratch_store_b32 off, v0, off
	scratch_store_b96 off, v[0:2], off offset:4
	flat_load_b128 v[0:3], v[4:5]
	s_wait_loadcnt_dscnt 0x0
	ds_store_b128 v67, v[0:3]
.LBB59_59:
	s_wait_xcnt 0x0
	s_or_b32 exec_lo, exec_lo, s5
	v_lshl_add_u32 v66, v82, 2, v87
	v_dual_lshlrev_b32 v40, 2, v54 :: v_dual_mov_b32 v0, 0
	s_delay_alu instid0(VALU_DEP_2) | instskip(SKIP_1) | instid1(VALU_DEP_3)
	v_mul_lo_u32 v42, s10, v66
	v_cmp_gt_u32_e32 vcc_lo, 16, v66
	v_mad_u32_u24 v60, 0xc0, v66, v40
	s_delay_alu instid0(VALU_DEP_3)
	v_ashrrev_i32_e32 v43, 31, v42
	s_and_saveexec_b32 s5, vcc_lo
	s_cbranch_execz .LBB59_61
; %bb.60:
	s_delay_alu instid0(VALU_DEP_1) | instskip(SKIP_2) | instid1(VALU_DEP_2)
	v_lshl_add_u64 v[2:3], v[42:43], 2, s[6:7]
	v_dual_mov_b32 v41, v0 :: v_dual_mov_b32 v1, v0
	v_cmp_gt_i32_e64 s3, s8, v66
	v_add_nc_u64_e32 v[4:5], v[2:3], v[40:41]
	s_delay_alu instid0(VALU_DEP_1) | instskip(NEXT) | instid1(VALU_DEP_2)
	v_dual_mov_b32 v2, v0 :: v_dual_cndmask_b32 v5, v39, v5, s3
	v_cndmask_b32_e64 v4, v38, v4, s3
	s_clause 0x1
	scratch_store_b32 off, v0, off
	scratch_store_b96 off, v[0:2], off offset:4
	flat_load_b128 v[0:3], v[4:5]
	s_wait_loadcnt_dscnt 0x0
	ds_store_b128 v60, v[0:3]
.LBB59_61:
	s_wait_xcnt 0x0
	s_or_b32 exec_lo, exec_lo, s5
	v_dual_sub_f32 v8, v58, v34 :: v_dual_sub_f32 v9, v59, v35
	s_wait_storecnt_dscnt 0x0
	s_barrier_signal -1
	s_barrier_wait -1
	s_delay_alu instid0(VALU_DEP_1)
	v_dual_mul_f32 v4, 0x3fb8aa3b, v8 :: v_dual_mul_f32 v5, 0x3fb8aa3b, v9
	ds_load_b128 v[0:3], v80
	v_cmp_ngt_f32_e64 s3, 0xc2ce8ed0, v8
	v_fma_f32 v6, 0x3fb8aa3b, v8, -v4
	v_rndne_f32_e32 v10, v4
	v_fma_f32 v11, 0x3fb8aa3b, v9, -v5
	v_rndne_f32_e32 v12, v5
	ds_load_2addr_b64 v[16:19], v78 offset1:24
	v_fmac_f32_e32 v6, 0x32a5705f, v8
	v_dual_sub_f32 v4, v4, v10 :: v_dual_fmac_f32 v11, 0x32a5705f, v9
	v_sub_f32_e32 v13, v5, v12
	v_cvt_i32_f32_e32 v10, v10
	v_cvt_i32_f32_e32 v21, v12
	s_delay_alu instid0(VALU_DEP_4)
	v_add_f32_e32 v14, v4, v6
	ds_load_b128 v[4:7], v80 offset:16
	v_add_f32_e32 v11, v13, v11
	ds_load_b128 v[88:91], v80 offset:32
	ds_load_b128 v[92:95], v80 offset:48
	ds_load_2addr_b64 v[24:27], v78 offset0:48 offset1:72
	v_exp_f32_e32 v20, v14
	ds_load_2addr_b64 v[12:15], v78 offset0:96 offset1:120
	v_exp_f32_e32 v11, v11
	s_wait_dscnt 0x6
	v_dual_lshrrev_b32 v41, 16, v0 :: v_dual_lshrrev_b32 v58, 16, v1
	v_and_b32_e32 v59, 0xffff, v0
	v_and_b32_e32 v68, 0xffff, v1
	v_ldexp_f32 v10, v20, v10
	v_dual_lshrrev_b32 v69, 16, v2 :: v_dual_lshrrev_b32 v70, 16, v3
	v_ldexp_f32 v0, v11, v21
	v_and_b32_e32 v71, 0xffff, v2
	s_delay_alu instid0(VALU_DEP_4)
	v_cndmask_b32_e64 v10, 0, v10, s3
	v_cmp_ngt_f32_e64 s3, 0xc2ce8ed0, v9
	v_and_b32_e32 v72, 0xffff, v3
	ds_load_2addr_b64 v[20:23], v78 offset0:144 offset1:168
	s_wait_dscnt 0x5
	v_dual_lshrrev_b32 v73, 16, v4 :: v_dual_lshrrev_b32 v75, 16, v5
	v_cndmask_b32_e64 v0, 0, v0, s3
	v_cmp_nlt_f32_e64 s3, 0x42b17218, v8
	v_and_b32_e32 v74, 0xffff, v4
	v_and_b32_e32 v76, 0xffff, v5
	v_dual_lshrrev_b32 v77, 16, v6 :: v_dual_lshrrev_b32 v101, 16, v7
	s_delay_alu instid0(VALU_DEP_4)
	v_cndmask_b32_e64 v56, 0x7f800000, v10, s3
	v_cmp_nlt_f32_e64 s3, 0x42b17218, v9
	v_and_b32_e32 v82, 0xffff, v6
	v_and_b32_e32 v102, 0xffff, v7
	ds_load_2addr_b64 v[4:7], v78 offset0:192 offset1:216
	s_or_b32 s6, s24, 16
	v_cndmask_b32_e64 v54, 0x7f800000, v0, s3
	v_cvt_f16_f32_e32 v0, v56
	s_ashr_i32 s7, s6, 31
	s_wait_dscnt 0x5
	v_dual_lshrrev_b32 v103, 16, v88 :: v_dual_lshrrev_b32 v104, 16, v89
	v_cvt_f16_f32_e32 v1, v54
	v_and_b32_e32 v86, 0xffff, v0
	v_add_nc_u32_e32 v0, 0x400, v78
	s_mul_u64 s[6:7], s[6:7], s[10:11]
	v_and_b32_e32 v105, 0xffff, v88
	v_and_b32_e32 v87, 0xffff, v1
	v_add_nc_u32_e32 v1, 0x800, v78
	ds_load_2addr_b64 v[28:31], v0 offset0:112 offset1:136
	ds_load_2addr_b64 v[8:11], v1 offset0:32 offset1:56
	;; [unrolled: 1-line block ×3, first 2 shown]
	v_and_b32_e32 v106, 0xffff, v89
	v_dual_lshrrev_b32 v107, 16, v90 :: v_dual_lshrrev_b32 v108, 16, v91
	v_and_b32_e32 v109, 0xffff, v90
	v_and_b32_e32 v112, 0xffff, v91
	s_wait_dscnt 0x7
	v_dual_lshrrev_b32 v110, 16, v92 :: v_dual_lshrrev_b32 v111, 16, v93
	v_and_b32_e32 v113, 0xffff, v92
	v_and_b32_e32 v114, 0xffff, v93
	v_dual_lshrrev_b32 v115, 16, v94 :: v_dual_lshrrev_b32 v116, 16, v95
	v_and_b32_e32 v117, 0xffff, v94
	v_and_b32_e32 v118, 0xffff, v95
	s_lshl_b64 s[6:7], s[6:7], 2
	s_add_co_i32 s8, s8, -16
	s_add_nc_u64 s[6:7], s[14:15], s[6:7]
	s_wait_dscnt 0x0
	s_barrier_signal -1
	s_barrier_wait -1
	s_and_saveexec_b32 s5, s4
	s_cbranch_execz .LBB59_63
; %bb.62:
	v_cmp_gt_i32_e64 s3, s8, v46
	v_mov_b32_e32 v88, 0
	v_lshl_add_u64 v[44:45], v[44:45], 2, s[6:7]
	s_delay_alu instid0(VALU_DEP_2) | instskip(NEXT) | instid1(VALU_DEP_1)
	v_mov_b32_e32 v33, v88
	v_add_nc_u64_e32 v[32:33], v[44:45], v[32:33]
	s_delay_alu instid0(VALU_DEP_1) | instskip(NEXT) | instid1(VALU_DEP_1)
	v_add_nc_u64_e32 v[32:33], 0x80, v[32:33]
	v_dual_cndmask_b32 v33, v39, v33, s3 :: v_dual_mov_b32 v89, v88
	s_delay_alu instid0(VALU_DEP_2)
	v_dual_mov_b32 v90, v88 :: v_dual_cndmask_b32 v32, v38, v32, s3
	s_clause 0x1
	scratch_store_b32 off, v88, off
	scratch_store_b96 off, v[88:90], off offset:4
	flat_load_b128 v[88:91], v[32:33]
	s_wait_loadcnt_dscnt 0x0
	ds_store_b128 v67, v[88:91]
.LBB59_63:
	s_wait_xcnt 0x0
	s_or_b32 exec_lo, exec_lo, s5
	v_mul_u32_u24_e32 v100, 0x10001, v86
	v_mul_u32_u24_e32 v97, 0x10001, v87
	;; [unrolled: 1-line block ×34, first 2 shown]
	s_and_saveexec_b32 s3, vcc_lo
	s_cbranch_execz .LBB59_65
; %bb.64:
	v_cmp_gt_i32_e32 vcc_lo, s8, v66
	v_mov_b32_e32 v102, 0
	v_lshl_add_u64 v[42:43], v[42:43], 2, s[6:7]
	s_delay_alu instid0(VALU_DEP_2) | instskip(NEXT) | instid1(VALU_DEP_1)
	v_mov_b32_e32 v41, v102
	v_add_nc_u64_e32 v[40:41], v[42:43], v[40:41]
	s_delay_alu instid0(VALU_DEP_1) | instskip(SKIP_1) | instid1(VALU_DEP_3)
	v_dual_cndmask_b32 v39, v39, v41, vcc_lo :: v_dual_mov_b32 v103, v102
	v_mov_b32_e32 v104, v102
	v_cndmask_b32_e32 v38, v38, v40, vcc_lo
	s_clause 0x1
	scratch_store_b32 off, v102, off
	scratch_store_b96 off, v[102:104], off offset:4
	flat_load_b128 v[38:41], v[38:39]
	s_wait_loadcnt_dscnt 0x0
	ds_store_b128 v60, v[38:41]
.LBB59_65:
	s_wait_xcnt 0x0
	s_or_b32 exec_lo, exec_lo, s3
	v_pk_mul_f16 v38, v16, v98
	v_pk_mul_f16 v39, v85, v100
	;; [unrolled: 1-line block ×4, first 2 shown]
	s_wait_storecnt_dscnt 0x0
	v_pk_fma_f16 v38, v84, v100, v38
	v_pk_fma_f16 v39, v17, v98, v39
	;; [unrolled: 1-line block ×4, first 2 shown]
	s_barrier_signal -1
	v_pk_fma_f16 v38, v18, v95, v38
	s_barrier_wait -1
	v_pk_fma_f16 v16, v18, v96, v16
	v_pk_fma_f16 v18, v19, v95, v39
	;; [unrolled: 1-line block ×4, first 2 shown]
	s_delay_alu instid0(VALU_DEP_4) | instskip(NEXT) | instid1(VALU_DEP_4)
	v_pk_fma_f16 v24, v24, v94, v16
	v_pk_fma_f16 v38, v25, v93, v18
	s_delay_alu instid0(VALU_DEP_4) | instskip(NEXT) | instid1(VALU_DEP_4)
	v_pk_fma_f16 v25, v25, v94, v17
	v_pk_fma_f16 v39, v26, v91, v19
	ds_load_2addr_b64 v[16:19], v78 offset1:24
	v_pk_fma_f16 v40, v26, v92, v24
	v_pk_fma_f16 v38, v27, v91, v38
	v_pk_fma_f16 v41, v27, v92, v25
	v_pk_fma_f16 v39, v12, v89, v39
	ds_load_b128 v[24:27], v80 offset:64
	v_pk_fma_f16 v12, v12, v90, v40
	v_pk_fma_f16 v42, v13, v89, v38
	v_pk_fma_f16 v13, v13, v90, v41
	v_pk_fma_f16 v43, v14, v87, v39
	ds_load_b128 v[38:41], v80 offset:80
	;; [unrolled: 5-line block ×3, first 2 shown]
	v_pk_fma_f16 v20, v20, v86, v60
	v_pk_fma_f16 v42, v21, v82, v42
	;; [unrolled: 1-line block ×4, first 2 shown]
	ds_load_2addr_b64 v[82:85], v78 offset0:48 offset1:72
	v_pk_fma_f16 v20, v22, v77, v20
	v_pk_fma_f16 v22, v23, v76, v42
	;; [unrolled: 1-line block ×4, first 2 shown]
	s_wait_dscnt 0x3
	v_lshrrev_b32_e32 v42, 16, v24
	v_pk_fma_f16 v4, v4, v75, v20
	v_pk_fma_f16 v20, v5, v74, v22
	;; [unrolled: 1-line block ×4, first 2 shown]
	v_and_b32_e32 v22, 0xffff, v24
	v_pk_fma_f16 v4, v6, v73, v4
	v_pk_fma_f16 v6, v7, v72, v20
	;; [unrolled: 1-line block ×4, first 2 shown]
	v_and_b32_e32 v21, 0xffff, v25
	v_pk_fma_f16 v4, v28, v71, v4
	v_pk_fma_f16 v6, v29, v70, v6
	;; [unrolled: 1-line block ×4, first 2 shown]
	v_lshrrev_b32_e32 v20, 16, v25
	v_pk_fma_f16 v4, v30, v69, v4
	v_pk_fma_f16 v6, v31, v68, v6
	;; [unrolled: 1-line block ×4, first 2 shown]
	v_and_b32_e32 v23, 0xffff, v26
	v_pk_fma_f16 v4, v8, v67, v4
	v_pk_fma_f16 v6, v9, v59, v6
	v_pk_fma_f16 v5, v9, v67, v5
	v_pk_fma_f16 v7, v10, v46, v7
	v_mul_u32_u24_e32 v8, 0x10001, v22
	v_pk_fma_f16 v4, v10, v58, v4
	v_pk_fma_f16 v6, v11, v46, v6
	v_pk_fma_f16 v5, v11, v58, v5
	v_pk_fma_f16 v7, v0, v44, v7
	v_mul_u32_u24_e32 v9, 0x10001, v42
	;; [unrolled: 5-line block ×4, first 2 shown]
	v_pk_fma_f16 v0, v16, v9, v0
	v_pk_fma_f16 v2, v17, v8, v2
	;; [unrolled: 1-line block ×4, first 2 shown]
	v_dual_lshrrev_b32 v3, 16, v26 :: v_dual_lshrrev_b32 v11, 16, v27
	v_pk_fma_f16 v7, v18, v4, v0
	v_pk_fma_f16 v6, v19, v6, v2
	;; [unrolled: 1-line block ×3, first 2 shown]
	s_delay_alu instid0(VALU_DEP_4)
	v_mul_u32_u24_e32 v9, 0x10001, v3
	ds_load_2addr_b64 v[0:3], v78 offset0:96 offset1:120
	v_mul_u32_u24_e32 v8, 0x10001, v23
	v_and_b32_e32 v10, 0xffff, v27
	s_wait_dscnt 0x3
	v_and_b32_e32 v19, 0xffff, v39
	s_wait_dscnt 0x1
	v_pk_fma_f16 v7, v82, v9, v7
	v_pk_fma_f16 v9, v83, v9, v4
	;; [unrolled: 1-line block ×4, first 2 shown]
	v_mul_u32_u24_e32 v8, 0x10001, v10
	v_mul_u32_u24_e32 v10, 0x10001, v11
	v_and_b32_e32 v4, 0xffff, v38
	v_lshrrev_b32_e32 v11, 16, v38
	v_mul_u32_u24_e32 v19, 0x10001, v19
	v_pk_fma_f16 v16, v84, v8, v5
	v_pk_fma_f16 v17, v84, v10, v7
	;; [unrolled: 1-line block ×3, first 2 shown]
	v_mul_u32_u24_e32 v18, 0x10001, v4
	ds_load_2addr_b64 v[4:7], v78 offset0:144 offset1:168
	v_pk_fma_f16 v9, v85, v10, v9
	v_lshrrev_b32_e32 v10, 16, v39
	v_mul_u32_u24_e32 v11, 0x10001, v11
	s_wait_dscnt 0x1
	v_pk_fma_f16 v16, v0, v18, v16
	v_pk_fma_f16 v8, v1, v18, v8
	v_mov_b64_e32 v[58:59], v[34:35]
	v_mul_u32_u24_e32 v10, 0x10001, v10
	v_pk_fma_f16 v0, v0, v11, v17
	v_pk_fma_f16 v1, v1, v11, v9
	;; [unrolled: 1-line block ×3, first 2 shown]
	v_and_b32_e32 v11, 0xffff, v40
	v_lshrrev_b32_e32 v16, 16, v40
	v_pk_fma_f16 v17, v2, v10, v0
	v_pk_fma_f16 v18, v3, v19, v8
	v_pk_fma_f16 v19, v3, v10, v1
	v_mul_u32_u24_e32 v20, 0x10001, v11
	v_and_b32_e32 v8, 0xffff, v41
	v_lshrrev_b32_e32 v10, 16, v41
	v_mul_u32_u24_e32 v16, 0x10001, v16
	ds_load_2addr_b64 v[0:3], v78 offset0:192 offset1:216
	s_wait_dscnt 0x1
	v_pk_fma_f16 v21, v4, v20, v9
	v_pk_fma_f16 v18, v5, v20, v18
	v_mul_u32_u24_e32 v22, 0x10001, v10
	v_pk_fma_f16 v4, v4, v16, v17
	v_mul_u32_u24_e32 v17, 0x10001, v8
	v_pk_fma_f16 v5, v5, v16, v19
	ds_load_b128 v[8:11], v80 offset:112
	v_fmac_f32_e32 v36, v52, v56
	v_pk_fma_f16 v19, v6, v22, v4
	v_pk_fma_f16 v16, v6, v17, v21
	v_and_b32_e32 v4, 0xffff, v12
	v_lshrrev_b32_e32 v6, 16, v12
	v_pk_fma_f16 v12, v7, v17, v18
	v_pk_fma_f16 v17, v7, v22, v5
	v_add_nc_u32_e32 v5, 0x400, v78
	v_mul_u32_u24_e32 v18, 0x10001, v4
	v_and_b32_e32 v21, 0xffff, v13
	v_lshrrev_b32_e32 v13, 16, v13
	v_mul_u32_u24_e32 v20, 0x10001, v6
	ds_load_2addr_b64 v[4:7], v5 offset0:112 offset1:136
	s_wait_dscnt 0x2
	v_pk_fma_f16 v16, v0, v18, v16
	v_pk_fma_f16 v12, v1, v18, v12
	v_mul_u32_u24_e32 v13, 0x10001, v13
	v_pk_fma_f16 v0, v0, v20, v19
	v_mul_u32_u24_e32 v19, 0x10001, v21
	v_pk_fma_f16 v1, v1, v20, v17
	v_and_b32_e32 v20, 0xffff, v15
	v_lshrrev_b32_e32 v15, 16, v15
	v_pk_fma_f16 v17, v2, v13, v0
	v_pk_fma_f16 v16, v2, v19, v16
	v_and_b32_e32 v0, 0xffff, v14
	v_lshrrev_b32_e32 v2, 16, v14
	v_add_nc_u32_e32 v14, 0x800, v78
	v_pk_fma_f16 v12, v3, v19, v12
	v_pk_fma_f16 v13, v3, v13, v1
	v_mul_u32_u24_e32 v18, 0x10001, v0
	v_mul_u32_u24_e32 v19, 0x10001, v2
	ds_load_2addr_b64 v[0:3], v14 offset0:32 offset1:56
	v_fmac_f32_e32 v37, v53, v54
	s_wait_dscnt 0x1
	v_pk_fma_f16 v16, v4, v18, v16
	v_pk_fma_f16 v4, v4, v19, v17
	;; [unrolled: 1-line block ×3, first 2 shown]
	v_mul_u32_u24_e32 v17, 0x10001, v20
	v_mul_u32_u24_e32 v18, 0x10001, v15
	v_pk_fma_f16 v5, v5, v19, v13
	v_and_b32_e32 v13, 0xffff, v8
	v_lshrrev_b32_e32 v8, 16, v8
	v_pk_fma_f16 v16, v6, v17, v16
	v_pk_fma_f16 v4, v6, v18, v4
	;; [unrolled: 1-line block ×3, first 2 shown]
	v_mul_u32_u24_e32 v17, 0x10001, v13
	ds_load_2addr_b64 v[12:15], v14 offset0:80 offset1:104
	v_pk_fma_f16 v5, v7, v18, v5
	v_and_b32_e32 v7, 0xffff, v9
	v_lshrrev_b32_e32 v9, 16, v9
	v_mul_u32_u24_e32 v8, 0x10001, v8
	s_wait_dscnt 0x1
	v_pk_fma_f16 v16, v0, v17, v16
	s_wait_dscnt 0x0
	s_barrier_signal -1
	s_barrier_wait -1
	v_pk_fma_f16 v0, v0, v8, v4
	v_pk_fma_f16 v4, v1, v17, v6
	v_mul_u32_u24_e32 v6, 0x10001, v7
	v_mul_u32_u24_e32 v7, 0x10001, v9
	v_pk_fma_f16 v1, v1, v8, v5
	v_and_b32_e32 v5, 0xffff, v10
	v_lshrrev_b32_e32 v8, 16, v10
	v_pk_fma_f16 v9, v2, v6, v16
	v_pk_fma_f16 v0, v2, v7, v0
	v_pk_fma_f16 v2, v3, v6, v4
	v_mul_u32_u24_e32 v4, 0x10001, v5
	v_mul_u32_u24_e32 v5, 0x10001, v8
	v_and_b32_e32 v6, 0xffff, v11
	v_lshrrev_b32_e32 v8, 16, v11
	v_pk_fma_f16 v1, v3, v7, v1
	v_pk_fma_f16 v3, v12, v4, v9
	;; [unrolled: 1-line block ×3, first 2 shown]
	v_mul_u32_u24_e32 v6, 0x10001, v6
	v_mul_u32_u24_e32 v7, 0x10001, v8
	v_pk_fma_f16 v2, v13, v4, v2
	v_pk_fma_f16 v1, v13, v5, v1
	s_delay_alu instid0(VALU_DEP_4) | instskip(NEXT) | instid1(VALU_DEP_4)
	v_pk_fma_f16 v84, v14, v6, v3
	v_pk_fma_f16 v81, v14, v7, v0
	s_delay_alu instid0(VALU_DEP_4) | instskip(NEXT) | instid1(VALU_DEP_4)
	v_pk_fma_f16 v85, v15, v6, v2
	v_pk_fma_f16 v83, v15, v7, v1
.LBB59_66:
	v_cmp_lt_i32_e32 vcc_lo, v47, v63
	s_cmp_eq_u64 s[12:13], 0
	s_cselect_b32 s3, -1, 0
	s_cmp_lg_u32 s20, 0
	v_cndmask_b32_e32 v0, v79, v47, vcc_lo
	v_cmp_lt_i32_e32 vcc_lo, v51, v63
	s_cselect_b32 s4, -1, 0
	s_delay_alu instid0(SALU_CYCLE_1) | instskip(SKIP_2) | instid1(VALU_DEP_2)
	s_or_b32 s3, s4, s3
	v_cndmask_b32_e32 v2, v79, v51, vcc_lo
	v_cmp_lt_i32_e32 vcc_lo, v62, v63
	v_dual_lshlrev_b32 v3, 2, v2 :: v_dual_lshlrev_b32 v1, 2, v0
	v_cndmask_b32_e32 v4, v79, v62, vcc_lo
	v_cmp_lt_i32_e32 vcc_lo, v64, v63
	ds_bpermute_b32 v0, v1, v36
	ds_bpermute_b32 v1, v1, v37
	v_lshlrev_b32_e32 v4, 2, v4
	s_wait_dscnt 0x0
	v_pk_add_f32 v[0:1], v[36:37], v[0:1]
	ds_bpermute_b32 v2, v3, v0
	ds_bpermute_b32 v3, v3, v1
	s_wait_dscnt 0x0
	v_pk_add_f32 v[0:1], v[0:1], v[2:3]
	ds_bpermute_b32 v2, v4, v0
	ds_bpermute_b32 v3, v4, v1
	v_cndmask_b32_e32 v4, v79, v64, vcc_lo
	v_cmp_lt_i32_e32 vcc_lo, v65, v63
	s_delay_alu instid0(VALU_DEP_2)
	v_lshlrev_b32_e32 v4, 2, v4
	s_wait_dscnt 0x0
	v_pk_add_f32 v[0:1], v[0:1], v[2:3]
	ds_bpermute_b32 v2, v4, v0
	ds_bpermute_b32 v3, v4, v1
	v_cndmask_b32_e32 v4, v79, v65, vcc_lo
	s_and_b32 vcc_lo, exec_lo, s3
	s_delay_alu instid0(VALU_DEP_1)
	v_lshlrev_b32_e32 v4, 2, v4
	s_wait_dscnt 0x0
	v_pk_add_f32 v[0:1], v[0:1], v[2:3]
	ds_bpermute_b32 v2, v4, v0
	ds_bpermute_b32 v3, v4, v1
	s_wait_dscnt 0x0
	v_pk_add_f32 v[0:1], v[0:1], v[2:3]
	s_cbranch_vccnz .LBB59_68
; %bb.67:
	v_dual_mov_b32 v2, s33 :: v_dual_max_num_f32 v5, v59, v59
	global_load_b32 v4, v2, s[12:13] scale_offset
	s_wait_loadcnt 0x0
	v_dual_max_num_f32 v2, v58, v58 :: v_dual_max_num_f32 v3, v4, v4
	s_delay_alu instid0(VALU_DEP_1) | instskip(NEXT) | instid1(VALU_DEP_1)
	v_dual_max_num_f32 v2, v2, v3 :: v_dual_max_num_f32 v3, v5, v3
	v_dual_sub_f32 v5, v58, v2 :: v_dual_sub_f32 v6, v4, v2
	s_delay_alu instid0(VALU_DEP_2) | instskip(SKIP_1) | instid1(VALU_DEP_3)
	v_dual_sub_f32 v7, v59, v3 :: v_dual_sub_f32 v8, v4, v3
	v_mov_b64_e32 v[58:59], v[2:3]
	v_dual_mul_f32 v4, 0x3fb8aa3b, v5 :: v_dual_mul_f32 v9, 0x3fb8aa3b, v6
	s_delay_alu instid0(VALU_DEP_3) | instskip(SKIP_1) | instid1(VALU_DEP_3)
	v_dual_mul_f32 v10, 0x3fb8aa3b, v7 :: v_dual_mul_f32 v11, 0x3fb8aa3b, v8
	v_cmp_ngt_f32_e32 vcc_lo, 0xc2ce8ed0, v5
	v_fma_f32 v12, 0x3fb8aa3b, v5, -v4
	s_delay_alu instid0(VALU_DEP_4) | instskip(SKIP_4) | instid1(VALU_DEP_4)
	v_fma_f32 v14, 0x3fb8aa3b, v6, -v9
	v_rndne_f32_e32 v15, v9
	v_rndne_f32_e32 v13, v4
	v_fma_f32 v16, 0x3fb8aa3b, v7, -v10
	v_rndne_f32_e32 v17, v10
	v_dual_fmac_f32 v12, 0x32a5705f, v5 :: v_dual_sub_f32 v9, v9, v15
	v_rndne_f32_e32 v19, v11
	v_fmac_f32_e32 v14, 0x32a5705f, v6
	v_fma_f32 v18, 0x3fb8aa3b, v8, -v11
	s_delay_alu instid0(VALU_DEP_3) | instskip(NEXT) | instid1(VALU_DEP_3)
	v_dual_sub_f32 v10, v10, v17 :: v_dual_sub_f32 v11, v11, v19
	v_dual_fmac_f32 v16, 0x32a5705f, v7 :: v_dual_add_f32 v9, v9, v14
	v_sub_f32_e32 v4, v4, v13
	v_cvt_i32_f32_e32 v13, v13
	v_cvt_i32_f32_e32 v14, v17
	s_delay_alu instid0(VALU_DEP_4)
	v_add_f32_e32 v10, v10, v16
	v_exp_f32_e32 v9, v9
	v_add_f32_e32 v4, v4, v12
	v_cvt_i32_f32_e32 v12, v15
	v_cvt_i32_f32_e32 v15, v19
	v_exp_f32_e32 v10, v10
	s_delay_alu instid0(VALU_DEP_3)
	v_exp_f32_e32 v4, v4
	s_delay_alu instid0(TRANS32_DEP_3) | instid1(VALU_DEP_2)
	v_ldexp_f32 v9, v9, v12
	s_delay_alu instid0(TRANS32_DEP_2) | instskip(NEXT) | instid1(TRANS32_DEP_1)
	v_ldexp_f32 v10, v10, v14
	v_ldexp_f32 v4, v4, v13
	s_delay_alu instid0(VALU_DEP_1) | instskip(SKIP_1) | instid1(VALU_DEP_4)
	v_cndmask_b32_e32 v4, 0, v4, vcc_lo
	v_cmp_ngt_f32_e32 vcc_lo, 0xc2ce8ed0, v7
	v_cndmask_b32_e32 v10, 0, v10, vcc_lo
	v_cmp_nlt_f32_e32 vcc_lo, 0x42b17218, v5
	s_delay_alu instid0(VALU_DEP_4) | instskip(SKIP_1) | instid1(VALU_DEP_4)
	v_cndmask_b32_e32 v4, 0x7f800000, v4, vcc_lo
	v_cmp_nlt_f32_e32 vcc_lo, 0x42b17218, v7
	v_cndmask_b32_e32 v5, 0x7f800000, v10, vcc_lo
	v_cmp_ngt_f32_e32 vcc_lo, 0xc2ce8ed0, v6
	v_fmac_f32_e32 v18, 0x32a5705f, v8
	v_cvt_f16_f32_e32 v10, v4
	v_cndmask_b32_e32 v9, 0, v9, vcc_lo
	v_cmp_ngt_f32_e32 vcc_lo, 0xc2ce8ed0, v8
	s_delay_alu instid0(VALU_DEP_4) | instskip(NEXT) | instid1(VALU_DEP_4)
	v_add_f32_e32 v11, v11, v18
	v_and_b32_e32 v10, 0xffff, v10
	s_delay_alu instid0(VALU_DEP_2) | instskip(SKIP_1) | instid1(TRANS32_DEP_1)
	v_exp_f32_e32 v11, v11
	v_nop
	v_ldexp_f32 v7, v11, v15
	v_cvt_f16_f32_e32 v11, v5
	s_delay_alu instid0(VALU_DEP_2) | instskip(SKIP_2) | instid1(VALU_DEP_4)
	v_cndmask_b32_e32 v7, 0, v7, vcc_lo
	v_cmp_nlt_f32_e32 vcc_lo, 0x42b17218, v6
	v_cndmask_b32_e32 v6, 0x7f800000, v9, vcc_lo
	v_and_b32_e32 v9, 0xffff, v11
	v_cmp_nlt_f32_e32 vcc_lo, 0x42b17218, v8
	v_mul_u32_u24_e32 v8, 0x10001, v10
	s_delay_alu instid0(VALU_DEP_3) | instskip(SKIP_1) | instid1(VALU_DEP_3)
	v_mul_u32_u24_e32 v9, 0x10001, v9
	v_cndmask_b32_e32 v7, 0x7f800000, v7, vcc_lo
	v_pk_mul_f16 v84, v84, v8
	v_pk_mul_f16 v85, v85, v8
	s_delay_alu instid0(VALU_DEP_4) | instskip(NEXT) | instid1(VALU_DEP_4)
	v_pk_mul_f16 v81, v81, v9
	v_pk_fma_f32 v[0:1], v[0:1], v[4:5], v[6:7]
	v_pk_mul_f16 v83, v83, v9
.LBB59_68:
	s_mov_b32 s3, exec_lo
	v_cmpx_gt_i32_e64 s22, v50
	s_cbranch_execz .LBB59_82
; %bb.69:
	s_load_b32 s0, s[0:1], 0xd4
	v_mov_b32_e32 v2, 1.0
	s_wait_kmcnt 0x0
	s_cmp_lg_u32 s0, 1
	s_cselect_b32 s4, -1, 0
	s_cmp_eq_u32 s0, 1
	s_cselect_b32 s1, -1, 0
	s_and_b32 vcc_lo, exec_lo, s4
	s_cbranch_vccnz .LBB59_71
; %bb.70:
	v_div_scale_f32 v2, null, v0, v0, 1.0
	s_delay_alu instid0(VALU_DEP_1) | instskip(SKIP_1) | instid1(TRANS32_DEP_1)
	v_rcp_f32_e32 v3, v2
	v_nop
	v_fma_f32 v4, -v2, v3, 1.0
	s_delay_alu instid0(VALU_DEP_1) | instskip(SKIP_1) | instid1(VALU_DEP_1)
	v_fmac_f32_e32 v3, v4, v3
	v_div_scale_f32 v4, vcc_lo, 1.0, v0, 1.0
	v_mul_f32_e32 v5, v4, v3
	s_delay_alu instid0(VALU_DEP_1) | instskip(NEXT) | instid1(VALU_DEP_1)
	v_fma_f32 v6, -v2, v5, v4
	v_fmac_f32_e32 v5, v6, v3
	s_delay_alu instid0(VALU_DEP_1) | instskip(NEXT) | instid1(VALU_DEP_1)
	v_fma_f32 v2, -v2, v5, v4
	v_div_fmas_f32 v2, v2, v3, v5
	s_delay_alu instid0(VALU_DEP_1)
	v_div_fixup_f32 v2, v2, v0, 1.0
.LBB59_71:
	s_mul_i32 s3, s34, s22
	s_delay_alu instid0(SALU_CYCLE_1) | instskip(NEXT) | instid1(SALU_CYCLE_1)
	s_add_co_i32 s3, s3, s39
	v_add_nc_u32_e32 v3, s3, v61
	s_delay_alu instid0(VALU_DEP_1) | instskip(NEXT) | instid1(VALU_DEP_1)
	v_mad_u32 v3, v3, s23, s33
	v_mad_u32 v3, s0, v3, s20
	s_and_saveexec_b32 s5, s2
	s_cbranch_execz .LBB59_73
; %bb.72:
	s_delay_alu instid0(VALU_DEP_1) | instskip(SKIP_4) | instid1(VALU_DEP_4)
	v_mad_u32 v6, 0x60, v3, v49
	v_dual_lshrrev_b32 v5, 16, v84 :: v_dual_lshrrev_b32 v9, 16, v85
	v_mov_b32_e32 v7, 0
	v_cvt_f32_f16_e32 v4, v84
	v_cvt_f32_f16_e32 v8, v85
	;; [unrolled: 1-line block ×4, first 2 shown]
	s_delay_alu instid0(VALU_DEP_2) | instskip(SKIP_1) | instid1(VALU_DEP_3)
	v_pk_mul_f32 v[4:5], v[2:3], v[4:5] op_sel_hi:[0,1]
	v_lshl_add_u64 v[10:11], v[6:7], 2, s[16:17]
	v_pk_mul_f32 v[6:7], v[2:3], v[8:9] op_sel_hi:[0,1]
	global_store_b128 v[10:11], v[4:7], off
.LBB59_73:
	s_wait_xcnt 0x0
	s_or_b32 exec_lo, exec_lo, s5
	v_cmp_eq_u32_e32 vcc_lo, 0, v55
	s_and_b32 s4, vcc_lo, s4
	s_delay_alu instid0(SALU_CYCLE_1)
	s_and_saveexec_b32 s5, s4
	s_cbranch_execz .LBB59_75
; %bb.74:
	v_dual_mov_b32 v4, v58 :: v_dual_mov_b32 v5, v0
	global_store_b64 v3, v[4:5], s[18:19] scale_offset
.LBB59_75:
	s_wait_xcnt 0x0
	s_or_b32 exec_lo, exec_lo, s5
	v_cmp_gt_i32_e32 vcc_lo, s22, v48
	s_and_b32 exec_lo, exec_lo, vcc_lo
	s_cbranch_execz .LBB59_82
; %bb.76:
	v_mov_b32_e32 v0, 1.0
	s_and_not1_b32 vcc_lo, exec_lo, s1
	s_cbranch_vccnz .LBB59_78
; %bb.77:
	v_div_scale_f32 v0, null, v1, v1, 1.0
	s_delay_alu instid0(VALU_DEP_1) | instskip(SKIP_1) | instid1(TRANS32_DEP_1)
	v_rcp_f32_e32 v2, v0
	v_nop
	v_fma_f32 v3, -v0, v2, 1.0
	s_delay_alu instid0(VALU_DEP_1) | instskip(SKIP_1) | instid1(VALU_DEP_1)
	v_fmac_f32_e32 v2, v3, v2
	v_div_scale_f32 v3, vcc_lo, 1.0, v1, 1.0
	v_mul_f32_e32 v4, v3, v2
	s_delay_alu instid0(VALU_DEP_1) | instskip(NEXT) | instid1(VALU_DEP_1)
	v_fma_f32 v5, -v0, v4, v3
	v_fmac_f32_e32 v4, v5, v2
	s_delay_alu instid0(VALU_DEP_1) | instskip(NEXT) | instid1(VALU_DEP_1)
	v_fma_f32 v0, -v0, v4, v3
	v_div_fmas_f32 v0, v0, v2, v4
	s_delay_alu instid0(VALU_DEP_1)
	v_div_fixup_f32 v0, v0, v1, 1.0
.LBB59_78:
	v_add_nc_u32_e32 v2, s3, v57
	s_delay_alu instid0(VALU_DEP_1) | instskip(NEXT) | instid1(VALU_DEP_1)
	v_mad_u32 v2, v2, s23, s33
	v_mad_u32 v2, s0, v2, s20
	s_and_saveexec_b32 s0, s2
	s_cbranch_execz .LBB59_80
; %bb.79:
	s_delay_alu instid0(VALU_DEP_1) | instskip(SKIP_4) | instid1(VALU_DEP_4)
	v_mad_u32 v6, 0x60, v2, v49
	v_dual_lshrrev_b32 v3, 16, v81 :: v_dual_lshrrev_b32 v9, 16, v83
	v_mov_b32_e32 v7, 0
	v_cvt_f32_f16_e32 v4, v81
	v_cvt_f32_f16_e32 v8, v83
	v_cvt_f32_f16_e32 v5, v3
	v_cvt_f32_f16_e32 v9, v9
	s_delay_alu instid0(VALU_DEP_2) | instskip(SKIP_1) | instid1(VALU_DEP_3)
	v_pk_mul_f32 v[4:5], v[0:1], v[4:5] op_sel_hi:[0,1]
	v_lshl_add_u64 v[10:11], v[6:7], 2, s[16:17]
	v_pk_mul_f32 v[6:7], v[0:1], v[8:9] op_sel_hi:[0,1]
	global_store_b128 v[10:11], v[4:7], off
.LBB59_80:
	s_wait_xcnt 0x0
	s_or_b32 exec_lo, exec_lo, s0
	s_delay_alu instid0(SALU_CYCLE_1)
	s_and_b32 exec_lo, exec_lo, s4
	s_cbranch_execz .LBB59_82
; %bb.81:
	v_mov_b32_e32 v0, v59
	global_store_b64 v2, v[0:1], s[18:19] scale_offset
.LBB59_82:
	s_sendmsg sendmsg(MSG_DEALLOC_VGPRS)
	s_endpgm
	.section	.rodata,"a",@progbits
	.p2align	6, 0x0
	.amdhsa_kernel _ZL15flash_attn_tileILi96ELi96ELi16ELi1ELb0EEvPKcS1_S1_S1_S1_PKiPfP15HIP_vector_typeIfLj2EEffffjfiS5_IjLj3EEiiiiiiiiiiiliiliiiiil
		.amdhsa_group_segment_fixed_size 7808
		.amdhsa_private_segment_fixed_size 32
		.amdhsa_kernarg_size 464
		.amdhsa_user_sgpr_count 2
		.amdhsa_user_sgpr_dispatch_ptr 0
		.amdhsa_user_sgpr_queue_ptr 0
		.amdhsa_user_sgpr_kernarg_segment_ptr 1
		.amdhsa_user_sgpr_dispatch_id 0
		.amdhsa_user_sgpr_kernarg_preload_length 0
		.amdhsa_user_sgpr_kernarg_preload_offset 0
		.amdhsa_user_sgpr_private_segment_size 0
		.amdhsa_wavefront_size32 1
		.amdhsa_uses_dynamic_stack 0
		.amdhsa_enable_private_segment 1
		.amdhsa_system_sgpr_workgroup_id_x 1
		.amdhsa_system_sgpr_workgroup_id_y 1
		.amdhsa_system_sgpr_workgroup_id_z 1
		.amdhsa_system_sgpr_workgroup_info 0
		.amdhsa_system_vgpr_workitem_id 1
		.amdhsa_next_free_vgpr 119
		.amdhsa_next_free_sgpr 46
		.amdhsa_named_barrier_count 0
		.amdhsa_reserve_vcc 1
		.amdhsa_float_round_mode_32 0
		.amdhsa_float_round_mode_16_64 0
		.amdhsa_float_denorm_mode_32 3
		.amdhsa_float_denorm_mode_16_64 3
		.amdhsa_fp16_overflow 0
		.amdhsa_memory_ordered 1
		.amdhsa_forward_progress 1
		.amdhsa_inst_pref_size 114
		.amdhsa_round_robin_scheduling 0
		.amdhsa_exception_fp_ieee_invalid_op 0
		.amdhsa_exception_fp_denorm_src 0
		.amdhsa_exception_fp_ieee_div_zero 0
		.amdhsa_exception_fp_ieee_overflow 0
		.amdhsa_exception_fp_ieee_underflow 0
		.amdhsa_exception_fp_ieee_inexact 0
		.amdhsa_exception_int_div_zero 0
	.end_amdhsa_kernel
	.section	.text._ZL15flash_attn_tileILi96ELi96ELi16ELi1ELb0EEvPKcS1_S1_S1_S1_PKiPfP15HIP_vector_typeIfLj2EEffffjfiS5_IjLj3EEiiiiiiiiiiiliiliiiiil,"axG",@progbits,_ZL15flash_attn_tileILi96ELi96ELi16ELi1ELb0EEvPKcS1_S1_S1_S1_PKiPfP15HIP_vector_typeIfLj2EEffffjfiS5_IjLj3EEiiiiiiiiiiiliiliiiiil,comdat
.Lfunc_end59:
	.size	_ZL15flash_attn_tileILi96ELi96ELi16ELi1ELb0EEvPKcS1_S1_S1_S1_PKiPfP15HIP_vector_typeIfLj2EEffffjfiS5_IjLj3EEiiiiiiiiiiiliiliiiiil, .Lfunc_end59-_ZL15flash_attn_tileILi96ELi96ELi16ELi1ELb0EEvPKcS1_S1_S1_S1_PKiPfP15HIP_vector_typeIfLj2EEffffjfiS5_IjLj3EEiiiiiiiiiiiliiliiiiil
                                        ; -- End function
	.set _ZL15flash_attn_tileILi96ELi96ELi16ELi1ELb0EEvPKcS1_S1_S1_S1_PKiPfP15HIP_vector_typeIfLj2EEffffjfiS5_IjLj3EEiiiiiiiiiiiliiliiiiil.num_vgpr, 119
	.set _ZL15flash_attn_tileILi96ELi96ELi16ELi1ELb0EEvPKcS1_S1_S1_S1_PKiPfP15HIP_vector_typeIfLj2EEffffjfiS5_IjLj3EEiiiiiiiiiiiliiliiiiil.num_agpr, 0
	.set _ZL15flash_attn_tileILi96ELi96ELi16ELi1ELb0EEvPKcS1_S1_S1_S1_PKiPfP15HIP_vector_typeIfLj2EEffffjfiS5_IjLj3EEiiiiiiiiiiiliiliiiiil.numbered_sgpr, 46
	.set _ZL15flash_attn_tileILi96ELi96ELi16ELi1ELb0EEvPKcS1_S1_S1_S1_PKiPfP15HIP_vector_typeIfLj2EEffffjfiS5_IjLj3EEiiiiiiiiiiiliiliiiiil.num_named_barrier, 0
	.set _ZL15flash_attn_tileILi96ELi96ELi16ELi1ELb0EEvPKcS1_S1_S1_S1_PKiPfP15HIP_vector_typeIfLj2EEffffjfiS5_IjLj3EEiiiiiiiiiiiliiliiiiil.private_seg_size, 32
	.set _ZL15flash_attn_tileILi96ELi96ELi16ELi1ELb0EEvPKcS1_S1_S1_S1_PKiPfP15HIP_vector_typeIfLj2EEffffjfiS5_IjLj3EEiiiiiiiiiiiliiliiiiil.uses_vcc, 1
	.set _ZL15flash_attn_tileILi96ELi96ELi16ELi1ELb0EEvPKcS1_S1_S1_S1_PKiPfP15HIP_vector_typeIfLj2EEffffjfiS5_IjLj3EEiiiiiiiiiiiliiliiiiil.uses_flat_scratch, 1
	.set _ZL15flash_attn_tileILi96ELi96ELi16ELi1ELb0EEvPKcS1_S1_S1_S1_PKiPfP15HIP_vector_typeIfLj2EEffffjfiS5_IjLj3EEiiiiiiiiiiiliiliiiiil.has_dyn_sized_stack, 0
	.set _ZL15flash_attn_tileILi96ELi96ELi16ELi1ELb0EEvPKcS1_S1_S1_S1_PKiPfP15HIP_vector_typeIfLj2EEffffjfiS5_IjLj3EEiiiiiiiiiiiliiliiiiil.has_recursion, 0
	.set _ZL15flash_attn_tileILi96ELi96ELi16ELi1ELb0EEvPKcS1_S1_S1_S1_PKiPfP15HIP_vector_typeIfLj2EEffffjfiS5_IjLj3EEiiiiiiiiiiiliiliiiiil.has_indirect_call, 0
	.section	.AMDGPU.csdata,"",@progbits
; Kernel info:
; codeLenInByte = 14496
; TotalNumSgprs: 48
; NumVgprs: 119
; ScratchSize: 32
; MemoryBound: 0
; FloatMode: 240
; IeeeMode: 1
; LDSByteSize: 7808 bytes/workgroup (compile time only)
; SGPRBlocks: 0
; VGPRBlocks: 7
; NumSGPRsForWavesPerEU: 48
; NumVGPRsForWavesPerEU: 119
; NamedBarCnt: 0
; Occupancy: 8
; WaveLimiterHint : 1
; COMPUTE_PGM_RSRC2:SCRATCH_EN: 1
; COMPUTE_PGM_RSRC2:USER_SGPR: 2
; COMPUTE_PGM_RSRC2:TRAP_HANDLER: 0
; COMPUTE_PGM_RSRC2:TGID_X_EN: 1
; COMPUTE_PGM_RSRC2:TGID_Y_EN: 1
; COMPUTE_PGM_RSRC2:TGID_Z_EN: 1
; COMPUTE_PGM_RSRC2:TIDIG_COMP_CNT: 1
	.section	.text._ZL33flash_attn_stream_k_fixup_uniformILi96ELi16ELi1EEvPfPK15HIP_vector_typeIfLj2EEiiiiiiS1_IjLj3EES5_S5_,"axG",@progbits,_ZL33flash_attn_stream_k_fixup_uniformILi96ELi16ELi1EEvPfPK15HIP_vector_typeIfLj2EEiiiiiiS1_IjLj3EES5_S5_,comdat
	.globl	_ZL33flash_attn_stream_k_fixup_uniformILi96ELi16ELi1EEvPfPK15HIP_vector_typeIfLj2EEiiiiiiS1_IjLj3EES5_S5_ ; -- Begin function _ZL33flash_attn_stream_k_fixup_uniformILi96ELi16ELi1EEvPfPK15HIP_vector_typeIfLj2EEiiiiiiS1_IjLj3EES5_S5_
	.p2align	8
	.type	_ZL33flash_attn_stream_k_fixup_uniformILi96ELi16ELi1EEvPfPK15HIP_vector_typeIfLj2EEiiiiiiS1_IjLj3EES5_S5_,@function
_ZL33flash_attn_stream_k_fixup_uniformILi96ELi16ELi1EEvPfPK15HIP_vector_typeIfLj2EEiiiiiiS1_IjLj3EES5_S5_: ; @_ZL33flash_attn_stream_k_fixup_uniformILi96ELi16ELi1EEvPfPK15HIP_vector_typeIfLj2EEiiiiiiS1_IjLj3EES5_S5_
; %bb.0:
	s_load_b256 s[4:11], s[0:1], 0x1c
	s_bfe_u32 s2, ttmp6, 0x40014
	s_lshr_b32 s3, ttmp7, 16
	s_add_co_i32 s2, s2, 1
	s_bfe_u32 s13, ttmp6, 0x40010
	s_mul_i32 s2, s3, s2
	s_bfe_u32 s12, ttmp6, 0x40008
	s_and_b32 s14, ttmp7, 0xffff
	s_add_co_i32 s13, s13, 1
	s_bfe_u32 s15, ttmp6, 0x4000c
	s_add_co_i32 s2, s12, s2
	s_mul_i32 s12, s14, s13
	s_bfe_u32 s13, ttmp6, 0x40004
	s_add_co_i32 s15, s15, 1
	s_add_co_i32 s13, s13, s12
	s_and_b32 s12, ttmp6, 15
	s_mul_i32 s15, ttmp9, s15
	s_getreg_b32 s20, hwreg(HW_REG_IB_STS2, 6, 4)
	s_add_co_i32 s12, s12, s15
	s_load_b128 s[16:19], s[0:1], 0x3c
	s_cmp_eq_u32 s20, 0
	s_cselect_b32 s12, ttmp9, s12
	s_cselect_b32 s13, s14, s13
	s_wait_kmcnt 0x0
	s_mul_hi_u32 s7, s7, s12
	s_cselect_b32 s14, s3, s2
	s_add_co_i32 s2, s12, s7
	s_delay_alu instid0(SALU_CYCLE_1) | instskip(NEXT) | instid1(SALU_CYCLE_1)
	s_lshr_b32 s7, s2, s8
	s_mul_i32 s2, s7, s9
	s_delay_alu instid0(SALU_CYCLE_1) | instskip(NEXT) | instid1(SALU_CYCLE_1)
	s_sub_co_i32 s8, s12, s2
	s_mul_hi_u32 s2, s8, s10
	s_delay_alu instid0(SALU_CYCLE_1) | instskip(SKIP_2) | instid1(SALU_CYCLE_1)
	s_add_co_i32 s9, s8, s2
	s_load_b64 s[2:3], s[0:1], 0x10
	s_lshr_b32 s15, s9, s11
	s_mul_i32 s9, s15, s16
	s_delay_alu instid0(SALU_CYCLE_1) | instskip(NEXT) | instid1(SALU_CYCLE_1)
	s_sub_co_i32 s8, s8, s9
	s_mul_hi_u32 s9, s8, s17
	s_delay_alu instid0(SALU_CYCLE_1) | instskip(NEXT) | instid1(SALU_CYCLE_1)
	s_add_co_i32 s9, s8, s9
	s_lshr_b32 s17, s9, s18
	s_delay_alu instid0(SALU_CYCLE_1) | instskip(NEXT) | instid1(SALU_CYCLE_1)
	s_mul_i32 s9, s17, s19
	s_sub_co_i32 s16, s8, s9
	s_delay_alu instid0(SALU_CYCLE_1) | instskip(NEXT) | instid1(SALU_CYCLE_1)
	s_lshl_b32 s8, s16, 4
	s_add_co_i32 s8, s8, s13
	s_wait_kmcnt 0x0
	s_cmp_lt_i32 s8, s2
	s_cselect_b32 s8, -1, 0
	s_add_co_i32 s17, s17, s14
	s_delay_alu instid0(SALU_CYCLE_1) | instskip(SKIP_1) | instid1(SALU_CYCLE_1)
	s_cmp_lt_i32 s17, s5
	s_cselect_b32 s9, -1, 0
	s_and_b32 s8, s8, s9
	s_delay_alu instid0(SALU_CYCLE_1)
	s_and_not1_b32 vcc_lo, exec_lo, s8
	s_cbranch_vccnz .LBB60_6
; %bb.1:
	s_load_b128 s[8:11], s[0:1], 0x0
	s_wait_xcnt 0x0
	s_mul_i32 s0, s7, s2
	s_mul_i32 s15, s15, s5
	s_add_co_i32 s0, s0, s13
	s_add_co_i32 s1, s17, s15
	s_mul_i32 s0, s0, s3
	s_mul_i32 s2, s3, s16
	s_add_co_i32 s0, s1, s0
	s_mulk_i32 s2, 0x600
	s_mulk_i32 s0, 0x60
	s_mul_i32 s7, s6, s12
	v_add3_u32 v4, s0, s2, v0
	s_add_co_i32 s5, s7, s6
	s_add_co_i32 s13, s13, s14
	s_lshl_b32 s0, s5, 4
	s_add_co_i32 s2, s5, -2
	s_add_co_i32 s0, s13, s0
	v_ashrrev_i32_e32 v5, 31, v4
	s_add_co_i32 s0, s0, -16
	s_delay_alu instid0(SALU_CYCLE_1)
	s_ashr_i32 s1, s0, 31
	s_wait_kmcnt 0x0
	global_load_b32 v3, v4, s[8:9] scale_offset
	s_lshl_b64 s[0:1], s[0:1], 3
	s_cmp_lt_i32 s2, s7
	s_add_nc_u64 s[0:1], s[10:11], s[0:1]
	s_load_b32 s14, s[0:1], 0x4
	s_cbranch_scc1 .LBB60_4
; %bb.2:
	s_wait_xcnt 0x0
	s_load_b32 s0, s[0:1], 0x0
	s_add_co_i32 s12, s12, 1
	s_lshl_b32 s2, s4, 6
	s_wait_xcnt 0x0
	s_mul_i32 s1, s6, s12
	s_mul_i32 s6, s13, 0x60
	s_lshl_b32 s12, s1, 4
	s_mulk_i32 s1, 0x600
	s_ashr_i32 s3, s2, 31
	s_add_co_i32 s6, s6, s1
	s_add_co_i32 s12, s13, s12
	s_lshl_b32 s1, s4, 4
	v_add3_u32 v0, s6, v0, 0xfffff400
	s_wait_kmcnt 0x0
	v_mov_b32_e32 v2, s14
	s_lshl_b64 s[2:3], s[2:3], 2
	s_add_co_i32 s12, s12, s1
	s_add_nc_u64 s[2:3], s[10:11], s[2:3]
	s_add_co_i32 s1, s5, -1
	s_sub_co_i32 s4, s12, 32
.LBB60_3:                               ; =>This Inner Loop Header: Depth=1
	global_load_b32 v7, v0, s[2:3] scale_offset
	s_ashr_i32 s5, s4, 31
	v_max_num_f32_e64 v1, s0, s0
	s_lshl_b64 s[12:13], s[4:5], 3
	s_delay_alu instid0(SALU_CYCLE_1) | instskip(SKIP_1) | instid1(VALU_DEP_1)
	s_add_nc_u64 s[12:13], s[10:11], s[12:13]
	s_load_b64 s[12:13], s[12:13], 0x0
	v_readfirstlane_b32 s5, v1
	v_add_nc_u32_e32 v0, 0xfffffa00, v0
	s_wait_kmcnt 0x0
	v_max_num_f32_e64 v1, s12, s12
	s_delay_alu instid0(VALU_DEP_1) | instskip(SKIP_1) | instid1(SALU_CYCLE_3)
	v_readfirstlane_b32 s6, v1
	s_max_num_f32 s5, s5, s6
	s_sub_f32 s0, s0, s5
	s_sub_f32 s6, s12, s5
	s_delay_alu instid0(SALU_CYCLE_2) | instskip(NEXT) | instid1(SALU_CYCLE_2)
	s_mul_f32 s12, s0, 0x3fb8aa3b
	s_mul_f32 s14, s6, 0x3fb8aa3b
	s_delay_alu instid0(SALU_CYCLE_2)
	s_xor_b32 s15, s12, 0x80000000
	s_rndne_f32 s16, s12
	s_fmamk_f32 s15, s0, 0x3fb8aa3b, s15
	s_cmp_nlt_f32 s0, 0xc2ce8ed0
	s_rndne_f32 s17, s14
	s_sub_f32 s12, s12, s16
	s_fmamk_f32 s15, s0, 0x32a5705f, s15
	s_cselect_b32 vcc_lo, -1, 0
	s_cmp_ngt_f32 s0, 0x42b17218
	s_delay_alu instid0(SALU_CYCLE_1) | instskip(SKIP_2) | instid1(SALU_CYCLE_1)
	s_add_f32 s12, s12, s15
	s_cvt_i32_f32 s15, s16
	s_sub_f32 s16, s14, s17
	v_s_exp_f32 s12, s12
	v_nop
	s_delay_alu instid0(TRANS32_DEP_1) | instskip(SKIP_1) | instid1(VALU_DEP_1)
	v_ldexp_f32 v1, s12, s15
	s_cvt_i32_f32 s12, s17
	v_cndmask_b32_e32 v1, 0, v1, vcc_lo
	s_cselect_b32 vcc_lo, -1, 0
	s_cmp_ge_f32 s0, 0xc1a00000
	s_delay_alu instid0(VALU_DEP_1)
	v_cndmask_b32_e32 v1, 0x7f800000, v1, vcc_lo
	s_cselect_b32 vcc_lo, -1, 0
	s_xor_b32 s0, s14, 0x80000000
	s_cmp_nlt_f32 s6, 0xc2ce8ed0
	s_fmamk_f32 s0, s6, 0x3fb8aa3b, s0
	v_cndmask_b32_e32 v10, 0, v1, vcc_lo
	s_delay_alu instid0(SALU_CYCLE_2) | instskip(NEXT) | instid1(SALU_CYCLE_3)
	s_fmamk_f32 s0, s6, 0x32a5705f, s0
	s_add_f32 s0, s16, s0
	s_delay_alu instid0(SALU_CYCLE_3) | instskip(SKIP_1) | instid1(TRANS32_DEP_1)
	v_s_exp_f32 s0, s0
	v_nop
	v_ldexp_f32 v6, s0, s12
	s_cselect_b32 s0, -1, 0
	s_cmp_ngt_f32 s6, 0x42b17218
	s_delay_alu instid0(VALU_DEP_1) | instskip(SKIP_2) | instid1(VALU_DEP_1)
	v_cndmask_b32_e64 v6, 0, v6, s0
	s_cselect_b32 s0, -1, 0
	s_cmp_ge_f32 s6, 0xc1a00000
	v_cndmask_b32_e64 v8, 0x7f800000, v6, s0
	s_cselect_b32 s0, -1, 0
	v_mov_b32_e32 v6, s13
	s_add_co_i32 s1, s1, -1
	s_add_co_i32 s4, s4, -16
	v_cndmask_b32_e64 v8, 0, v8, s0
	s_cmp_le_i32 s1, s7
	s_mov_b32 s0, s5
	s_wait_loadcnt 0x0
	s_delay_alu instid0(VALU_DEP_1) | instskip(NEXT) | instid1(VALU_DEP_1)
	v_pk_mul_f32 v[6:7], v[6:7], v[8:9] op_sel_hi:[1,0]
	v_pk_fma_f32 v[2:3], v[2:3], v[10:11], v[6:7] op_sel_hi:[1,0,1]
	s_cbranch_scc0 .LBB60_3
	s_branch .LBB60_5
.LBB60_4:
	s_wait_kmcnt 0x0
	v_mov_b32_e32 v2, s14
.LBB60_5:
	v_lshl_add_u64 v[0:1], v[4:5], 2, s[8:9]
	s_wait_loadcnt 0x0
	s_delay_alu instid0(VALU_DEP_2) | instskip(NEXT) | instid1(VALU_DEP_1)
	v_div_scale_f32 v4, null, v2, v2, v3
	v_rcp_f32_e32 v5, v4
	v_nop
	s_delay_alu instid0(TRANS32_DEP_1) | instskip(NEXT) | instid1(VALU_DEP_1)
	v_fma_f32 v6, -v4, v5, 1.0
	v_fmac_f32_e32 v5, v6, v5
	v_div_scale_f32 v6, vcc_lo, v3, v2, v3
	s_delay_alu instid0(VALU_DEP_1) | instskip(NEXT) | instid1(VALU_DEP_1)
	v_mul_f32_e32 v7, v6, v5
	v_fma_f32 v8, -v4, v7, v6
	s_delay_alu instid0(VALU_DEP_1) | instskip(NEXT) | instid1(VALU_DEP_1)
	v_fmac_f32_e32 v7, v8, v5
	v_fma_f32 v4, -v4, v7, v6
	s_delay_alu instid0(VALU_DEP_1) | instskip(NEXT) | instid1(VALU_DEP_1)
	v_div_fmas_f32 v4, v4, v5, v7
	v_div_fixup_f32 v2, v4, v2, v3
	global_store_b32 v[0:1], v2, off
.LBB60_6:
	s_endpgm
	.section	.rodata,"a",@progbits
	.p2align	6, 0x0
	.amdhsa_kernel _ZL33flash_attn_stream_k_fixup_uniformILi96ELi16ELi1EEvPfPK15HIP_vector_typeIfLj2EEiiiiiiS1_IjLj3EES5_S5_
		.amdhsa_group_segment_fixed_size 0
		.amdhsa_private_segment_fixed_size 0
		.amdhsa_kernarg_size 76
		.amdhsa_user_sgpr_count 2
		.amdhsa_user_sgpr_dispatch_ptr 0
		.amdhsa_user_sgpr_queue_ptr 0
		.amdhsa_user_sgpr_kernarg_segment_ptr 1
		.amdhsa_user_sgpr_dispatch_id 0
		.amdhsa_user_sgpr_kernarg_preload_length 0
		.amdhsa_user_sgpr_kernarg_preload_offset 0
		.amdhsa_user_sgpr_private_segment_size 0
		.amdhsa_wavefront_size32 1
		.amdhsa_uses_dynamic_stack 0
		.amdhsa_enable_private_segment 0
		.amdhsa_system_sgpr_workgroup_id_x 1
		.amdhsa_system_sgpr_workgroup_id_y 1
		.amdhsa_system_sgpr_workgroup_id_z 1
		.amdhsa_system_sgpr_workgroup_info 0
		.amdhsa_system_vgpr_workitem_id 0
		.amdhsa_next_free_vgpr 12
		.amdhsa_next_free_sgpr 21
		.amdhsa_named_barrier_count 0
		.amdhsa_reserve_vcc 1
		.amdhsa_float_round_mode_32 0
		.amdhsa_float_round_mode_16_64 0
		.amdhsa_float_denorm_mode_32 3
		.amdhsa_float_denorm_mode_16_64 3
		.amdhsa_fp16_overflow 0
		.amdhsa_memory_ordered 1
		.amdhsa_forward_progress 1
		.amdhsa_inst_pref_size 9
		.amdhsa_round_robin_scheduling 0
		.amdhsa_exception_fp_ieee_invalid_op 0
		.amdhsa_exception_fp_denorm_src 0
		.amdhsa_exception_fp_ieee_div_zero 0
		.amdhsa_exception_fp_ieee_overflow 0
		.amdhsa_exception_fp_ieee_underflow 0
		.amdhsa_exception_fp_ieee_inexact 0
		.amdhsa_exception_int_div_zero 0
	.end_amdhsa_kernel
	.section	.text._ZL33flash_attn_stream_k_fixup_uniformILi96ELi16ELi1EEvPfPK15HIP_vector_typeIfLj2EEiiiiiiS1_IjLj3EES5_S5_,"axG",@progbits,_ZL33flash_attn_stream_k_fixup_uniformILi96ELi16ELi1EEvPfPK15HIP_vector_typeIfLj2EEiiiiiiS1_IjLj3EES5_S5_,comdat
.Lfunc_end60:
	.size	_ZL33flash_attn_stream_k_fixup_uniformILi96ELi16ELi1EEvPfPK15HIP_vector_typeIfLj2EEiiiiiiS1_IjLj3EES5_S5_, .Lfunc_end60-_ZL33flash_attn_stream_k_fixup_uniformILi96ELi16ELi1EEvPfPK15HIP_vector_typeIfLj2EEiiiiiiS1_IjLj3EES5_S5_
                                        ; -- End function
	.set _ZL33flash_attn_stream_k_fixup_uniformILi96ELi16ELi1EEvPfPK15HIP_vector_typeIfLj2EEiiiiiiS1_IjLj3EES5_S5_.num_vgpr, 12
	.set _ZL33flash_attn_stream_k_fixup_uniformILi96ELi16ELi1EEvPfPK15HIP_vector_typeIfLj2EEiiiiiiS1_IjLj3EES5_S5_.num_agpr, 0
	.set _ZL33flash_attn_stream_k_fixup_uniformILi96ELi16ELi1EEvPfPK15HIP_vector_typeIfLj2EEiiiiiiS1_IjLj3EES5_S5_.numbered_sgpr, 21
	.set _ZL33flash_attn_stream_k_fixup_uniformILi96ELi16ELi1EEvPfPK15HIP_vector_typeIfLj2EEiiiiiiS1_IjLj3EES5_S5_.num_named_barrier, 0
	.set _ZL33flash_attn_stream_k_fixup_uniformILi96ELi16ELi1EEvPfPK15HIP_vector_typeIfLj2EEiiiiiiS1_IjLj3EES5_S5_.private_seg_size, 0
	.set _ZL33flash_attn_stream_k_fixup_uniformILi96ELi16ELi1EEvPfPK15HIP_vector_typeIfLj2EEiiiiiiS1_IjLj3EES5_S5_.uses_vcc, 1
	.set _ZL33flash_attn_stream_k_fixup_uniformILi96ELi16ELi1EEvPfPK15HIP_vector_typeIfLj2EEiiiiiiS1_IjLj3EES5_S5_.uses_flat_scratch, 0
	.set _ZL33flash_attn_stream_k_fixup_uniformILi96ELi16ELi1EEvPfPK15HIP_vector_typeIfLj2EEiiiiiiS1_IjLj3EES5_S5_.has_dyn_sized_stack, 0
	.set _ZL33flash_attn_stream_k_fixup_uniformILi96ELi16ELi1EEvPfPK15HIP_vector_typeIfLj2EEiiiiiiS1_IjLj3EES5_S5_.has_recursion, 0
	.set _ZL33flash_attn_stream_k_fixup_uniformILi96ELi16ELi1EEvPfPK15HIP_vector_typeIfLj2EEiiiiiiS1_IjLj3EES5_S5_.has_indirect_call, 0
	.section	.AMDGPU.csdata,"",@progbits
; Kernel info:
; codeLenInByte = 1072
; TotalNumSgprs: 23
; NumVgprs: 12
; ScratchSize: 0
; MemoryBound: 0
; FloatMode: 240
; IeeeMode: 1
; LDSByteSize: 0 bytes/workgroup (compile time only)
; SGPRBlocks: 0
; VGPRBlocks: 0
; NumSGPRsForWavesPerEU: 23
; NumVGPRsForWavesPerEU: 12
; NamedBarCnt: 0
; Occupancy: 16
; WaveLimiterHint : 0
; COMPUTE_PGM_RSRC2:SCRATCH_EN: 0
; COMPUTE_PGM_RSRC2:USER_SGPR: 2
; COMPUTE_PGM_RSRC2:TRAP_HANDLER: 0
; COMPUTE_PGM_RSRC2:TGID_X_EN: 1
; COMPUTE_PGM_RSRC2:TGID_Y_EN: 1
; COMPUTE_PGM_RSRC2:TGID_Z_EN: 1
; COMPUTE_PGM_RSRC2:TIDIG_COMP_CNT: 0
	.section	.text._ZL33flash_attn_stream_k_fixup_generalILi96ELi16ELi1EEvPfPK15HIP_vector_typeIfLj2EEiiiiS1_IjLj3EES5_S5_S5_,"axG",@progbits,_ZL33flash_attn_stream_k_fixup_generalILi96ELi16ELi1EEvPfPK15HIP_vector_typeIfLj2EEiiiiS1_IjLj3EES5_S5_S5_,comdat
	.globl	_ZL33flash_attn_stream_k_fixup_generalILi96ELi16ELi1EEvPfPK15HIP_vector_typeIfLj2EEiiiiS1_IjLj3EES5_S5_S5_ ; -- Begin function _ZL33flash_attn_stream_k_fixup_generalILi96ELi16ELi1EEvPfPK15HIP_vector_typeIfLj2EEiiiiS1_IjLj3EES5_S5_S5_
	.p2align	8
	.type	_ZL33flash_attn_stream_k_fixup_generalILi96ELi16ELi1EEvPfPK15HIP_vector_typeIfLj2EEiiiiS1_IjLj3EES5_S5_S5_,@function
_ZL33flash_attn_stream_k_fixup_generalILi96ELi16ELi1EEvPfPK15HIP_vector_typeIfLj2EEiiiiS1_IjLj3EES5_S5_S5_: ; @_ZL33flash_attn_stream_k_fixup_generalILi96ELi16ELi1EEvPfPK15HIP_vector_typeIfLj2EEiiiiS1_IjLj3EES5_S5_S5_
; %bb.0:
	s_clause 0x1
	s_load_b128 s[4:7], s[0:1], 0x10
	s_load_b32 s16, s[0:1], 0x50
	s_bfe_u32 s2, ttmp6, 0x4000c
	s_and_b32 s3, ttmp6, 15
	s_add_co_i32 s2, s2, 1
	s_getreg_b32 s15, hwreg(HW_REG_IB_STS2, 6, 4)
	s_mul_i32 s2, ttmp9, s2
	s_mov_b32 s17, 0
	s_add_co_i32 s3, s3, s2
	s_cmp_eq_u32 s15, 0
	s_cselect_b32 s2, ttmp9, s3
	s_delay_alu instid0(SALU_CYCLE_1) | instskip(SKIP_3) | instid1(SALU_CYCLE_1)
	s_ashr_i32 s3, s2, 31
	s_wait_kmcnt 0x0
	s_ashr_i32 s19, s7, 31
	s_mov_b32 s18, s7
	s_mul_u64 s[8:9], s[18:19], s[2:3]
	s_delay_alu instid0(SALU_CYCLE_1) | instskip(NEXT) | instid1(SALU_CYCLE_1)
	s_and_b64 s[10:11], s[8:9], 0xffffffff00000000
	s_cmp_lg_u64 s[10:11], 0
	s_cbranch_scc0 .LBB61_21
; %bb.1:
	s_add_nc_u64 s[10:11], s[16:17], 0
	s_mov_b32 s23, s17
	s_xor_b64 s[10:11], s[10:11], 0
	s_mov_b32 s27, s17
	s_cvt_f32_u32 s3, s10
	s_cvt_f32_u32 s7, s11
	s_sub_nc_u64 s[20:21], 0, s[10:11]
	s_delay_alu instid0(SALU_CYCLE_2) | instskip(NEXT) | instid1(SALU_CYCLE_3)
	s_fmamk_f32 s3, s7, 0x4f800000, s3
	v_s_rcp_f32 s3, s3
	s_delay_alu instid0(TRANS32_DEP_1) | instskip(NEXT) | instid1(SALU_CYCLE_3)
	s_mul_f32 s3, s3, 0x5f7ffffc
	s_mul_f32 s7, s3, 0x2f800000
	s_delay_alu instid0(SALU_CYCLE_3) | instskip(NEXT) | instid1(SALU_CYCLE_3)
	s_trunc_f32 s7, s7
	s_fmamk_f32 s3, s7, 0xcf800000, s3
	s_cvt_u32_f32 s13, s7
	s_delay_alu instid0(SALU_CYCLE_2) | instskip(NEXT) | instid1(SALU_CYCLE_3)
	s_cvt_u32_f32 s12, s3
	s_mul_u64 s[24:25], s[20:21], s[12:13]
	s_delay_alu instid0(SALU_CYCLE_1)
	s_mul_hi_u32 s29, s12, s25
	s_mul_i32 s28, s12, s25
	s_mul_hi_u32 s22, s12, s24
	s_mul_i32 s7, s13, s24
	s_add_nc_u64 s[22:23], s[22:23], s[28:29]
	s_mul_hi_u32 s3, s13, s24
	s_mul_hi_u32 s14, s13, s25
	s_add_co_u32 s7, s22, s7
	s_add_co_ci_u32 s26, s23, s3
	s_mul_i32 s24, s13, s25
	s_add_co_ci_u32 s25, s14, 0
	s_delay_alu instid0(SALU_CYCLE_1) | instskip(SKIP_3) | instid1(SALU_CYCLE_1)
	s_add_nc_u64 s[22:23], s[26:27], s[24:25]
	s_mov_b32 s25, s17
	s_add_co_u32 s12, s12, s22
	s_cselect_b32 s3, -1, 0
	s_cmp_lg_u32 s3, 0
	s_add_co_ci_u32 s13, s13, s23
	s_mov_b32 s23, s17
	s_mul_u64 s[20:21], s[20:21], s[12:13]
	s_delay_alu instid0(SALU_CYCLE_1)
	s_mul_hi_u32 s27, s12, s21
	s_mul_i32 s26, s12, s21
	s_mul_hi_u32 s22, s12, s20
	s_mul_i32 s7, s13, s20
	s_add_nc_u64 s[22:23], s[22:23], s[26:27]
	s_mul_hi_u32 s3, s13, s20
	s_mul_hi_u32 s14, s13, s21
	s_add_co_u32 s7, s22, s7
	s_add_co_ci_u32 s24, s23, s3
	s_mul_i32 s20, s13, s21
	s_add_co_ci_u32 s21, s14, 0
	s_mov_b32 s23, s17
	s_add_nc_u64 s[20:21], s[24:25], s[20:21]
	s_delay_alu instid0(SALU_CYCLE_1) | instskip(SKIP_1) | instid1(SALU_CYCLE_1)
	s_add_co_u32 s3, s12, s20
	s_cselect_b32 s7, -1, 0
	s_cmp_lg_u32 s7, 0
	s_add_co_ci_u32 s7, s13, s21
	s_ashr_i32 s12, s9, 31
	s_delay_alu instid0(SALU_CYCLE_1) | instskip(NEXT) | instid1(SALU_CYCLE_1)
	s_mov_b32 s13, s12
	s_add_nc_u64 s[20:21], s[8:9], s[12:13]
	s_delay_alu instid0(SALU_CYCLE_1) | instskip(NEXT) | instid1(SALU_CYCLE_1)
	s_xor_b64 s[20:21], s[20:21], s[12:13]
	s_mul_hi_u32 s27, s20, s7
	s_mul_i32 s26, s20, s7
	s_mul_hi_u32 s22, s20, s3
	s_mul_hi_u32 s14, s21, s3
	s_mul_i32 s3, s21, s3
	s_add_nc_u64 s[22:23], s[22:23], s[26:27]
	s_mul_hi_u32 s9, s21, s7
	s_add_co_u32 s3, s22, s3
	s_add_co_ci_u32 s24, s23, s14
	s_mul_i32 s26, s21, s7
	s_add_co_ci_u32 s27, s9, 0
	s_delay_alu instid0(SALU_CYCLE_1) | instskip(NEXT) | instid1(SALU_CYCLE_1)
	s_add_nc_u64 s[22:23], s[24:25], s[26:27]
	s_and_b64 s[24:25], s[22:23], 0xffffffff00000000
	s_delay_alu instid0(SALU_CYCLE_1) | instskip(NEXT) | instid1(SALU_CYCLE_1)
	s_or_b32 s24, s24, s22
	s_mul_u64 s[22:23], s[10:11], s[24:25]
	s_add_nc_u64 s[26:27], s[24:25], 1
	s_sub_co_u32 s3, s20, s22
	s_cselect_b32 s7, -1, 0
	s_sub_co_i32 s9, s21, s23
	s_cmp_lg_u32 s7, 0
	s_add_nc_u64 s[28:29], s[24:25], 2
	s_sub_co_ci_u32 s9, s9, s11
	s_sub_co_u32 s14, s3, s10
	s_cselect_b32 s20, -1, 0
	s_delay_alu instid0(SALU_CYCLE_1) | instskip(SKIP_1) | instid1(SALU_CYCLE_1)
	s_cmp_lg_u32 s20, 0
	s_sub_co_ci_u32 s9, s9, 0
	s_cmp_ge_u32 s9, s11
	s_cselect_b32 s20, -1, 0
	s_cmp_ge_u32 s14, s10
	s_cselect_b32 s14, -1, 0
	s_cmp_eq_u32 s9, s11
	s_cselect_b32 s9, s14, s20
	s_delay_alu instid0(SALU_CYCLE_1) | instskip(SKIP_4) | instid1(SALU_CYCLE_1)
	s_cmp_lg_u32 s9, 0
	s_cselect_b32 s9, s28, s26
	s_cselect_b32 s14, s29, s27
	s_cmp_lg_u32 s7, 0
	s_sub_co_ci_u32 s7, s21, s23
	s_cmp_ge_u32 s7, s11
	s_cselect_b32 s20, -1, 0
	s_cmp_ge_u32 s3, s10
	s_cselect_b32 s3, -1, 0
	s_cmp_eq_u32 s7, s11
	s_cselect_b32 s3, s3, s20
	s_delay_alu instid0(SALU_CYCLE_1) | instskip(SKIP_4) | instid1(SALU_CYCLE_1)
	s_cmp_lg_u32 s3, 0
	s_mov_b32 s3, s17
	s_cselect_b32 s11, s14, s25
	s_cselect_b32 s10, s9, s24
	s_xor_b64 s[12:13], s[12:13], 0
	s_xor_b64 s[10:11], s[10:11], s[12:13]
	s_delay_alu instid0(SALU_CYCLE_1)
	s_sub_nc_u64 s[20:21], s[10:11], s[12:13]
	s_and_not1_b32 vcc_lo, exec_lo, s3
	s_cbranch_vccnz .LBB61_3
.LBB61_2:
	v_cvt_f32_u32_e32 v1, s16
	s_sub_co_i32 s7, 0, s16
	s_mov_b32 s21, 0
	s_delay_alu instid0(VALU_DEP_1) | instskip(SKIP_1) | instid1(TRANS32_DEP_1)
	v_rcp_iflag_f32_e32 v1, v1
	v_nop
	v_mul_f32_e32 v1, 0x4f7ffffe, v1
	s_delay_alu instid0(VALU_DEP_1) | instskip(NEXT) | instid1(VALU_DEP_1)
	v_cvt_u32_f32_e32 v1, v1
	v_readfirstlane_b32 s3, v1
	s_mul_i32 s7, s7, s3
	s_delay_alu instid0(SALU_CYCLE_1) | instskip(NEXT) | instid1(SALU_CYCLE_1)
	s_mul_hi_u32 s7, s3, s7
	s_add_co_i32 s3, s3, s7
	s_delay_alu instid0(SALU_CYCLE_1) | instskip(NEXT) | instid1(SALU_CYCLE_1)
	s_mul_hi_u32 s3, s8, s3
	s_mul_i32 s7, s3, s16
	s_delay_alu instid0(SALU_CYCLE_1)
	s_sub_co_i32 s7, s8, s7
	s_add_co_i32 s8, s3, 1
	s_sub_co_i32 s9, s7, s16
	s_cmp_ge_u32 s7, s16
	s_cselect_b32 s3, s8, s3
	s_cselect_b32 s7, s9, s7
	s_add_co_i32 s8, s3, 1
	s_cmp_ge_u32 s7, s16
	s_cselect_b32 s20, s8, s3
.LBB61_3:
	s_add_co_i32 s8, s2, 1
	s_delay_alu instid0(SALU_CYCLE_1) | instskip(NEXT) | instid1(SALU_CYCLE_1)
	s_ashr_i32 s9, s8, 31
	s_mul_u64 s[8:9], s[18:19], s[8:9]
	s_delay_alu instid0(SALU_CYCLE_1) | instskip(NEXT) | instid1(SALU_CYCLE_1)
	s_and_b64 s[10:11], s[8:9], 0xffffffff00000000
	s_cmp_lg_u64 s[10:11], 0
	s_cbranch_scc0 .LBB61_22
; %bb.4:
	s_add_nc_u64 s[10:11], s[16:17], 0
	s_delay_alu instid0(SALU_CYCLE_1) | instskip(SKIP_4) | instid1(SALU_CYCLE_2)
	s_xor_b64 s[12:13], s[10:11], 0
	s_mov_b32 s11, 0
	s_cvt_f32_u32 s3, s12
	s_cvt_f32_u32 s7, s13
	s_sub_nc_u64 s[24:25], 0, s[12:13]
	s_fmamk_f32 s3, s7, 0x4f800000, s3
	s_delay_alu instid0(SALU_CYCLE_3) | instskip(NEXT) | instid1(TRANS32_DEP_1)
	v_s_rcp_f32 s3, s3
	s_mul_f32 s3, s3, 0x5f7ffffc
	s_delay_alu instid0(SALU_CYCLE_3) | instskip(NEXT) | instid1(SALU_CYCLE_3)
	s_mul_f32 s7, s3, 0x2f800000
	s_trunc_f32 s7, s7
	s_delay_alu instid0(SALU_CYCLE_3) | instskip(SKIP_1) | instid1(SALU_CYCLE_2)
	s_fmamk_f32 s3, s7, 0xcf800000, s3
	s_cvt_u32_f32 s23, s7
	s_cvt_u32_f32 s22, s3
	s_delay_alu instid0(SALU_CYCLE_3) | instskip(NEXT) | instid1(SALU_CYCLE_1)
	s_mul_u64 s[26:27], s[24:25], s[22:23]
	s_mul_hi_u32 s29, s22, s27
	s_mul_i32 s28, s22, s27
	s_mul_hi_u32 s10, s22, s26
	s_mul_i32 s7, s23, s26
	s_add_nc_u64 s[28:29], s[10:11], s[28:29]
	s_mul_hi_u32 s3, s23, s26
	s_mul_hi_u32 s14, s23, s27
	s_add_co_u32 s7, s28, s7
	s_add_co_ci_u32 s10, s29, s3
	s_mul_i32 s26, s23, s27
	s_add_co_ci_u32 s27, s14, 0
	s_delay_alu instid0(SALU_CYCLE_1) | instskip(NEXT) | instid1(SALU_CYCLE_1)
	s_add_nc_u64 s[26:27], s[10:11], s[26:27]
	s_add_co_u32 s22, s22, s26
	s_cselect_b32 s3, -1, 0
	s_delay_alu instid0(SALU_CYCLE_1) | instskip(SKIP_1) | instid1(SALU_CYCLE_1)
	s_cmp_lg_u32 s3, 0
	s_add_co_ci_u32 s23, s23, s27
	s_mul_u64 s[24:25], s[24:25], s[22:23]
	s_delay_alu instid0(SALU_CYCLE_1)
	s_mul_hi_u32 s27, s22, s25
	s_mul_i32 s26, s22, s25
	s_mul_hi_u32 s10, s22, s24
	s_mul_i32 s7, s23, s24
	s_add_nc_u64 s[26:27], s[10:11], s[26:27]
	s_mul_hi_u32 s3, s23, s24
	s_mul_hi_u32 s14, s23, s25
	s_add_co_u32 s7, s26, s7
	s_add_co_ci_u32 s10, s27, s3
	s_mul_i32 s24, s23, s25
	s_add_co_ci_u32 s25, s14, 0
	s_delay_alu instid0(SALU_CYCLE_1) | instskip(NEXT) | instid1(SALU_CYCLE_1)
	s_add_nc_u64 s[24:25], s[10:11], s[24:25]
	s_add_co_u32 s3, s22, s24
	s_cselect_b32 s7, -1, 0
	s_delay_alu instid0(SALU_CYCLE_1) | instskip(SKIP_2) | instid1(SALU_CYCLE_1)
	s_cmp_lg_u32 s7, 0
	s_add_co_ci_u32 s7, s23, s25
	s_ashr_i32 s22, s9, 31
	s_mov_b32 s23, s22
	s_delay_alu instid0(SALU_CYCLE_1) | instskip(NEXT) | instid1(SALU_CYCLE_1)
	s_add_nc_u64 s[24:25], s[8:9], s[22:23]
	s_xor_b64 s[24:25], s[24:25], s[22:23]
	s_delay_alu instid0(SALU_CYCLE_1)
	s_mul_hi_u32 s27, s24, s7
	s_mul_i32 s26, s24, s7
	s_mul_hi_u32 s10, s24, s3
	s_mul_hi_u32 s14, s25, s3
	s_mul_i32 s3, s25, s3
	s_add_nc_u64 s[26:27], s[10:11], s[26:27]
	s_mul_hi_u32 s9, s25, s7
	s_add_co_u32 s3, s26, s3
	s_add_co_ci_u32 s10, s27, s14
	s_mul_i32 s28, s25, s7
	s_add_co_ci_u32 s29, s9, 0
	s_delay_alu instid0(SALU_CYCLE_1) | instskip(NEXT) | instid1(SALU_CYCLE_1)
	s_add_nc_u64 s[26:27], s[10:11], s[28:29]
	s_and_b64 s[28:29], s[26:27], 0xffffffff00000000
	s_delay_alu instid0(SALU_CYCLE_1) | instskip(NEXT) | instid1(SALU_CYCLE_1)
	s_or_b32 s28, s28, s26
	s_mul_u64 s[26:27], s[12:13], s[28:29]
	s_add_nc_u64 s[30:31], s[28:29], 1
	s_sub_co_u32 s3, s24, s26
	s_cselect_b32 s7, -1, 0
	s_sub_co_i32 s9, s25, s27
	s_cmp_lg_u32 s7, 0
	s_add_nc_u64 s[34:35], s[28:29], 2
	s_sub_co_ci_u32 s9, s9, s13
	s_sub_co_u32 s10, s3, s12
	s_cselect_b32 s14, -1, 0
	s_delay_alu instid0(SALU_CYCLE_1) | instskip(SKIP_1) | instid1(SALU_CYCLE_1)
	s_cmp_lg_u32 s14, 0
	s_sub_co_ci_u32 s9, s9, 0
	s_cmp_ge_u32 s9, s13
	s_cselect_b32 s14, -1, 0
	s_cmp_ge_u32 s10, s12
	s_cselect_b32 s10, -1, 0
	s_cmp_eq_u32 s9, s13
	s_cselect_b32 s9, s10, s14
	s_delay_alu instid0(SALU_CYCLE_1) | instskip(SKIP_4) | instid1(SALU_CYCLE_1)
	s_cmp_lg_u32 s9, 0
	s_cselect_b32 s9, s34, s30
	s_cselect_b32 s10, s35, s31
	s_cmp_lg_u32 s7, 0
	s_sub_co_ci_u32 s7, s25, s27
	s_cmp_ge_u32 s7, s13
	s_cselect_b32 s14, -1, 0
	s_cmp_ge_u32 s3, s12
	s_cselect_b32 s3, -1, 0
	s_cmp_eq_u32 s7, s13
	s_cselect_b32 s3, s3, s14
	s_delay_alu instid0(SALU_CYCLE_1) | instskip(SKIP_3) | instid1(SALU_CYCLE_1)
	s_cmp_lg_u32 s3, 0
	s_cselect_b32 s13, s10, s29
	s_cselect_b32 s12, s9, s28
	s_xor_b64 s[22:23], s[22:23], 0
	s_xor_b64 s[12:13], s[12:13], s[22:23]
	s_delay_alu instid0(SALU_CYCLE_1)
	s_sub_nc_u64 s[24:25], s[12:13], s[22:23]
	s_load_b96 s[12:14], s[0:1], 0x44
	s_cbranch_execnz .LBB61_6
.LBB61_5:
	v_cvt_f32_u32_e32 v1, s16
	s_sub_co_i32 s7, 0, s16
	s_delay_alu instid0(VALU_DEP_1) | instskip(SKIP_1) | instid1(TRANS32_DEP_1)
	v_rcp_iflag_f32_e32 v1, v1
	v_nop
	v_mul_f32_e32 v1, 0x4f7ffffe, v1
	s_delay_alu instid0(VALU_DEP_1) | instskip(NEXT) | instid1(VALU_DEP_1)
	v_cvt_u32_f32_e32 v1, v1
	v_readfirstlane_b32 s3, v1
	s_mul_i32 s7, s7, s3
	s_delay_alu instid0(SALU_CYCLE_1) | instskip(NEXT) | instid1(SALU_CYCLE_1)
	s_mul_hi_u32 s7, s3, s7
	s_add_co_i32 s3, s3, s7
	s_delay_alu instid0(SALU_CYCLE_1) | instskip(NEXT) | instid1(SALU_CYCLE_1)
	s_mul_hi_u32 s3, s8, s3
	s_mul_i32 s7, s3, s16
	s_delay_alu instid0(SALU_CYCLE_1)
	s_sub_co_i32 s7, s8, s7
	s_add_co_i32 s8, s3, 1
	s_sub_co_i32 s9, s7, s16
	s_cmp_ge_u32 s7, s16
	s_cselect_b32 s3, s8, s3
	s_cselect_b32 s7, s9, s7
	s_add_co_i32 s8, s3, 1
	s_cmp_ge_u32 s7, s16
	s_cselect_b32 s24, s8, s3
.LBB61_6:
	s_delay_alu instid0(SALU_CYCLE_1)
	s_cmp_eq_u32 s20, s24
	s_mov_b64 s[8:9], 0xffffffff
	s_cselect_b32 s3, -1, 0
	s_and_b64 s[8:9], s[20:21], s[8:9]
	s_mov_b32 s23, 0
	s_wait_kmcnt 0x0
	s_mov_b32 s22, s12
	s_mov_b32 s25, s23
	s_mul_u64 s[10:11], s[8:9], s[22:23]
	s_delay_alu instid0(SALU_CYCLE_1) | instskip(SKIP_2) | instid1(SALU_CYCLE_1)
	s_add_co_i32 s7, s11, s20
	s_mul_u64 s[10:11], s[24:25], s[22:23]
	s_lshr_b32 s12, s7, s13
	s_mul_i32 s7, s12, s14
	s_delay_alu instid0(SALU_CYCLE_1) | instskip(SKIP_2) | instid1(SALU_CYCLE_1)
	s_cmp_eq_u32 s7, s20
	s_cselect_b32 s7, -1, 0
	s_add_co_i32 s10, s11, s24
	s_lshr_b32 s10, s10, s13
	s_delay_alu instid0(SALU_CYCLE_1)
	s_cmp_eq_u32 s12, s10
	s_mul_i32 s10, s10, s14
	s_cselect_b32 s11, -1, 0
	s_cmp_lg_u32 s10, s24
	s_cselect_b32 s10, -1, 0
	s_or_b32 s3, s3, s7
	s_and_b32 s10, s11, s10
	s_delay_alu instid0(SALU_CYCLE_1) | instskip(NEXT) | instid1(SALU_CYCLE_1)
	s_or_b32 s3, s3, s10
	s_and_b32 vcc_lo, exec_lo, s3
	s_cbranch_vccnz .LBB61_24
; %bb.7:
	s_load_b256 s[24:31], s[0:1], 0x20
	s_bfe_u32 s7, ttmp6, 0x40014
	s_bfe_u32 s33, ttmp6, 0x40010
	s_lshr_b32 s3, ttmp7, 16
	s_add_co_i32 s7, s7, 1
	s_and_b32 s21, ttmp7, 0xffff
	s_add_co_i32 s33, s33, 1
	s_bfe_u32 s10, ttmp6, 0x40008
	s_mul_i32 s7, s3, s7
	s_bfe_u32 s34, ttmp6, 0x40004
	s_mul_i32 s33, s21, s33
	s_mov_b32 s11, s23
	s_add_co_i32 s7, s10, s7
	s_add_co_i32 s34, s34, s33
	s_cmp_eq_u32 s15, 0
	s_cselect_b32 s15, s21, s34
	s_cselect_b32 s3, s3, s7
	s_wait_kmcnt 0x0
	s_mov_b32 s10, s24
	s_delay_alu instid0(SALU_CYCLE_1) | instskip(SKIP_2) | instid1(SALU_CYCLE_1)
	s_mul_u64 s[8:9], s[8:9], s[10:11]
	s_load_b32 s8, s[0:1], 0x40
	s_add_co_i32 s7, s9, s20
	s_lshr_b32 s7, s7, s25
	s_delay_alu instid0(SALU_CYCLE_1) | instskip(NEXT) | instid1(SALU_CYCLE_1)
	s_mul_i32 s9, s7, s26
	s_sub_co_i32 s9, s20, s9
	s_delay_alu instid0(SALU_CYCLE_1) | instskip(NEXT) | instid1(SALU_CYCLE_1)
	s_mul_hi_u32 s10, s9, s27
	s_add_co_i32 s10, s9, s10
	s_delay_alu instid0(SALU_CYCLE_1) | instskip(NEXT) | instid1(SALU_CYCLE_1)
	s_lshr_b32 s21, s10, s28
	s_mul_i32 s10, s21, s29
	s_delay_alu instid0(SALU_CYCLE_1) | instskip(NEXT) | instid1(SALU_CYCLE_1)
	s_sub_co_i32 s10, s9, s10
	s_mul_hi_u32 s9, s10, s30
	s_delay_alu instid0(SALU_CYCLE_1) | instskip(NEXT) | instid1(SALU_CYCLE_1)
	s_add_co_i32 s9, s10, s9
	s_lshr_b32 s25, s9, s31
	s_mov_b32 s9, s23
	s_wait_kmcnt 0x0
	s_mul_i32 s8, s25, s8
	s_delay_alu instid0(SALU_CYCLE_1) | instskip(NEXT) | instid1(SALU_CYCLE_1)
	s_sub_co_i32 s8, s10, s8
	s_mul_u64 s[10:11], s[8:9], s[22:23]
	s_delay_alu instid0(SALU_CYCLE_1) | instskip(NEXT) | instid1(SALU_CYCLE_1)
	s_add_co_i32 s8, s8, s11
	s_lshr_b32 s24, s8, s13
	s_delay_alu instid0(SALU_CYCLE_1) | instskip(NEXT) | instid1(SALU_CYCLE_1)
	s_lshl_b32 s8, s24, 4
	s_add_co_i32 s8, s8, s15
	s_delay_alu instid0(SALU_CYCLE_1) | instskip(SKIP_2) | instid1(SALU_CYCLE_1)
	s_cmp_lt_i32 s8, s4
	s_cselect_b32 s8, -1, 0
	s_add_co_i32 s25, s25, s3
	s_cmp_lt_i32 s25, s6
	s_cselect_b32 s9, -1, 0
	s_delay_alu instid0(SALU_CYCLE_1) | instskip(NEXT) | instid1(SALU_CYCLE_1)
	s_and_b32 s8, s8, s9
	s_and_not1_b32 vcc_lo, exec_lo, s8
	s_cbranch_vccnz .LBB61_24
; %bb.8:
	s_load_b128 s[8:11], s[0:1], 0x0
	s_wait_xcnt 0x0
	s_mul_i32 s0, s7, s4
	s_mul_i32 s21, s21, s6
	s_add_co_i32 s0, s0, s15
	s_add_co_i32 s1, s25, s21
	s_mul_i32 s0, s0, s5
	s_mul_i32 s4, s5, s24
	s_add_co_i32 s0, s1, s0
	s_mulk_i32 s4, 0x600
	s_mulk_i32 s0, 0x60
	s_add_co_i32 s15, s15, s3
	v_add3_u32 v2, s4, s0, v0
	s_add_nc_u64 s[0:1], s[16:17], 0
	v_cvt_f32_u32_e32 v4, s16
	s_xor_b64 s[6:7], s[0:1], 0
	s_lshl_b32 s0, s2, 4
	s_cvt_f32_u32 s3, s6
	s_cvt_f32_u32 s4, s7
	s_add_co_i32 s0, s0, s15
	v_rcp_iflag_f32_e32 v4, v4
	s_wait_kmcnt 0x0
	global_load_b32 v1, v2, s[8:9] scale_offset
	s_fmamk_f32 s3, s4, 0x4f800000, s3
	s_ashr_i32 s1, s0, 31
	s_lshl_b32 s24, s16, 6
	s_lshl_b64 s[0:1], s[0:1], 3
	v_s_rcp_f32 s3, s3
	s_add_nc_u64 s[0:1], s[10:11], s[0:1]
	s_mov_b32 s25, 0
	s_load_b64 s[28:29], s[0:1], 0x0
	v_mad_u32 v6, 0x60, s15, v0
	v_dual_mul_f32 v4, 0x4f7ffffe, v4 :: v_dual_ashrrev_i32 v3, 31, v2
	s_wait_xcnt 0x0
	s_lshl_b64 s[0:1], s[24:25], 2
	s_mul_f32 s3, s3, 0x5f7ffffc
	s_add_nc_u64 s[26:27], s[10:11], s[0:1]
	v_lshl_add_u64 v[2:3], v[2:3], 2, s[8:9]
	v_cvt_u32_f32_e32 v7, v4
	s_mul_f32 s4, s3, 0x2f800000
	s_mov_b64 s[8:9], 0xffffffff
	s_add_co_i32 s36, s2, -1
	s_sub_nc_u64 s[34:35], 0, s[6:7]
	s_trunc_f32 s4, s4
	s_delay_alu instid0(SALU_CYCLE_3)
	s_fmamk_f32 s0, s4, 0xcf800000, s3
	s_cvt_u32_f32 s31, s4
	s_wait_kmcnt 0x0
	v_mov_b32_e32 v0, s29
	s_cvt_u32_f32 s30, s0
.LBB61_9:                               ; =>This Inner Loop Header: Depth=1
	s_ashr_i32 s37, s36, 31
                                        ; implicit-def: $sgpr40_sgpr41
	s_delay_alu instid0(SALU_CYCLE_1) | instskip(NEXT) | instid1(SALU_CYCLE_1)
	s_mul_u64 s[0:1], s[36:37], s[18:19]
	s_and_b64 s[2:3], s[0:1], 0xffffffff00000000
	s_delay_alu instid0(SALU_CYCLE_1)
	s_cmp_lg_u64 s[2:3], 0
	s_mov_b32 s2, -1
	s_cbranch_scc0 .LBB61_11
; %bb.10:                               ;   in Loop: Header=BB61_9 Depth=1
	s_mul_u64 s[2:3], s[34:35], s[30:31]
	s_delay_alu instid0(SALU_CYCLE_1)
	s_mul_hi_u32 s5, s30, s3
	s_mul_i32 s4, s30, s3
	s_mul_hi_u32 s24, s30, s2
	s_mul_hi_u32 s17, s31, s2
	s_add_nc_u64 s[4:5], s[24:25], s[4:5]
	s_mul_i32 s2, s31, s2
	s_mul_hi_u32 s21, s31, s3
	s_add_co_u32 s2, s4, s2
	s_add_co_ci_u32 s24, s5, s17
	s_add_co_ci_u32 s5, s21, 0
	s_mul_i32 s4, s31, s3
	s_delay_alu instid0(SALU_CYCLE_1) | instskip(NEXT) | instid1(SALU_CYCLE_1)
	s_add_nc_u64 s[2:3], s[24:25], s[4:5]
	s_add_co_u32 s2, s30, s2
	s_cselect_b32 s4, -1, 0
	s_delay_alu instid0(SALU_CYCLE_1) | instskip(SKIP_1) | instid1(SALU_CYCLE_1)
	s_cmp_lg_u32 s4, 0
	s_add_co_ci_u32 s3, s31, s3
	s_mul_u64 s[4:5], s[34:35], s[2:3]
	s_delay_alu instid0(SALU_CYCLE_1)
	s_mul_hi_u32 s39, s2, s5
	s_mul_i32 s38, s2, s5
	s_mul_hi_u32 s24, s2, s4
	s_mul_hi_u32 s17, s3, s4
	s_mul_i32 s4, s3, s4
	s_add_nc_u64 s[38:39], s[24:25], s[38:39]
	s_mul_hi_u32 s21, s3, s5
	s_add_co_u32 s4, s38, s4
	s_add_co_ci_u32 s24, s39, s17
	s_mul_i32 s4, s3, s5
	s_add_co_ci_u32 s5, s21, 0
	s_delay_alu instid0(SALU_CYCLE_1) | instskip(NEXT) | instid1(SALU_CYCLE_1)
	s_add_nc_u64 s[4:5], s[24:25], s[4:5]
	s_add_co_u32 s17, s2, s4
	s_cselect_b32 s2, -1, 0
	s_delay_alu instid0(SALU_CYCLE_1) | instskip(SKIP_2) | instid1(SALU_CYCLE_1)
	s_cmp_lg_u32 s2, 0
	s_add_co_ci_u32 s21, s3, s5
	s_ashr_i32 s2, s1, 31
	s_mov_b32 s3, s2
	s_delay_alu instid0(SALU_CYCLE_1) | instskip(NEXT) | instid1(SALU_CYCLE_1)
	s_add_nc_u64 s[4:5], s[0:1], s[2:3]
	s_xor_b64 s[4:5], s[4:5], s[2:3]
	s_delay_alu instid0(SALU_CYCLE_1)
	s_mul_hi_u32 s39, s4, s21
	s_mul_i32 s38, s4, s21
	s_mul_hi_u32 s24, s4, s17
	s_mul_hi_u32 s29, s5, s17
	s_mul_i32 s17, s5, s17
	s_add_nc_u64 s[38:39], s[24:25], s[38:39]
	s_mul_hi_u32 s1, s5, s21
	s_add_co_u32 s17, s38, s17
	s_add_co_ci_u32 s24, s39, s29
	s_mul_i32 s40, s5, s21
	s_add_co_ci_u32 s41, s1, 0
	s_delay_alu instid0(SALU_CYCLE_1) | instskip(NEXT) | instid1(SALU_CYCLE_1)
	s_add_nc_u64 s[38:39], s[24:25], s[40:41]
	s_and_b64 s[40:41], s[38:39], 0xffffffff00000000
	s_delay_alu instid0(SALU_CYCLE_1) | instskip(NEXT) | instid1(SALU_CYCLE_1)
	s_or_b32 s40, s40, s38
	s_mul_u64 s[38:39], s[6:7], s[40:41]
	s_add_nc_u64 s[42:43], s[40:41], 1
	s_sub_co_u32 s1, s4, s38
	s_cselect_b32 s4, -1, 0
	s_sub_co_i32 s17, s5, s39
	s_cmp_lg_u32 s4, 0
	s_add_nc_u64 s[44:45], s[40:41], 2
	s_sub_co_ci_u32 s17, s17, s7
	s_sub_co_u32 s21, s1, s6
	s_cselect_b32 s24, -1, 0
	s_delay_alu instid0(SALU_CYCLE_1) | instskip(SKIP_1) | instid1(SALU_CYCLE_1)
	s_cmp_lg_u32 s24, 0
	s_sub_co_ci_u32 s17, s17, 0
	s_cmp_ge_u32 s17, s7
	s_cselect_b32 s24, -1, 0
	s_cmp_ge_u32 s21, s6
	s_cselect_b32 s21, -1, 0
	s_cmp_eq_u32 s17, s7
	s_cselect_b32 s17, s21, s24
	s_delay_alu instid0(SALU_CYCLE_1) | instskip(SKIP_4) | instid1(SALU_CYCLE_1)
	s_cmp_lg_u32 s17, 0
	s_cselect_b32 s17, s44, s42
	s_cselect_b32 s21, s45, s43
	s_cmp_lg_u32 s4, 0
	s_sub_co_ci_u32 s4, s5, s39
	s_cmp_ge_u32 s4, s7
	s_cselect_b32 s5, -1, 0
	s_cmp_ge_u32 s1, s6
	s_cselect_b32 s1, -1, 0
	s_cmp_eq_u32 s4, s7
	s_cselect_b32 s1, s1, s5
	s_delay_alu instid0(SALU_CYCLE_1) | instskip(SKIP_3) | instid1(SALU_CYCLE_1)
	s_cmp_lg_u32 s1, 0
	s_cselect_b32 s5, s21, s41
	s_cselect_b32 s4, s17, s40
	s_xor_b64 s[2:3], s[2:3], 0
	s_xor_b64 s[4:5], s[4:5], s[2:3]
	s_delay_alu instid0(SALU_CYCLE_1)
	s_sub_nc_u64 s[40:41], s[4:5], s[2:3]
	s_mov_b32 s2, 0
.LBB61_11:                              ;   in Loop: Header=BB61_9 Depth=1
	s_delay_alu instid0(SALU_CYCLE_1)
	s_and_not1_b32 vcc_lo, exec_lo, s2
	s_cbranch_vccnz .LBB61_13
; %bb.12:                               ;   in Loop: Header=BB61_9 Depth=1
	v_readfirstlane_b32 s1, v7
	s_sub_co_i32 s2, 0, s16
	s_delay_alu instid0(SALU_CYCLE_1) | instskip(NEXT) | instid1(SALU_CYCLE_1)
	s_mul_i32 s2, s2, s1
	s_mul_hi_u32 s2, s1, s2
	s_delay_alu instid0(SALU_CYCLE_1) | instskip(NEXT) | instid1(SALU_CYCLE_1)
	s_add_co_i32 s1, s1, s2
	s_mul_hi_u32 s1, s0, s1
	s_delay_alu instid0(SALU_CYCLE_1) | instskip(NEXT) | instid1(SALU_CYCLE_1)
	s_mul_i32 s2, s1, s16
	s_sub_co_i32 s0, s0, s2
	s_add_co_i32 s2, s1, 1
	s_sub_co_i32 s3, s0, s16
	s_cmp_ge_u32 s0, s16
	s_cselect_b32 s1, s2, s1
	s_cselect_b32 s0, s3, s0
	s_add_co_i32 s2, s1, 1
	s_cmp_ge_u32 s0, s16
	s_cselect_b32 s24, s2, s1
	s_delay_alu instid0(SALU_CYCLE_1)
	s_mov_b64 s[40:41], s[24:25]
.LBB61_13:                              ;   in Loop: Header=BB61_9 Depth=1
	s_delay_alu instid0(SALU_CYCLE_1)
	s_cmp_lg_u32 s20, s40
	s_mov_b32 s0, -1
                                        ; implicit-def: $vgpr4_vgpr5
                                        ; implicit-def: $sgpr24
                                        ; implicit-def: $sgpr17
                                        ; implicit-def: $sgpr21
                                        ; implicit-def: $sgpr29
	s_cbranch_scc0 .LBB61_18
; %bb.14:                               ;   in Loop: Header=BB61_9 Depth=1
	s_add_co_i32 s0, s36, s16
	v_max_num_f32_e64 v4, s28, s28
	s_lshl_b32 s0, s0, 4
	s_mov_b32 s29, s20
	s_add_co_i32 s0, s0, s15
	s_load_b64 s[38:39], s[10:11], s0 offset:0x0 scale_offset
	s_wait_xcnt 0x0
	v_readfirstlane_b32 s0, v4
	s_wait_kmcnt 0x0
	v_max_num_f32_e64 v5, s38, s38
	s_delay_alu instid0(VALU_DEP_1) | instskip(SKIP_1) | instid1(SALU_CYCLE_3)
	v_readfirstlane_b32 s1, v5
	s_max_num_f32 s17, s0, s1
	s_sub_f32 s33, s28, s17
	s_sub_f32 s37, s38, s17
	s_delay_alu instid0(SALU_CYCLE_2)
	s_cmp_nlt_f32 s33, 0xc2ce8ed0
	s_cselect_b32 s1, -1, 0
	s_cmp_ngt_f32 s33, 0x42b17218
	s_cselect_b32 s2, -1, 0
	s_cmp_ge_f32 s33, 0xc1a00000
	s_cselect_b32 s0, -1, 0
	s_cmp_nlt_f32 s37, 0xc2ce8ed0
	s_cselect_b32 s3, -1, 0
	s_cmp_ngt_f32 s37, 0x42b17218
	s_cselect_b32 s4, -1, 0
	s_cmp_ge_f32 s37, 0xc1a00000
	s_cselect_b32 s5, -1, 0
	s_and_b64 s[42:43], s[40:41], s[8:9]
	s_delay_alu instid0(SALU_CYCLE_1) | instskip(NEXT) | instid1(SALU_CYCLE_1)
	s_mul_u64 s[42:43], s[42:43], s[22:23]
	s_add_co_i32 s21, s43, s40
	s_delay_alu instid0(SALU_CYCLE_1) | instskip(NEXT) | instid1(SALU_CYCLE_1)
	s_lshr_b32 s21, s21, s13
	s_mul_i32 s24, s21, s14
	s_delay_alu instid0(SALU_CYCLE_1) | instskip(SKIP_3) | instid1(SALU_CYCLE_1)
	s_cmp_eq_u32 s24, s40
	s_cselect_b32 s24, -1, 0
	s_cmp_lt_u32 s21, s12
	s_cselect_b32 s21, -1, 0
	s_or_b32 s21, s21, s24
	s_mov_b32 s24, -1
	s_and_b32 vcc_lo, exec_lo, s21
	s_mov_b32 s21, s36
	s_cbranch_vccnz .LBB61_16
; %bb.15:                               ;   in Loop: Header=BB61_9 Depth=1
	s_add_co_i32 s21, s36, -1
	s_mov_b32 s24, 0
	s_mov_b32 s29, s40
.LBB61_16:                              ;   in Loop: Header=BB61_9 Depth=1
	v_mad_u32 v4, 0x600, s36, v6
	s_mul_f32 s40, s33, 0x3fb8aa3b
	s_mul_f32 s38, s37, 0x3fb8aa3b
	s_delay_alu instid0(SALU_CYCLE_2)
	s_xor_b32 s42, s40, 0x80000000
	s_rndne_f32 s44, s40
	s_fmamk_f32 s42, s33, 0x3fb8aa3b, s42
	s_xor_b32 s41, s38, 0x80000000
	s_rndne_f32 s43, s38
	s_sub_f32 s40, s40, s44
	global_load_b32 v5, v4, s[26:27] scale_offset
	s_fmamk_f32 s33, s33, 0x32a5705f, s42
	s_fmamk_f32 s41, s37, 0x3fb8aa3b, s41
	s_sub_f32 s38, s38, s43
	s_delay_alu instid0(SALU_CYCLE_1) | instskip(NEXT) | instid1(SALU_CYCLE_1)
	s_add_f32 s33, s40, s33
	s_fmamk_f32 s37, s37, 0x32a5705f, s41
	s_cvt_i32_f32 s40, s44
	s_delay_alu instid0(SALU_CYCLE_1) | instskip(NEXT) | instid1(SALU_CYCLE_1)
	v_s_exp_f32 s33, s33
	s_add_f32 s37, s38, s37
	s_cvt_i32_f32 s38, s43
	s_delay_alu instid0(SALU_CYCLE_2) | instskip(NEXT) | instid1(TRANS32_DEP_2)
	v_s_exp_f32 s37, s37
	v_ldexp_f32 v8, s33, s40
	s_wait_xcnt 0x0
	s_delay_alu instid0(TRANS32_DEP_1) | instskip(NEXT) | instid1(VALU_DEP_2)
	v_ldexp_f32 v4, s37, s38
	v_cndmask_b32_e64 v8, 0, v8, s1
	s_delay_alu instid0(VALU_DEP_1) | instskip(NEXT) | instid1(VALU_DEP_1)
	v_cndmask_b32_e64 v9, 0x7f800000, v8, s2
	v_dual_cndmask_b32 v4, 0, v4, s3 :: v_dual_cndmask_b32 v10, 0, v9, s0
	s_delay_alu instid0(VALU_DEP_1) | instskip(NEXT) | instid1(VALU_DEP_1)
	v_cndmask_b32_e64 v4, 0x7f800000, v4, s4
	v_dual_cndmask_b32 v8, 0, v4, s5 :: v_dual_mov_b32 v4, s39
	s_wait_loadcnt 0x0
	s_delay_alu instid0(VALU_DEP_1) | instskip(NEXT) | instid1(VALU_DEP_1)
	v_pk_mul_f32 v[4:5], v[4:5], v[8:9] op_sel_hi:[1,0]
	v_pk_fma_f32 v[4:5], v[0:1], v[10:11], v[4:5] op_sel_hi:[1,0,1]
	s_cbranch_execz .LBB61_19
.LBB61_17:                              ;   in Loop: Header=BB61_9 Depth=1
	s_and_not1_b32 vcc_lo, exec_lo, s24
	s_cbranch_vccnz .LBB61_20
	s_branch .LBB61_23
.LBB61_18:                              ;   in Loop: Header=BB61_9 Depth=1
	s_and_not1_b32 vcc_lo, exec_lo, s0
	s_cbranch_vccnz .LBB61_17
.LBB61_19:                              ;   in Loop: Header=BB61_9 Depth=1
	s_wait_loadcnt 0x0
	v_mov_b64_e32 v[4:5], v[0:1]
	s_add_co_i32 s21, s36, -1
	s_mov_b32 s29, s20
	s_mov_b32 s17, s28
	s_cbranch_execz .LBB61_23
.LBB61_20:                              ;   in Loop: Header=BB61_9 Depth=1
	s_wait_loadcnt 0x0
	s_delay_alu instid0(VALU_DEP_1)
	v_mov_b64_e32 v[0:1], v[4:5]
	s_mov_b32 s20, s29
	s_mov_b32 s36, s21
	s_mov_b32 s28, s17
	s_branch .LBB61_9
.LBB61_21:
                                        ; implicit-def: $sgpr20_sgpr21
	s_branch .LBB61_2
.LBB61_22:
                                        ; implicit-def: $sgpr24_sgpr25
	s_load_b96 s[12:14], s[0:1], 0x44
	s_branch .LBB61_5
.LBB61_23:
	s_delay_alu instid0(VALU_DEP_1) | instskip(SKIP_1) | instid1(VALU_DEP_1)
	v_div_scale_f32 v0, null, v4, v4, v5
	s_wait_loadcnt 0x0
	v_rcp_f32_e32 v1, v0
	v_nop
	s_delay_alu instid0(TRANS32_DEP_1) | instskip(NEXT) | instid1(VALU_DEP_1)
	v_fma_f32 v6, -v0, v1, 1.0
	v_fmac_f32_e32 v1, v6, v1
	v_div_scale_f32 v6, vcc_lo, v5, v4, v5
	s_delay_alu instid0(VALU_DEP_1) | instskip(NEXT) | instid1(VALU_DEP_1)
	v_mul_f32_e32 v7, v6, v1
	v_fma_f32 v8, -v0, v7, v6
	s_delay_alu instid0(VALU_DEP_1) | instskip(NEXT) | instid1(VALU_DEP_1)
	v_fmac_f32_e32 v7, v8, v1
	v_fma_f32 v0, -v0, v7, v6
	s_delay_alu instid0(VALU_DEP_1) | instskip(NEXT) | instid1(VALU_DEP_1)
	v_div_fmas_f32 v0, v0, v1, v7
	v_div_fixup_f32 v0, v0, v4, v5
	global_store_b32 v[2:3], v0, off
.LBB61_24:
	s_endpgm
	.section	.rodata,"a",@progbits
	.p2align	6, 0x0
	.amdhsa_kernel _ZL33flash_attn_stream_k_fixup_generalILi96ELi16ELi1EEvPfPK15HIP_vector_typeIfLj2EEiiiiS1_IjLj3EES5_S5_S5_
		.amdhsa_group_segment_fixed_size 0
		.amdhsa_private_segment_fixed_size 0
		.amdhsa_kernarg_size 336
		.amdhsa_user_sgpr_count 2
		.amdhsa_user_sgpr_dispatch_ptr 0
		.amdhsa_user_sgpr_queue_ptr 0
		.amdhsa_user_sgpr_kernarg_segment_ptr 1
		.amdhsa_user_sgpr_dispatch_id 0
		.amdhsa_user_sgpr_kernarg_preload_length 0
		.amdhsa_user_sgpr_kernarg_preload_offset 0
		.amdhsa_user_sgpr_private_segment_size 0
		.amdhsa_wavefront_size32 1
		.amdhsa_uses_dynamic_stack 0
		.amdhsa_enable_private_segment 0
		.amdhsa_system_sgpr_workgroup_id_x 1
		.amdhsa_system_sgpr_workgroup_id_y 1
		.amdhsa_system_sgpr_workgroup_id_z 1
		.amdhsa_system_sgpr_workgroup_info 0
		.amdhsa_system_vgpr_workitem_id 0
		.amdhsa_next_free_vgpr 12
		.amdhsa_next_free_sgpr 46
		.amdhsa_named_barrier_count 0
		.amdhsa_reserve_vcc 1
		.amdhsa_float_round_mode_32 0
		.amdhsa_float_round_mode_16_64 0
		.amdhsa_float_denorm_mode_32 3
		.amdhsa_float_denorm_mode_16_64 3
		.amdhsa_fp16_overflow 0
		.amdhsa_memory_ordered 1
		.amdhsa_forward_progress 1
		.amdhsa_inst_pref_size 27
		.amdhsa_round_robin_scheduling 0
		.amdhsa_exception_fp_ieee_invalid_op 0
		.amdhsa_exception_fp_denorm_src 0
		.amdhsa_exception_fp_ieee_div_zero 0
		.amdhsa_exception_fp_ieee_overflow 0
		.amdhsa_exception_fp_ieee_underflow 0
		.amdhsa_exception_fp_ieee_inexact 0
		.amdhsa_exception_int_div_zero 0
	.end_amdhsa_kernel
	.section	.text._ZL33flash_attn_stream_k_fixup_generalILi96ELi16ELi1EEvPfPK15HIP_vector_typeIfLj2EEiiiiS1_IjLj3EES5_S5_S5_,"axG",@progbits,_ZL33flash_attn_stream_k_fixup_generalILi96ELi16ELi1EEvPfPK15HIP_vector_typeIfLj2EEiiiiS1_IjLj3EES5_S5_S5_,comdat
.Lfunc_end61:
	.size	_ZL33flash_attn_stream_k_fixup_generalILi96ELi16ELi1EEvPfPK15HIP_vector_typeIfLj2EEiiiiS1_IjLj3EES5_S5_S5_, .Lfunc_end61-_ZL33flash_attn_stream_k_fixup_generalILi96ELi16ELi1EEvPfPK15HIP_vector_typeIfLj2EEiiiiS1_IjLj3EES5_S5_S5_
                                        ; -- End function
	.set _ZL33flash_attn_stream_k_fixup_generalILi96ELi16ELi1EEvPfPK15HIP_vector_typeIfLj2EEiiiiS1_IjLj3EES5_S5_S5_.num_vgpr, 12
	.set _ZL33flash_attn_stream_k_fixup_generalILi96ELi16ELi1EEvPfPK15HIP_vector_typeIfLj2EEiiiiS1_IjLj3EES5_S5_S5_.num_agpr, 0
	.set _ZL33flash_attn_stream_k_fixup_generalILi96ELi16ELi1EEvPfPK15HIP_vector_typeIfLj2EEiiiiS1_IjLj3EES5_S5_S5_.numbered_sgpr, 46
	.set _ZL33flash_attn_stream_k_fixup_generalILi96ELi16ELi1EEvPfPK15HIP_vector_typeIfLj2EEiiiiS1_IjLj3EES5_S5_S5_.num_named_barrier, 0
	.set _ZL33flash_attn_stream_k_fixup_generalILi96ELi16ELi1EEvPfPK15HIP_vector_typeIfLj2EEiiiiS1_IjLj3EES5_S5_S5_.private_seg_size, 0
	.set _ZL33flash_attn_stream_k_fixup_generalILi96ELi16ELi1EEvPfPK15HIP_vector_typeIfLj2EEiiiiS1_IjLj3EES5_S5_S5_.uses_vcc, 1
	.set _ZL33flash_attn_stream_k_fixup_generalILi96ELi16ELi1EEvPfPK15HIP_vector_typeIfLj2EEiiiiS1_IjLj3EES5_S5_S5_.uses_flat_scratch, 0
	.set _ZL33flash_attn_stream_k_fixup_generalILi96ELi16ELi1EEvPfPK15HIP_vector_typeIfLj2EEiiiiS1_IjLj3EES5_S5_S5_.has_dyn_sized_stack, 0
	.set _ZL33flash_attn_stream_k_fixup_generalILi96ELi16ELi1EEvPfPK15HIP_vector_typeIfLj2EEiiiiS1_IjLj3EES5_S5_S5_.has_recursion, 0
	.set _ZL33flash_attn_stream_k_fixup_generalILi96ELi16ELi1EEvPfPK15HIP_vector_typeIfLj2EEiiiiS1_IjLj3EES5_S5_S5_.has_indirect_call, 0
	.section	.AMDGPU.csdata,"",@progbits
; Kernel info:
; codeLenInByte = 3344
; TotalNumSgprs: 48
; NumVgprs: 12
; ScratchSize: 0
; MemoryBound: 0
; FloatMode: 240
; IeeeMode: 1
; LDSByteSize: 0 bytes/workgroup (compile time only)
; SGPRBlocks: 0
; VGPRBlocks: 0
; NumSGPRsForWavesPerEU: 48
; NumVGPRsForWavesPerEU: 12
; NamedBarCnt: 0
; Occupancy: 16
; WaveLimiterHint : 0
; COMPUTE_PGM_RSRC2:SCRATCH_EN: 0
; COMPUTE_PGM_RSRC2:USER_SGPR: 2
; COMPUTE_PGM_RSRC2:TRAP_HANDLER: 0
; COMPUTE_PGM_RSRC2:TGID_X_EN: 1
; COMPUTE_PGM_RSRC2:TGID_Y_EN: 1
; COMPUTE_PGM_RSRC2:TGID_Z_EN: 1
; COMPUTE_PGM_RSRC2:TIDIG_COMP_CNT: 0
	.section	.text._ZL15flash_attn_tileILi96ELi96ELi8ELi1ELb0EEvPKcS1_S1_S1_S1_PKiPfP15HIP_vector_typeIfLj2EEffffjfiS5_IjLj3EEiiiiiiiiiiiliiliiiiil,"axG",@progbits,_ZL15flash_attn_tileILi96ELi96ELi8ELi1ELb0EEvPKcS1_S1_S1_S1_PKiPfP15HIP_vector_typeIfLj2EEffffjfiS5_IjLj3EEiiiiiiiiiiiliiliiiiil,comdat
	.globl	_ZL15flash_attn_tileILi96ELi96ELi8ELi1ELb0EEvPKcS1_S1_S1_S1_PKiPfP15HIP_vector_typeIfLj2EEffffjfiS5_IjLj3EEiiiiiiiiiiiliiliiiiil ; -- Begin function _ZL15flash_attn_tileILi96ELi96ELi8ELi1ELb0EEvPKcS1_S1_S1_S1_PKiPfP15HIP_vector_typeIfLj2EEffffjfiS5_IjLj3EEiiiiiiiiiiiliiliiiiil
	.p2align	8
	.type	_ZL15flash_attn_tileILi96ELi96ELi8ELi1ELb0EEvPKcS1_S1_S1_S1_PKiPfP15HIP_vector_typeIfLj2EEffffjfiS5_IjLj3EEiiiiiiiiiiiliiliiiiil,@function
_ZL15flash_attn_tileILi96ELi96ELi8ELi1ELb0EEvPKcS1_S1_S1_S1_PKiPfP15HIP_vector_typeIfLj2EEffffjfiS5_IjLj3EEiiiiiiiiiiiliiliiiiil: ; @_ZL15flash_attn_tileILi96ELi96ELi8ELi1ELb0EEvPKcS1_S1_S1_S1_PKiPfP15HIP_vector_typeIfLj2EEffffjfiS5_IjLj3EEiiiiiiiiiiiliiliiiiil
; %bb.0:
	s_clause 0x1
	s_load_b128 s[20:23], s[0:1], 0x5c
	s_load_b64 s[34:35], s[0:1], 0x80
	s_bfe_u32 s4, ttmp6, 0x40014
	s_lshr_b32 s3, ttmp7, 16
	s_add_co_i32 s4, s4, 1
	s_bfe_u32 s5, ttmp6, 0x40008
	s_mul_i32 s4, s3, s4
	s_getreg_b32 s38, hwreg(HW_REG_IB_STS2, 6, 4)
	s_add_co_i32 s5, s5, s4
	s_mov_b32 s37, 0
	s_mov_b64 s[30:31], 0
	s_wait_kmcnt 0x0
	s_cvt_f32_u32 s2, s23
	s_sub_co_i32 s6, 0, s23
	s_delay_alu instid0(SALU_CYCLE_2) | instskip(SKIP_1) | instid1(TRANS32_DEP_1)
	v_rcp_iflag_f32_e32 v1, s2
	v_nop
	v_readfirstlane_b32 s2, v1
	s_mul_f32 s2, s2, 0x4f7ffffe
	s_delay_alu instid0(SALU_CYCLE_3) | instskip(NEXT) | instid1(SALU_CYCLE_3)
	s_cvt_u32_f32 s2, s2
	s_mul_i32 s6, s6, s2
	s_delay_alu instid0(SALU_CYCLE_1) | instskip(NEXT) | instid1(SALU_CYCLE_1)
	s_mul_hi_u32 s6, s2, s6
	s_add_co_i32 s2, s2, s6
	s_cmp_eq_u32 s38, 0
	s_cselect_b32 s3, s3, s5
	s_delay_alu instid0(SALU_CYCLE_1) | instskip(NEXT) | instid1(SALU_CYCLE_1)
	s_mul_hi_u32 s2, s3, s2
	s_mul_i32 s4, s2, s23
	s_add_co_i32 s5, s2, 1
	s_sub_co_i32 s4, s3, s4
	s_delay_alu instid0(SALU_CYCLE_1)
	s_sub_co_i32 s6, s4, s23
	s_cmp_ge_u32 s4, s23
	s_cselect_b32 s2, s5, s2
	s_cselect_b32 s4, s6, s4
	s_add_co_i32 s5, s2, 1
	s_cmp_ge_u32 s4, s23
	s_cselect_b32 s28, s5, s2
	s_abs_i32 s2, s35
	s_abs_i32 s7, s23
	s_cvt_f32_u32 s4, s2
	s_sub_co_i32 s5, 0, s2
	s_xor_b32 s6, s23, s35
	s_delay_alu instid0(SALU_CYCLE_1) | instskip(SKIP_2) | instid1(TRANS32_DEP_1)
	v_rcp_iflag_f32_e32 v1, s4
	s_ashr_i32 s6, s6, 31
	v_nop
	v_readfirstlane_b32 s4, v1
	s_mul_f32 s4, s4, 0x4f7ffffe
	s_delay_alu instid0(SALU_CYCLE_3) | instskip(NEXT) | instid1(SALU_CYCLE_3)
	s_cvt_u32_f32 s4, s4
	s_mul_i32 s5, s5, s4
	s_delay_alu instid0(SALU_CYCLE_1) | instskip(NEXT) | instid1(SALU_CYCLE_1)
	s_mul_hi_u32 s5, s4, s5
	s_add_co_i32 s4, s4, s5
	s_mul_i32 s5, s28, s23
	s_mul_hi_u32 s4, s7, s4
	s_sub_co_i32 s33, s3, s5
	s_mul_i32 s8, s4, s2
	s_add_co_i32 s5, s4, 1
	s_sub_co_i32 s3, s7, s8
	s_delay_alu instid0(SALU_CYCLE_1)
	s_sub_co_i32 s7, s3, s2
	s_cmp_ge_u32 s3, s2
	s_cselect_b32 s4, s5, s4
	s_cselect_b32 s3, s7, s3
	s_add_co_i32 s5, s4, 1
	s_cmp_ge_u32 s3, s2
	s_cselect_b32 s2, s5, s4
	s_delay_alu instid0(SALU_CYCLE_1) | instskip(NEXT) | instid1(SALU_CYCLE_1)
	s_xor_b32 s2, s2, s6
	s_sub_co_i32 s29, s2, s6
	s_delay_alu instid0(SALU_CYCLE_1) | instskip(NEXT) | instid1(SALU_CYCLE_1)
	s_abs_i32 s39, s29
	s_cvt_f32_u32 s2, s39
	s_delay_alu instid0(SALU_CYCLE_3) | instskip(SKIP_4) | instid1(TRANS32_DEP_1)
	v_rcp_iflag_f32_e32 v1, s2
	s_clause 0x1
	s_load_b512 s[4:19], s[0:1], 0x0
	s_load_b64 s[2:3], s[0:1], 0xb8
	v_nop
	v_readfirstlane_b32 s24, v1
	s_mul_f32 s24, s24, 0x4f7ffffe
	s_delay_alu instid0(SALU_CYCLE_3) | instskip(SKIP_4) | instid1(SALU_CYCLE_1)
	s_cvt_u32_f32 s35, s24
	s_sub_co_i32 s24, 0, s39
	s_wait_kmcnt 0x0
	s_cmp_eq_u64 s[10:11], 0
	s_mul_i32 s24, s24, s35
	s_mul_hi_u32 s40, s35, s24
	s_cbranch_scc1 .LBB62_2
; %bb.1:
	s_abs_i32 s2, s2
	s_abs_i32 s26, s28
	s_cvt_f32_u32 s24, s2
	s_sub_co_i32 s25, 0, s2
	s_delay_alu instid0(SALU_CYCLE_2) | instskip(SKIP_1) | instid1(TRANS32_DEP_1)
	v_rcp_iflag_f32_e32 v1, s24
	v_nop
	v_readfirstlane_b32 s24, v1
	s_mul_f32 s24, s24, 0x4f7ffffe
	s_delay_alu instid0(SALU_CYCLE_3) | instskip(NEXT) | instid1(SALU_CYCLE_3)
	s_cvt_u32_f32 s24, s24
	s_mul_i32 s25, s25, s24
	s_delay_alu instid0(SALU_CYCLE_1) | instskip(NEXT) | instid1(SALU_CYCLE_1)
	s_mul_hi_u32 s25, s24, s25
	s_add_co_i32 s24, s24, s25
	s_delay_alu instid0(SALU_CYCLE_1) | instskip(SKIP_2) | instid1(SALU_CYCLE_1)
	s_mul_hi_u32 s27, s26, s24
	s_load_b64 s[24:25], s[0:1], 0xc8
	s_mul_i32 s27, s27, s2
	s_sub_co_i32 s26, s26, s27
	s_ashr_i32 s27, s28, 31
	s_sub_co_i32 s30, s26, s2
	s_cmp_ge_u32 s26, s2
	s_cselect_b32 s26, s30, s26
	s_delay_alu instid0(SALU_CYCLE_1) | instskip(SKIP_2) | instid1(SALU_CYCLE_1)
	s_sub_co_i32 s30, s26, s2
	s_cmp_ge_u32 s26, s2
	s_cselect_b32 s2, s30, s26
	s_xor_b32 s2, s2, s27
	s_delay_alu instid0(SALU_CYCLE_1) | instskip(NEXT) | instid1(SALU_CYCLE_1)
	s_sub_co_i32 s26, s2, s27
	s_ashr_i32 s27, s26, 31
	s_wait_kmcnt 0x0
	s_mul_u64 s[24:25], s[24:25], s[26:27]
	s_delay_alu instid0(SALU_CYCLE_1)
	s_add_nc_u64 s[30:31], s[10:11], s[24:25]
.LBB62_2:
	s_clause 0x1
	s_load_b128 s[24:27], s[0:1], 0x40
	s_load_b32 s2, s[0:1], 0x50
	s_abs_i32 s36, s33
	s_add_co_i32 s10, s35, s40
	v_mov_b32_e32 v63, 1.0
	s_wait_kmcnt 0x0
	s_cmp_le_f32 s25, 0
	s_cbranch_scc1 .LBB62_4
; %bb.3:
	v_sub_co_u32 v1, s2, s33, s2
	s_and_b32 s35, s2, exec_lo
	s_cselect_b32 s26, s26, s27
	s_add_co_i32 s27, s33, 1
	v_readfirstlane_b32 s11, v1
	s_lshl_b32 s11, s11, 1
	s_delay_alu instid0(SALU_CYCLE_1) | instskip(SKIP_4) | instid1(SALU_CYCLE_3)
	s_or_b32 s11, s11, 1
	s_and_b32 s2, s2, exec_lo
	s_cselect_b32 s2, s27, s11
	s_cmp_neq_f32 s26, 1.0
	s_cvt_f32_i32 s2, s2
	s_cselect_b32 s11, s2, 1.0
	s_delay_alu instid0(SALU_CYCLE_1) | instskip(SKIP_1) | instid1(SALU_CYCLE_1)
	s_cmp_neq_f32 s11, 0
	s_cselect_b32 s2, s26, 1.0
	v_cvt_f64_f32_e64 v[2:3], |s2|
	s_delay_alu instid0(VALU_DEP_1) | instskip(SKIP_1) | instid1(VALU_DEP_1)
	v_frexp_exp_i32_f64_e32 v1, v[2:3]
	v_frexp_mant_f32_e64 v2, |s2|
	v_readfirstlane_b32 s26, v2
	s_cmp_lt_f32 s26, 0x3f2aaaab
	s_cselect_b32 vcc_lo, -1, 0
	s_delay_alu instid0(SALU_CYCLE_1) | instskip(SKIP_1) | instid1(SALU_CYCLE_1)
	s_and_b32 s27, vcc_lo, exec_lo
	s_cselect_b32 s27, 2.0, 1.0
	s_mul_f32 s26, s26, s27
	s_delay_alu instid0(SALU_CYCLE_3) | instskip(SKIP_1) | instid1(SALU_CYCLE_2)
	s_add_f32 s27, s26, 1.0
	s_add_f32 s40, s26, -1.0
	v_s_rcp_f32 s35, s27
	s_add_f32 s43, s27, -1.0
	v_subrev_co_ci_u32_e64 v1, null, 0, v1, vcc_lo
	s_delay_alu instid0(SALU_CYCLE_2) | instskip(NEXT) | instid1(TRANS32_DEP_1)
	s_sub_f32 s26, s26, s43
	s_mul_f32 s41, s40, s35
	v_cvt_f32_i32_e32 v1, v1
	s_delay_alu instid0(SALU_CYCLE_2) | instskip(NEXT) | instid1(SALU_CYCLE_3)
	s_mul_f32 s42, s27, s41
	v_dual_mov_b32 v3, s40 :: v_dual_mov_b32 v4, s42
	s_xor_b32 s44, s42, 0x80000000
	s_delay_alu instid0(SALU_CYCLE_1) | instskip(NEXT) | instid1(SALU_CYCLE_3)
	s_fmac_f32 s44, s41, s27
	s_fmac_f32 s44, s41, s26
	s_delay_alu instid0(SALU_CYCLE_3) | instskip(SKIP_2) | instid1(SALU_CYCLE_1)
	s_add_f32 s26, s42, s44
	v_mov_b32_e32 v6, s44
	s_mov_b32 s42, 0x3e76c4e1
	s_sub_f32 s27, s40, s26
	v_dual_mov_b32 v2, s26 :: v_dual_mov_b32 v7, s26
	s_delay_alu instid0(SALU_CYCLE_2) | instskip(NEXT) | instid1(VALU_DEP_1)
	v_mov_b32_e32 v5, s27
	v_pk_add_f32 v[2:3], v[2:3], v[4:5] neg_lo:[0,1] neg_hi:[0,1]
	s_delay_alu instid0(VALU_DEP_1) | instskip(NEXT) | instid1(VALU_DEP_1)
	v_pk_add_f32 v[2:3], v[2:3], v[6:7] neg_lo:[0,1] neg_hi:[0,1]
	v_readfirstlane_b32 s26, v3
	s_delay_alu instid0(VALU_DEP_2) | instskip(SKIP_1) | instid1(SALU_CYCLE_3)
	v_readfirstlane_b32 s40, v2
	s_add_f32 s26, s40, s26
	s_add_f32 s26, s27, s26
	s_delay_alu instid0(SALU_CYCLE_3) | instskip(NEXT) | instid1(SALU_CYCLE_3)
	s_mul_f32 s27, s35, s26
	s_add_f32 s26, s41, s27
	s_delay_alu instid0(SALU_CYCLE_3) | instskip(SKIP_1) | instid1(SALU_CYCLE_2)
	s_sub_f32 s35, s26, s41
	s_mul_f32 s41, s26, s26
	s_sub_f32 s35, s27, s35
	s_delay_alu instid0(SALU_CYCLE_2) | instskip(NEXT) | instid1(SALU_CYCLE_1)
	s_xor_b32 s27, s41, 0x80000000
	s_fmac_f32 s27, s26, s26
	s_delay_alu instid0(SALU_CYCLE_1) | instskip(NEXT) | instid1(SALU_CYCLE_3)
	s_add_f32 s40, s35, s35
	s_fmac_f32 s27, s26, s40
	s_delay_alu instid0(SALU_CYCLE_3) | instskip(NEXT) | instid1(SALU_CYCLE_3)
	s_add_f32 s40, s41, s27
	s_fmaak_f32 s42, s40, s42, 0x3e91f4c4
	s_sub_f32 s41, s40, s41
	s_delay_alu instid0(SALU_CYCLE_2) | instskip(NEXT) | instid1(SALU_CYCLE_2)
	s_fmaak_f32 s42, s40, s42, 0x3ecccdef
	s_sub_f32 s45, s27, s41
	s_delay_alu instid0(SALU_CYCLE_2) | instskip(NEXT) | instid1(SALU_CYCLE_3)
	s_mul_f32 s43, s40, s42
	s_xor_b32 s44, s43, 0x80000000
	s_delay_alu instid0(SALU_CYCLE_1) | instskip(NEXT) | instid1(SALU_CYCLE_3)
	s_fmac_f32 s44, s40, s42
	s_fmac_f32 s44, s45, s42
	s_delay_alu instid0(SALU_CYCLE_3) | instskip(NEXT) | instid1(SALU_CYCLE_3)
	s_add_f32 s41, s43, s44
	s_sub_f32 s27, s41, s43
	s_add_f32 s42, s41, 0x3f2aaaaa
	s_delay_alu instid0(SALU_CYCLE_2) | instskip(NEXT) | instid1(SALU_CYCLE_2)
	s_sub_f32 s27, s44, s27
	s_add_f32 s43, s42, 0xbf2aaaaa
	s_delay_alu instid0(SALU_CYCLE_2) | instskip(NEXT) | instid1(SALU_CYCLE_2)
	s_add_f32 s27, s27, 0x31739010
	s_sub_f32 s41, s41, s43
	s_delay_alu instid0(SALU_CYCLE_2) | instskip(NEXT) | instid1(SALU_CYCLE_2)
	v_mov_b64_e32 v[2:3], s[26:27]
	v_mov_b64_e32 v[4:5], s[40:41]
	s_delay_alu instid0(VALU_DEP_1) | instskip(SKIP_2) | instid1(VALU_DEP_3)
	v_pk_mul_f32 v[6:7], v[2:3], v[4:5]
	v_pk_add_f32 v[2:3], v[2:3], v[4:5]
	v_mov_b32_e32 v9, s42
	v_xor_b32_e32 v8, 0x80000000, v6
	s_delay_alu instid0(VALU_DEP_3) | instskip(NEXT) | instid1(VALU_DEP_2)
	v_mov_b32_e32 v7, v3
	v_fmac_f32_e64 v8, s40, s26
	s_delay_alu instid0(VALU_DEP_1) | instskip(NEXT) | instid1(VALU_DEP_1)
	v_fmac_f32_e64 v8, s40, s35
	v_fmac_f32_e64 v8, s45, s26
	s_delay_alu instid0(VALU_DEP_1) | instskip(NEXT) | instid1(VALU_DEP_1)
	v_pk_add_f32 v[4:5], v[6:7], v[8:9]
	v_dual_mov_b32 v2, v5 :: v_dual_sub_f32 v7, s42, v5
	v_mul_f32_e32 v12, 0x3f317218, v1
	s_delay_alu instid0(VALU_DEP_2) | instskip(NEXT) | instid1(VALU_DEP_3)
	v_pk_mul_f32 v[10:11], v[4:5], v[2:3]
	v_add_f32_e32 v3, v3, v7
	s_delay_alu instid0(VALU_DEP_3) | instskip(NEXT) | instid1(VALU_DEP_3)
	v_xor_b32_e32 v7, 0x80000000, v12
	v_xor_b32_e32 v2, 0x80000000, v10
	s_delay_alu instid0(VALU_DEP_2) | instskip(NEXT) | instid1(VALU_DEP_2)
	v_dual_sub_f32 v6, v4, v6 :: v_dual_fmac_f32 v7, 0x3f317218, v1
	v_fmac_f32_e32 v2, v4, v5
	s_delay_alu instid0(VALU_DEP_2) | instskip(NEXT) | instid1(VALU_DEP_2)
	v_sub_f32_e32 v6, v8, v6
	v_fmac_f32_e32 v2, v4, v3
	s_delay_alu instid0(VALU_DEP_1) | instskip(SKIP_3) | instid1(VALU_DEP_2)
	v_fmac_f32_e32 v2, v6, v5
	v_fmamk_f32 v4, v1, 0xb102e308, v7
	v_ldexp_f32 v5, s26, 1
	v_ldexp_f32 v1, s35, 1
	v_dual_add_f32 v13, v10, v2 :: v_dual_mov_b32 v11, v5
	s_delay_alu instid0(VALU_DEP_1) | instskip(SKIP_1) | instid1(VALU_DEP_2)
	v_pk_add_f32 v[6:7], v[12:13], v[4:5]
	v_dual_mov_b32 v8, v13 :: v_dual_mov_b32 v3, v13
	v_dual_mov_b32 v9, v7 :: v_dual_mov_b32 v5, v6
	v_mov_b32_e32 v14, v7
	s_delay_alu instid0(VALU_DEP_2) | instskip(NEXT) | instid1(VALU_DEP_1)
	v_pk_add_f32 v[8:9], v[8:9], v[10:11] neg_lo:[0,1] neg_hi:[0,1]
	v_pk_add_f32 v[2:3], v[2:3], v[8:9] neg_lo:[0,1] neg_hi:[0,1]
	s_delay_alu instid0(VALU_DEP_1) | instskip(NEXT) | instid1(VALU_DEP_1)
	v_add_f32_e32 v1, v1, v2
	v_add_f32_e32 v13, v1, v3
	s_delay_alu instid0(VALU_DEP_1) | instskip(SKIP_1) | instid1(VALU_DEP_2)
	v_pk_add_f32 v[2:3], v[6:7], v[12:13]
	v_pk_add_f32 v[8:9], v[6:7], v[12:13] neg_lo:[0,1] neg_hi:[0,1]
	v_mov_b32_e32 v9, v3
	s_delay_alu instid0(VALU_DEP_1) | instskip(SKIP_2) | instid1(VALU_DEP_3)
	v_pk_add_f32 v[10:11], v[4:5], v[8:9]
	v_pk_add_f32 v[4:5], v[4:5], v[8:9] neg_lo:[0,1] neg_hi:[0,1]
	v_dual_mov_b32 v16, v3 :: v_dual_mov_b32 v5, v6
	v_dual_mov_b32 v12, v11 :: v_dual_mov_b32 v17, v11
	s_delay_alu instid0(VALU_DEP_3) | instskip(NEXT) | instid1(VALU_DEP_2)
	v_readfirstlane_b32 s26, v4
	v_pk_add_f32 v[8:9], v[12:13], v[6:7] neg_lo:[0,1] neg_hi:[0,1]
	s_delay_alu instid0(VALU_DEP_2) | instskip(NEXT) | instid1(VALU_DEP_2)
	v_dual_mov_b32 v4, v13 :: v_dual_mov_b32 v10, s26
	v_dual_mov_b32 v15, v8 :: v_dual_mov_b32 v1, v8
	s_delay_alu instid0(VALU_DEP_1) | instskip(NEXT) | instid1(VALU_DEP_2)
	v_pk_add_f32 v[6:7], v[16:17], v[14:15] neg_lo:[0,1] neg_hi:[0,1]
	v_pk_add_f32 v[2:3], v[2:3], v[0:1] neg_lo:[0,1] neg_hi:[0,1]
	v_mov_b32_e32 v2, s26
	s_delay_alu instid0(VALU_DEP_3) | instskip(NEXT) | instid1(VALU_DEP_1)
	v_pk_add_f32 v[4:5], v[4:5], v[6:7] neg_lo:[0,1] neg_hi:[0,1]
	v_pk_add_f32 v[2:3], v[2:3], v[4:5]
	s_delay_alu instid0(VALU_DEP_1) | instskip(NEXT) | instid1(VALU_DEP_2)
	v_readfirstlane_b32 s27, v2
	v_mov_b32_e32 v6, v3
	s_delay_alu instid0(VALU_DEP_1) | instskip(NEXT) | instid1(VALU_DEP_3)
	v_pk_add_f32 v[6:7], v[2:3], v[6:7]
	v_mov_b32_e32 v2, s27
	s_delay_alu instid0(VALU_DEP_2) | instskip(SKIP_1) | instid1(VALU_DEP_2)
	v_pk_add_f32 v[8:9], v[12:13], v[6:7]
	v_mov_b32_e32 v5, v6
	v_readfirstlane_b32 s35, v8
	s_delay_alu instid0(VALU_DEP_1) | instskip(NEXT) | instid1(VALU_DEP_1)
	v_mov_b32_e32 v3, s35
	v_pk_add_f32 v[2:3], v[2:3], v[10:11] neg_lo:[0,1] neg_hi:[0,1]
	s_delay_alu instid0(VALU_DEP_1) | instskip(NEXT) | instid1(VALU_DEP_2)
	v_readfirstlane_b32 s40, v2
	v_pk_add_f32 v[2:3], v[4:5], v[2:3] neg_lo:[0,1] neg_hi:[0,1]
	s_sub_f32 s27, s27, s40
	s_delay_alu instid0(VALU_DEP_1) | instskip(NEXT) | instid1(SALU_CYCLE_2)
	v_readfirstlane_b32 s40, v2
	s_sub_f32 s26, s26, s27
	v_readfirstlane_b32 s27, v3
	s_delay_alu instid0(SALU_CYCLE_2) | instskip(NEXT) | instid1(SALU_CYCLE_3)
	s_add_f32 s26, s40, s26
	s_add_f32 s26, s26, s27
	s_delay_alu instid0(SALU_CYCLE_3) | instskip(NEXT) | instid1(SALU_CYCLE_3)
	s_add_f32 s27, s35, s26
	s_mul_f32 s40, s11, s27
	s_sub_f32 s35, s27, s35
	s_delay_alu instid0(SALU_CYCLE_2) | instskip(NEXT) | instid1(SALU_CYCLE_2)
	s_xor_b32 s41, s40, 0x80000000
	s_sub_f32 s26, s26, s35
	s_fmac_f32 s41, s11, s27
	s_delay_alu instid0(SALU_CYCLE_3) | instskip(SKIP_1) | instid1(SALU_CYCLE_2)
	s_fmac_f32 s41, s11, s26
	v_cmp_class_f32_e64 s26, s40, 0x204
	s_add_f32 s27, s40, s41
	s_and_b32 s26, s26, exec_lo
	s_delay_alu instid0(SALU_CYCLE_2) | instskip(SKIP_1) | instid1(SALU_CYCLE_1)
	s_sub_f32 s26, s27, s40
	s_cselect_b32 s27, s40, s27
	s_and_b32 s35, s27, 0x7fffffff
	s_delay_alu instid0(SALU_CYCLE_1) | instskip(SKIP_1) | instid1(SALU_CYCLE_2)
	s_sub_f32 s26, s41, s26
	s_cmp_neq_f32 s35, 0x7f800000
	s_cselect_b32 s26, s26, 0
	s_cmp_eq_f32 s27, 0x42b17218
	s_cselect_b32 s35, 0x37000000, 0
	s_delay_alu instid0(SALU_CYCLE_1) | instskip(SKIP_1) | instid1(SALU_CYCLE_2)
	s_sub_f32 s27, s27, s35
	s_add_f32 s26, s35, s26
	s_mul_f32 s40, s27, 0x3fb8aa3b
	s_delay_alu instid0(SALU_CYCLE_3) | instskip(SKIP_3) | instid1(SALU_CYCLE_1)
	s_xor_b32 s41, s40, 0x80000000
	s_rndne_f32 s42, s40
	s_fmamk_f32 s41, s27, 0x3fb8aa3b, s41
	s_cmp_nlt_f32 s27, 0xc2ce8ed0
	s_sub_f32 s40, s40, s42
	s_delay_alu instid0(SALU_CYCLE_1)
	s_fmamk_f32 s41, s27, 0x32a5705f, s41
	s_cselect_b32 vcc_lo, -1, 0
	s_cmp_ngt_f32 s27, 0x42b17218
	s_trunc_f32 s27, s11
	s_add_f32 s40, s40, s41
	s_cvt_i32_f32 s41, s42
	s_delay_alu instid0(SALU_CYCLE_2)
	v_s_exp_f32 s40, s40
	v_nop
	s_delay_alu instid0(TRANS32_DEP_1) | instid1(SALU_CYCLE_1)
	v_ldexp_f32 v1, s40, s41
	s_mul_f32 s40, s11, 0.5
	s_delay_alu instid0(VALU_DEP_1) | instskip(SKIP_3) | instid1(VALU_DEP_1)
	v_cndmask_b32_e32 v1, 0, v1, vcc_lo
	s_cselect_b32 vcc_lo, -1, 0
	s_cmp_eq_f32 s27, s11
	s_trunc_f32 s41, s40
	v_cndmask_b32_e32 v1, 0x7f800000, v1, vcc_lo
	s_cselect_b32 s42, -1, 0
	s_delay_alu instid0(SALU_CYCLE_1) | instskip(NEXT) | instid1(VALU_DEP_1)
	s_cmp_neq_f32 s41, s40
	v_fma_f32 v2, s26, v1, v1
	v_cmp_class_f32_e64 vcc_lo, v1, 0x204
	s_cselect_b32 s35, -1, 0
	s_delay_alu instid0(SALU_CYCLE_1)
	s_and_b32 s26, s42, s35
	v_cndmask_b32_e32 v1, v2, v1, vcc_lo
	s_and_b32 s35, s26, exec_lo
	s_cselect_b32 s35, s2, 1.0
	s_cmp_eq_f32 s27, s11
	v_cmp_class_f32_e64 s27, s2, 0x204
	v_bfi_b32 v1, 0x7fffffff, v1, s35
	s_cselect_b32 vcc_lo, -1, 0
	s_cmp_lt_f32 s2, 0
	s_delay_alu instid0(VALU_DEP_1) | instskip(SKIP_2) | instid1(VALU_DEP_1)
	v_cndmask_b32_e32 v2, 0x7fc00000, v1, vcc_lo
	s_cselect_b32 vcc_lo, -1, 0
	s_cmp_eq_f32 s2, 0
	v_cndmask_b32_e32 v1, v1, v2, vcc_lo
	s_cselect_b32 s35, -1, 0
	s_delay_alu instid0(SALU_CYCLE_1) | instskip(SKIP_2) | instid1(SALU_CYCLE_1)
	s_or_b32 vcc_lo, s35, s27
	s_cmp_lt_f32 s11, 0
	s_cselect_b32 s11, -1, 0
	s_xor_b32 s11, s11, s35
	s_delay_alu instid0(SALU_CYCLE_1)
	s_and_b32 s11, s11, exec_lo
	s_cselect_b32 s11, 0, 0x7f800000
	s_and_b32 s26, s26, exec_lo
	s_cselect_b32 s26, s2, 0
	s_cmp_o_f32 s2, s2
	v_mov_b32_e32 v2, s26
	s_delay_alu instid0(VALU_DEP_1) | instskip(NEXT) | instid1(VALU_DEP_1)
	v_bfi_b32 v2, 0x7fffffff, s11, v2
	v_cndmask_b32_e32 v1, v1, v2, vcc_lo
	s_cselect_b32 vcc_lo, -1, 0
	s_delay_alu instid0(VALU_DEP_1)
	v_cndmask_b32_e32 v63, 0x7fc00000, v1, vcc_lo
.LBB62_4:
	s_bfe_u32 s2, ttmp6, 0x4000c
	s_and_b32 s11, ttmp6, 15
	s_add_co_i32 s2, s2, 1
	v_bfe_u32 v60, v0, 10, 10
	s_mul_i32 s2, ttmp9, s2
	v_and_b32_e32 v47, 0x3ff, v0
	s_add_co_i32 s11, s11, s2
	s_cmp_eq_u32 s38, 0
	s_movk_i32 s27, 0xc0
	s_cselect_b32 s26, ttmp9, s11
	v_cmp_gt_u32_e64 s2, 24, v47
	s_lshl_b32 s11, s26, 3
	v_mad_u32_u24 v66, v60, s27, 0xe80
	v_dual_lshlrev_b32 v57, 3, v47 :: v_dual_add_nc_u32 v56, s11, v60
	s_mov_b32 s11, s37
	s_and_saveexec_b32 s27, s2
	s_cbranch_execz .LBB62_6
; %bb.5:
	s_delay_alu instid0(VALU_DEP_1) | instskip(SKIP_1) | instid1(VALU_DEP_1)
	v_mul_hi_u32 v0, s20, v56
	s_load_b96 s[40:42], s[0:1], 0x70
	v_dual_mov_b32 v1, 0 :: v_dual_add_nc_u32 v0, v56, v0
	s_delay_alu instid0(VALU_DEP_1) | instskip(SKIP_2) | instid1(VALU_DEP_1)
	v_lshrrev_b32_e32 v0, s21, v0
	s_wait_kmcnt 0x0
	s_mul_i32 s44, s33, s41
	v_mul_lo_u32 v0, v0, s22
	s_ashr_i32 s41, s40, 31
	s_ashr_i32 s45, s44, 31
	s_lshr_b64 s[40:41], s[40:41], 2
	s_delay_alu instid0(VALU_DEP_1) | instskip(NEXT) | instid1(VALU_DEP_1)
	v_sub_nc_u32_e32 v0, v56, v0
	v_mul_u64_e32 v[2:3], s[40:41], v[0:1]
	s_mul_i32 s40, s28, s42
	v_lshlrev_b32_e32 v0, 4, v47
	s_ashr_i32 s41, s40, 31
	s_delay_alu instid0(SALU_CYCLE_1) | instskip(NEXT) | instid1(SALU_CYCLE_1)
	s_add_nc_u64 s[4:5], s[4:5], s[40:41]
	s_add_nc_u64 s[4:5], s[4:5], s[44:45]
	s_delay_alu instid0(VALU_DEP_2) | instid1(SALU_CYCLE_1)
	v_lshl_add_u64 v[2:3], v[2:3], 2, s[4:5]
	s_delay_alu instid0(VALU_DEP_1) | instskip(SKIP_4) | instid1(VALU_DEP_1)
	v_add_nc_u64_e32 v[0:1], v[2:3], v[0:1]
	global_load_b128 v[0:3], v[0:1], off
	s_wait_loadcnt 0x0
	v_fma_mixlo_f16 v4, s24, v0, 0
	v_mov_b32_e32 v0, v3
	v_pk_mul_f32 v[0:1], s[24:25], v[0:1] op_sel_hi:[0,1]
	s_delay_alu instid0(VALU_DEP_1) | instskip(SKIP_2) | instid1(VALU_DEP_3)
	v_cvt_pk_f16_f32 v0, v0, v1
	v_fma_mixlo_f16 v1, s24, v2, 0
	v_and_b32_e32 v2, 0xffff, v4
	v_and_b32_e32 v3, 0xffff0000, v0
	s_delay_alu instid0(VALU_DEP_3) | instskip(NEXT) | instid1(VALU_DEP_2)
	v_and_b32_e32 v1, 0xffff, v1
	v_dual_lshlrev_b32 v0, 16, v0 :: v_dual_bitop2_b32 v2, v3, v2 bitop3:0x54
	v_add_nc_u32_e32 v3, v66, v57
	s_delay_alu instid0(VALU_DEP_2) | instskip(NEXT) | instid1(VALU_DEP_3)
	v_or3_b32 v1, v0, v1, 0
	v_or3_b32 v0, 0, 0, v2
	ds_store_b64 v3, v[0:1]
.LBB62_6:
	s_or_b32 exec_lo, exec_lo, s27
	s_ashr_i32 s40, s33, 31
	s_ashr_i32 s41, s29, 31
	s_mul_u64 s[4:5], s[36:37], s[10:11]
	s_cmp_eq_u64 s[14:15], 0
	s_wait_dscnt 0x0
	s_barrier_signal -1
	s_barrier_wait -1
	s_cbranch_scc1 .LBB62_8
; %bb.7:
	s_load_b32 s4, s[0:1], 0xd0
	s_wait_kmcnt 0x0
	s_mul_i32 s4, s4, s28
	s_delay_alu instid0(SALU_CYCLE_1)
	s_add_co_i32 s4, s4, s26
	s_load_b32 s34, s[14:15], s4 offset:0x0 scale_offset
.LBB62_8:
	s_clause 0x1
	s_load_b64 s[10:11], s[0:1], 0x8c
	s_load_b128 s[24:27], s[0:1], 0x98
	s_wait_xcnt 0x0
	s_load_b64 s[14:15], s[0:1], 0xa8
	s_mul_i32 s4, s5, s39
	s_ashr_i32 s35, s3, 1
	s_sub_co_i32 s4, s36, s4
	s_ashr_i32 s29, s28, 31
	s_xor_b32 s3, s40, s41
	s_add_co_i32 s37, s5, 1
	s_sub_co_i32 s40, s4, s39
	v_dual_lshrrev_b32 v70, 1, v47 :: v_dual_lshrrev_b32 v69, 2, v47
	v_mul_u32_u24_e32 v67, 0x70, v47
	v_lshl_add_u32 v59, v60, 6, 0x1480
	v_lshrrev_b32_e32 v65, 3, v47
	v_mbcnt_lo_u32_b32 v58, -1, 0
	s_wait_kmcnt 0x0
	s_ashr_i32 s36, s10, 2
	s_ashr_i32 s10, s26, 2
	s_cmp_ge_u32 s4, s39
	s_mul_u64 s[42:43], s[14:15], s[28:29]
	s_cselect_b32 s14, s37, s5
	s_cselect_b32 s4, s40, s4
	s_add_co_i32 s15, s14, 1
	s_mul_u64 s[24:25], s[24:25], s[28:29]
	s_cmp_ge_u32 s4, s39
	s_add_nc_u64 s[4:5], s[6:7], s[24:25]
	s_cselect_b32 s6, s15, s14
	s_bfe_u32 s7, ttmp6, 0x40010
	s_xor_b32 s6, s6, s3
	s_and_b32 s14, ttmp7, 0xffff
	s_add_co_i32 s7, s7, 1
	s_sub_co_i32 s3, s6, s3
	s_bfe_u32 s15, ttmp6, 0x40004
	s_mul_i32 s7, s14, s7
	s_mul_i32 s6, s3, s11
	;; [unrolled: 1-line block ×3, first 2 shown]
	s_add_co_i32 s15, s15, s7
	s_ashr_i32 s7, s6, 31
	s_ashr_i32 s27, s26, 31
	s_cmp_eq_u32 s38, 0
	s_add_nc_u64 s[24:25], s[4:5], s[6:7]
	s_cselect_b32 s29, s14, s15
	s_sub_co_i32 s40, s34, 32
	s_lshl_b32 s14, s29, 5
	s_add_nc_u64 s[4:5], s[8:9], s[42:43]
	s_cmp_ge_i32 s14, s40
	s_add_nc_u64 s[8:9], s[4:5], s[26:27]
	s_cbranch_scc1 .LBB62_31
; %bb.9:
	v_mul_hi_u32 v0, s20, v56
	v_dual_mov_b32 v41, 0 :: v_dual_lshlrev_b32 v4, 2, v47
	v_lshl_add_u32 v1, v60, 4, v70
	v_lshl_add_u32 v3, v60, 3, v69
	;; [unrolled: 1-line block ×3, first 2 shown]
	s_delay_alu instid0(VALU_DEP_4)
	v_and_b32_e32 v46, 28, v4
	v_and_b32_e32 v2, 12, v4
	v_cmp_gt_u32_e64 s3, 32, v1
	v_mul_u32_u24_e32 v7, 0x70, v1
	v_mul_lo_u32 v42, s36, v1
	v_add_nc_u32_e32 v6, v56, v0
	v_and_b32_e32 v0, 4, v4
	v_mul_lo_u32 v44, s36, v3
	v_mul_lo_u32 v48, s10, v3
	;; [unrolled: 1-line block ×3, first 2 shown]
	v_mul_u32_u24_e32 v8, 0xc0, v3
	v_dual_lshlrev_b32 v4, 2, v0 :: v_dual_lshrrev_b32 v1, s21, v6
	v_lshlrev_b32_e32 v9, 2, v46
	v_lshlrev_b32_e32 v6, 2, v2
	v_cmp_gt_u32_e64 s4, 32, v3
	v_cmp_gt_u32_e64 s5, 16, v3
	v_mul_lo_u32 v1, v1, s22
	s_ashr_i32 s37, s36, 31
	v_mad_u32_u24 v73, 0x70, v3, v6
	v_dual_ashrrev_i32 v45, 31, v44 :: v_dual_bitop2_b32 v3, v8, v6 bitop3:0x54
	v_lshl_add_u32 v71, v47, 1, v59
	v_cmp_gt_u32_e64 s6, 16, v5
	v_add3_u32 v72, v7, v4, 64
	v_mad_u32_u24 v74, 0xc0, v5, v9
	v_dual_ashrrev_i32 v43, 31, v42 :: v_dual_ashrrev_i32 v49, 31, v48
	v_dual_ashrrev_i32 v51, 31, v50 :: v_dual_sub_nc_u32 v1, v56, v1
	v_dual_mov_b32 v62, v41 :: v_dual_add_nc_u32 v75, 0x80, v3
	v_dual_mov_b32 v79, 0xfeffffff :: v_dual_lshlrev_b32 v40, 2, v0
	s_delay_alu instid0(VALU_DEP_3)
	v_mad_u32 v76, v1, s35, v47
	v_dual_mov_b32 v61, v41 :: v_dual_lshlrev_b32 v52, 2, v2
	v_mbcnt_lo_u32_b32 v77, -1, 0
	v_mov_b32_e32 v78, v41
	s_cmp_lg_u64 s[30:31], 0
	s_add_nc_u64 s[26:27], s[0:1], 0xd0
	s_cselect_b32 s41, -1, 0
	s_ashr_i32 s11, s10, 31
.LBB62_10:                              ; =>This Inner Loop Header: Depth=1
	s_ashr_i32 s15, s14, 31
	s_delay_alu instid0(SALU_CYCLE_1) | instskip(NEXT) | instid1(SALU_CYCLE_1)
	s_mul_u64 s[38:39], s[14:15], s[36:37]
	s_lshl_b64 s[38:39], s[38:39], 2
	s_delay_alu instid0(SALU_CYCLE_1) | instskip(NEXT) | instid1(SALU_CYCLE_1)
	s_add_nc_u64 s[38:39], s[24:25], s[38:39]
	v_lshl_add_u64 v[0:1], v[42:43], 2, s[38:39]
	s_and_saveexec_b32 s7, s3
	s_cbranch_execz .LBB62_12
; %bb.11:                               ;   in Loop: Header=BB62_10 Depth=1
	s_delay_alu instid0(VALU_DEP_1)
	v_add_nc_u64_e32 v[2:3], v[0:1], v[40:41]
	global_load_b128 v[2:5], v[2:3], off offset:64
	s_wait_loadcnt 0x0
	ds_store_b128 v72, v[2:5]
.LBB62_12:                              ;   in Loop: Header=BB62_10 Depth=1
	s_or_b32 exec_lo, exec_lo, s7
	v_lshl_add_u64 v[2:3], v[44:45], 2, s[38:39]
	s_and_saveexec_b32 s7, s4
	s_cbranch_execz .LBB62_14
; %bb.13:                               ;   in Loop: Header=BB62_10 Depth=1
	v_mov_b32_e32 v53, v41
	s_delay_alu instid0(VALU_DEP_1)
	v_add_nc_u64_e32 v[4:5], v[2:3], v[52:53]
	global_load_b128 v[4:7], v[4:5], off
	s_wait_loadcnt 0x0
	ds_store_b128 v73, v[4:7]
.LBB62_14:                              ;   in Loop: Header=BB62_10 Depth=1
	s_or_b32 exec_lo, exec_lo, s7
	s_wait_dscnt 0x0
	s_barrier_signal -1
	s_barrier_wait -1
	ds_load_b128 v[6:9], v67
	ds_load_b128 v[10:13], v66
	v_mov_b32_e32 v4, 0
	s_wait_dscnt 0x0
	;;#ASMSTART
	v_dot2_f32_f16 v4, v6, v10, v4
	;;#ASMEND
	;;#ASMSTART
	v_dot2_f32_f16 v4, v7, v11, v4
	;;#ASMEND
	;;#ASMSTART
	v_dot2_f32_f16 v4, v8, v12, v4
	;;#ASMEND
	;;#ASMSTART
	v_dot2_f32_f16 v4, v9, v13, v4
	;;#ASMEND
	ds_load_b128 v[6:9], v67 offset:16
	ds_load_b128 v[10:13], v66 offset:16
	s_wait_dscnt 0x0
	;;#ASMSTART
	v_dot2_f32_f16 v4, v6, v10, v4
	;;#ASMEND
	;;#ASMSTART
	v_dot2_f32_f16 v4, v7, v11, v4
	;;#ASMEND
	;;#ASMSTART
	v_dot2_f32_f16 v4, v8, v12, v4
	;;#ASMEND
	;;#ASMSTART
	v_dot2_f32_f16 v4, v9, v13, v4
	;;#ASMEND
	ds_load_b128 v[6:9], v67 offset:32
	ds_load_b128 v[10:13], v66 offset:32
	;; [unrolled: 15-line block ×5, first 2 shown]
	s_wait_dscnt 0x0
	;;#ASMSTART
	v_dot2_f32_f16 v4, v6, v10, v4
	;;#ASMEND
	;;#ASMSTART
	v_dot2_f32_f16 v4, v7, v11, v4
	;;#ASMEND
	;; [unrolled: 3-line block ×4, first 2 shown]
	s_barrier_signal -1
	s_barrier_wait -1
	s_and_saveexec_b32 s7, s3
	s_cbranch_execz .LBB62_16
; %bb.15:                               ;   in Loop: Header=BB62_10 Depth=1
	v_add_nc_u64_e32 v[0:1], v[0:1], v[40:41]
	global_load_b128 v[6:9], v[0:1], off offset:160
	s_wait_loadcnt 0x0
	ds_store_b128 v72, v[6:9]
.LBB62_16:                              ;   in Loop: Header=BB62_10 Depth=1
	s_or_b32 exec_lo, exec_lo, s7
	s_and_saveexec_b32 s7, s4
	s_cbranch_execz .LBB62_18
; %bb.17:                               ;   in Loop: Header=BB62_10 Depth=1
	v_mov_b32_e32 v53, v41
	s_delay_alu instid0(VALU_DEP_1)
	v_add_nc_u64_e32 v[0:1], v[2:3], v[52:53]
	global_load_b128 v[0:3], v[0:1], off offset:96
	s_wait_loadcnt 0x0
	ds_store_b128 v73, v[0:3]
.LBB62_18:                              ;   in Loop: Header=BB62_10 Depth=1
	s_or_b32 exec_lo, exec_lo, s7
	s_wait_dscnt 0x0
	s_barrier_signal -1
	s_barrier_wait -1
	ds_load_b128 v[0:3], v67
	ds_load_b128 v[6:9], v66 offset:96
	s_and_not1_b32 vcc_lo, exec_lo, s41
	s_wait_dscnt 0x0
	;;#ASMSTART
	v_dot2_f32_f16 v4, v0, v6, v4
	;;#ASMEND
	;;#ASMSTART
	v_dot2_f32_f16 v4, v1, v7, v4
	;;#ASMEND
	;;#ASMSTART
	v_dot2_f32_f16 v4, v2, v8, v4
	;;#ASMEND
	;;#ASMSTART
	v_dot2_f32_f16 v4, v3, v9, v4
	;;#ASMEND
	ds_load_b128 v[0:3], v67 offset:16
	ds_load_b128 v[6:9], v66 offset:112
	s_wait_dscnt 0x0
	;;#ASMSTART
	v_dot2_f32_f16 v4, v0, v6, v4
	;;#ASMEND
	;;#ASMSTART
	v_dot2_f32_f16 v4, v1, v7, v4
	;;#ASMEND
	;;#ASMSTART
	v_dot2_f32_f16 v4, v2, v8, v4
	;;#ASMEND
	;;#ASMSTART
	v_dot2_f32_f16 v4, v3, v9, v4
	;;#ASMEND
	ds_load_b128 v[0:3], v67 offset:32
	ds_load_b128 v[6:9], v66 offset:128
	;; [unrolled: 15-line block ×5, first 2 shown]
	s_wait_dscnt 0x0
	;;#ASMSTART
	v_dot2_f32_f16 v4, v0, v6, v4
	;;#ASMEND
	;;#ASMSTART
	v_dot2_f32_f16 v4, v1, v7, v4
	;;#ASMEND
	;;#ASMSTART
	v_dot2_f32_f16 v4, v2, v8, v4
	;;#ASMEND
	;;#ASMSTART
	v_dot2_f32_f16 v4, v3, v9, v4
	;;#ASMEND
	s_cbranch_vccnz .LBB62_20
; %bb.19:                               ;   in Loop: Header=BB62_10 Depth=1
	v_add_nc_u32_e32 v0, s14, v76
	global_load_u16 v0, v0, s[30:31] scale_offset
	s_wait_loadcnt 0x0
	v_cvt_f32_f16_e32 v0, v0
	s_delay_alu instid0(VALU_DEP_1)
	v_mul_f32_e32 v0, v63, v0
	s_branch .LBB62_21
.LBB62_20:                              ;   in Loop: Header=BB62_10 Depth=1
	v_mov_b32_e32 v0, 0
.LBB62_21:                              ;   in Loop: Header=BB62_10 Depth=1
	s_delay_alu instid0(VALU_DEP_1) | instskip(SKIP_1) | instid1(SALU_CYCLE_1)
	v_dual_add_f32 v0, v4, v0 :: v_dual_bitop2_b32 v1, 16, v77 bitop3:0x14
	s_mul_u64 s[38:39], s[14:15], s[10:11]
	s_lshl_b64 s[38:39], s[38:39], 2
	s_delay_alu instid0(VALU_DEP_1) | instskip(NEXT) | instid1(VALU_DEP_2)
	v_cmp_gt_i32_e32 vcc_lo, 32, v1
	v_dual_max_num_f32 v2, v79, v79 :: v_dual_add_f32 v3, 0x40051340, v0
	s_add_nc_u64 s[38:39], s[8:9], s[38:39]
	s_barrier_signal -1
	v_cndmask_b32_e32 v1, v77, v1, vcc_lo
	s_barrier_wait -1
	s_delay_alu instid0(VALU_DEP_1) | instskip(SKIP_3) | instid1(VALU_DEP_1)
	v_dual_max_num_f32 v2, v2, v3 :: v_dual_lshlrev_b32 v1, 2, v1
	ds_bpermute_b32 v1, v1, v2
	s_wait_dscnt 0x0
	v_max_num_f32_e32 v1, v1, v1
	v_max_num_f32_e32 v1, v2, v1
	v_xor_b32_e32 v3, 8, v77
	s_delay_alu instid0(VALU_DEP_1) | instskip(SKIP_1) | instid1(VALU_DEP_1)
	v_cmp_gt_i32_e32 vcc_lo, 32, v3
	v_cndmask_b32_e32 v3, v77, v3, vcc_lo
	v_lshlrev_b32_e32 v3, 2, v3
	ds_bpermute_b32 v2, v3, v1
	v_xor_b32_e32 v3, 4, v77
	s_delay_alu instid0(VALU_DEP_1) | instskip(SKIP_2) | instid1(VALU_DEP_1)
	v_cmp_gt_i32_e32 vcc_lo, 32, v3
	v_cndmask_b32_e32 v3, v77, v3, vcc_lo
	s_wait_dscnt 0x0
	v_dual_max_num_f32 v2, v2, v2 :: v_dual_lshlrev_b32 v3, 2, v3
	s_delay_alu instid0(VALU_DEP_1) | instskip(SKIP_3) | instid1(VALU_DEP_1)
	v_max_num_f32_e32 v1, v1, v2
	ds_bpermute_b32 v2, v3, v1
	s_wait_dscnt 0x0
	v_max_num_f32_e32 v2, v2, v2
	v_dual_max_num_f32 v1, v1, v2 :: v_dual_bitop2_b32 v3, 2, v77 bitop3:0x14
	s_delay_alu instid0(VALU_DEP_1) | instskip(SKIP_1) | instid1(VALU_DEP_1)
	v_cmp_gt_i32_e32 vcc_lo, 32, v3
	v_cndmask_b32_e32 v3, v77, v3, vcc_lo
	v_lshlrev_b32_e32 v3, 2, v3
	ds_bpermute_b32 v2, v3, v1
	v_xor_b32_e32 v3, 1, v77
	s_delay_alu instid0(VALU_DEP_1) | instskip(SKIP_2) | instid1(VALU_DEP_1)
	v_cmp_gt_i32_e32 vcc_lo, 32, v3
	v_cndmask_b32_e32 v3, v77, v3, vcc_lo
	s_wait_dscnt 0x0
	v_dual_max_num_f32 v2, v2, v2 :: v_dual_lshlrev_b32 v3, 2, v3
	s_delay_alu instid0(VALU_DEP_1) | instskip(SKIP_3) | instid1(VALU_DEP_1)
	v_max_num_f32_e32 v1, v1, v2
	ds_bpermute_b32 v2, v3, v1
	s_wait_dscnt 0x0
	v_max_num_f32_e32 v2, v2, v2
	v_max_num_f32_e32 v68, v1, v2
	s_delay_alu instid0(VALU_DEP_1) | instskip(NEXT) | instid1(VALU_DEP_1)
	v_sub_f32_e32 v0, v0, v68
	v_mul_f32_e32 v1, 0x3fb8aa3b, v0
	v_cmp_ngt_f32_e32 vcc_lo, 0xc2ce8ed0, v0
	s_delay_alu instid0(VALU_DEP_2) | instskip(SKIP_1) | instid1(VALU_DEP_1)
	v_fma_f32 v2, 0x3fb8aa3b, v0, -v1
	v_rndne_f32_e32 v3, v1
	v_dual_fmac_f32 v2, 0x32a5705f, v0 :: v_dual_sub_f32 v1, v1, v3
	s_delay_alu instid0(VALU_DEP_1) | instskip(SKIP_1) | instid1(VALU_DEP_2)
	v_add_f32_e32 v1, v1, v2
	v_cvt_i32_f32_e32 v2, v3
	v_exp_f32_e32 v1, v1
	v_nop
	s_delay_alu instid0(TRANS32_DEP_1) | instskip(NEXT) | instid1(VALU_DEP_1)
	v_ldexp_f32 v1, v1, v2
	v_cndmask_b32_e32 v1, 0, v1, vcc_lo
	v_cmp_nlt_f32_e32 vcc_lo, 0x42b17218, v0
	s_delay_alu instid0(VALU_DEP_2) | instskip(NEXT) | instid1(VALU_DEP_1)
	v_cndmask_b32_e32 v64, 0x7f800000, v1, vcc_lo
	v_cvt_f16_f32_e32 v0, v64
	ds_store_b16 v71, v0
	s_and_saveexec_b32 s7, s5
	s_cbranch_execz .LBB62_23
; %bb.22:                               ;   in Loop: Header=BB62_10 Depth=1
	v_lshl_add_u64 v[0:1], v[48:49], 2, s[38:39]
	v_mov_b32_e32 v53, v41
	s_delay_alu instid0(VALU_DEP_1)
	v_add_nc_u64_e32 v[0:1], v[0:1], v[52:53]
	global_load_b128 v[0:3], v[0:1], off offset:128
	s_wait_loadcnt 0x0
	ds_store_b128 v75, v[0:3]
.LBB62_23:                              ;   in Loop: Header=BB62_10 Depth=1
	s_or_b32 exec_lo, exec_lo, s7
	v_lshlrev_b32_e32 v54, 2, v46
	s_and_saveexec_b32 s7, s6
	s_cbranch_execz .LBB62_25
; %bb.24:                               ;   in Loop: Header=BB62_10 Depth=1
	v_lshl_add_u64 v[0:1], v[50:51], 2, s[38:39]
	v_mov_b32_e32 v55, v41
	s_delay_alu instid0(VALU_DEP_1)
	v_add_nc_u64_e32 v[0:1], v[0:1], v[54:55]
	global_load_b128 v[0:3], v[0:1], off
	s_wait_loadcnt 0x0
	ds_store_b128 v74, v[0:3]
.LBB62_25:                              ;   in Loop: Header=BB62_10 Depth=1
	s_or_b32 exec_lo, exec_lo, s7
	v_add_nc_u32_e32 v81, 0x400, v57
	v_dual_sub_f32 v79, v79, v68 :: v_dual_add_nc_u32 v80, 0x800, v57
	s_wait_dscnt 0x0
	s_barrier_signal -1
	s_barrier_wait -1
	ds_load_2addr_b64 v[32:35], v57 offset1:24
	ds_load_b128 v[20:23], v59
	ds_load_b128 v[0:3], v59 offset:16
	ds_load_2addr_b64 v[24:27], v57 offset0:48 offset1:72
	ds_load_2addr_b64 v[36:39], v57 offset0:96 offset1:120
	ds_load_2addr_b64 v[28:31], v57 offset0:144 offset1:168
	ds_load_2addr_b64 v[16:19], v57 offset0:192 offset1:216
	ds_load_2addr_b64 v[12:15], v81 offset0:112 offset1:136
	ds_load_2addr_b64 v[8:11], v80 offset0:32 offset1:56
	ds_load_2addr_b64 v[4:7], v80 offset0:80 offset1:104
	s_or_b32 s38, s14, 16
	v_cmp_nlt_f32_e64 s7, 0x42b17218, v79
	s_ashr_i32 s39, s38, 31
	v_cmp_ngt_f32_e32 vcc_lo, 0xc2ce8ed0, v79
	s_mul_u64 s[38:39], s[38:39], s[10:11]
	s_wait_dscnt 0x0
	s_lshl_b64 s[38:39], s[38:39], 2
	s_barrier_signal -1
	s_add_nc_u64 s[38:39], s[8:9], s[38:39]
	s_barrier_wait -1
	s_and_saveexec_b32 s15, s5
	s_cbranch_execz .LBB62_27
; %bb.26:                               ;   in Loop: Header=BB62_10 Depth=1
	v_lshl_add_u64 v[82:83], v[48:49], 2, s[38:39]
	v_mov_b32_e32 v53, v41
	s_delay_alu instid0(VALU_DEP_1)
	v_add_nc_u64_e32 v[82:83], v[82:83], v[52:53]
	global_load_b128 v[82:85], v[82:83], off offset:128
	s_wait_loadcnt 0x0
	ds_store_b128 v75, v[82:85]
.LBB62_27:                              ;   in Loop: Header=BB62_10 Depth=1
	s_or_b32 exec_lo, exec_lo, s15
	s_and_saveexec_b32 s15, s6
	s_cbranch_execz .LBB62_29
; %bb.28:                               ;   in Loop: Header=BB62_10 Depth=1
	v_lshl_add_u64 v[82:83], v[50:51], 2, s[38:39]
	v_mov_b32_e32 v55, v41
	s_delay_alu instid0(VALU_DEP_1)
	v_add_nc_u64_e32 v[54:55], v[82:83], v[54:55]
	global_load_b128 v[82:85], v[54:55], off
	s_wait_loadcnt 0x0
	ds_store_b128 v74, v[82:85]
.LBB62_29:                              ;   in Loop: Header=BB62_10 Depth=1
	s_or_b32 exec_lo, exec_lo, s15
	v_mul_f32_e32 v53, 0x3fb8aa3b, v79
	s_wait_dscnt 0x0
	s_barrier_signal -1
	s_barrier_wait -1
	s_delay_alu instid0(VALU_DEP_1) | instskip(SKIP_1) | instid1(VALU_DEP_2)
	v_fma_f32 v54, 0x3fb8aa3b, v79, -v53
	v_rndne_f32_e32 v55, v53
	v_fmac_f32_e32 v54, 0x32a5705f, v79
	s_delay_alu instid0(VALU_DEP_2) | instskip(NEXT) | instid1(VALU_DEP_1)
	v_sub_f32_e32 v53, v53, v55
	v_add_f32_e32 v53, v53, v54
	v_cvt_i32_f32_e32 v54, v55
	s_delay_alu instid0(VALU_DEP_2) | instskip(SKIP_1) | instid1(TRANS32_DEP_1)
	v_exp_f32_e32 v53, v53
	v_nop
	v_ldexp_f32 v53, v53, v54
	v_and_b32_e32 v54, 0xffff, v20
	s_delay_alu instid0(VALU_DEP_2) | instskip(NEXT) | instid1(VALU_DEP_2)
	v_dual_cndmask_b32 v53, 0, v53 :: v_dual_lshrrev_b32 v20, 16, v20
	v_mul_u32_u24_e32 v54, 0x10001, v54
	s_delay_alu instid0(VALU_DEP_2) | instskip(NEXT) | instid1(VALU_DEP_3)
	v_mul_u32_u24_e32 v20, 0x10001, v20
	v_cndmask_b32_e64 v53, 0x7f800000, v53, s7
	s_delay_alu instid0(VALU_DEP_3)
	v_pk_mul_f16 v32, v32, v54
	v_pk_mul_f16 v33, v33, v54
	v_and_b32_e32 v54, 0xffff, v21
	v_lshrrev_b32_e32 v21, 16, v21
	v_cvt_f16_f32_e32 v55, v53
	v_fmac_f32_e32 v64, v78, v53
	s_delay_alu instid0(VALU_DEP_4) | instskip(NEXT) | instid1(VALU_DEP_4)
	v_mul_u32_u24_e32 v54, 0x10001, v54
	v_mul_u32_u24_e32 v21, 0x10001, v21
	s_delay_alu instid0(VALU_DEP_4) | instskip(NEXT) | instid1(VALU_DEP_1)
	v_and_b32_e32 v55, 0xffff, v55
	v_mul_u32_u24_e32 v55, 0x10001, v55
	s_delay_alu instid0(VALU_DEP_1) | instskip(SKIP_1) | instid1(VALU_DEP_2)
	v_pk_fma_f16 v32, v62, v55, v32
	v_pk_fma_f16 v33, v61, v55, v33
	;; [unrolled: 1-line block ×3, first 2 shown]
	s_delay_alu instid0(VALU_DEP_2) | instskip(SKIP_2) | instid1(VALU_DEP_4)
	v_pk_fma_f16 v20, v35, v20, v33
	v_and_b32_e32 v33, 0xffff, v22
	v_lshrrev_b32_e32 v22, 16, v22
	v_pk_fma_f16 v24, v24, v54, v32
	s_delay_alu instid0(VALU_DEP_4) | instskip(NEXT) | instid1(VALU_DEP_4)
	v_pk_fma_f16 v20, v25, v54, v20
	v_mul_u32_u24_e32 v25, 0x10001, v33
	s_delay_alu instid0(VALU_DEP_4) | instskip(NEXT) | instid1(VALU_DEP_4)
	v_mul_u32_u24_e32 v22, 0x10001, v22
	v_pk_fma_f16 v24, v26, v21, v24
	s_delay_alu instid0(VALU_DEP_4) | instskip(SKIP_2) | instid1(VALU_DEP_4)
	v_pk_fma_f16 v20, v27, v21, v20
	v_and_b32_e32 v21, 0xffff, v23
	v_lshrrev_b32_e32 v23, 16, v23
	v_pk_fma_f16 v24, v36, v25, v24
	s_delay_alu instid0(VALU_DEP_4) | instskip(NEXT) | instid1(VALU_DEP_4)
	v_pk_fma_f16 v20, v37, v25, v20
	v_mul_u32_u24_e32 v21, 0x10001, v21
	s_delay_alu instid0(VALU_DEP_4) | instskip(NEXT) | instid1(VALU_DEP_4)
	v_mul_u32_u24_e32 v23, 0x10001, v23
	v_pk_fma_f16 v24, v38, v22, v24
	s_delay_alu instid0(VALU_DEP_4) | instskip(SKIP_2) | instid1(VALU_DEP_4)
	v_pk_fma_f16 v20, v39, v22, v20
	v_lshrrev_b32_e32 v22, 16, v0
	v_and_b32_e32 v0, 0xffff, v0
	v_pk_fma_f16 v24, v28, v21, v24
	s_delay_alu instid0(VALU_DEP_4) | instskip(SKIP_1) | instid1(VALU_DEP_4)
	v_pk_fma_f16 v20, v29, v21, v20
	v_lshrrev_b32_e32 v21, 16, v1
	v_mul_u32_u24_e32 v0, 0x10001, v0
	v_and_b32_e32 v1, 0xffff, v1
	v_pk_fma_f16 v24, v30, v23, v24
	v_pk_fma_f16 v20, v31, v23, v20
	v_mul_u32_u24_e32 v22, 0x10001, v22
	v_and_b32_e32 v23, 0xffff, v2
	v_mul_u32_u24_e32 v1, 0x10001, v1
	v_pk_fma_f16 v16, v16, v0, v24
	v_pk_fma_f16 v0, v17, v0, v20
	v_mul_u32_u24_e32 v21, 0x10001, v21
	s_delay_alu instid0(VALU_DEP_3) | instskip(NEXT) | instid1(VALU_DEP_3)
	v_pk_fma_f16 v20, v18, v22, v16
	v_pk_fma_f16 v0, v19, v22, v0
	ds_load_b128 v[16:19], v59 offset:32
	v_pk_fma_f16 v12, v12, v1, v20
	v_pk_fma_f16 v0, v13, v1, v0
	v_lshrrev_b32_e32 v1, 16, v2
	v_mul_u32_u24_e32 v2, 0x10001, v23
	s_delay_alu instid0(VALU_DEP_4) | instskip(NEXT) | instid1(VALU_DEP_4)
	v_pk_fma_f16 v20, v14, v21, v12
	v_pk_fma_f16 v0, v15, v21, v0
	v_and_b32_e32 v21, 0xffff, v3
	ds_load_2addr_b64 v[12:15], v57 offset1:24
	v_mul_u32_u24_e32 v22, 0x10001, v1
	v_pk_fma_f16 v8, v8, v2, v20
	v_pk_fma_f16 v9, v9, v2, v0
	v_lshrrev_b32_e32 v20, 16, v3
	v_mul_u32_u24_e32 v21, 0x10001, v21
	ds_load_b128 v[0:3], v59 offset:48
	v_pk_fma_f16 v23, v10, v22, v8
	v_pk_fma_f16 v22, v11, v22, v9
	ds_load_2addr_b64 v[8:11], v57 offset0:48 offset1:72
	s_wait_dscnt 0x3
	v_and_b32_e32 v24, 0xffff, v16
	v_lshrrev_b32_e32 v16, 16, v16
	v_mul_u32_u24_e32 v20, 0x10001, v20
	v_pk_fma_f16 v4, v4, v21, v23
	v_pk_fma_f16 v5, v5, v21, v22
	v_mul_u32_u24_e32 v21, 0x10001, v24
	v_and_b32_e32 v23, 0xffff, v17
	v_mul_u32_u24_e32 v16, 0x10001, v16
	v_pk_fma_f16 v22, v6, v20, v4
	v_pk_fma_f16 v20, v7, v20, v5
	ds_load_2addr_b64 v[4:7], v57 offset0:96 offset1:120
	v_lshrrev_b32_e32 v17, 16, v17
	v_and_b32_e32 v24, 0xffff, v18
	s_wait_dscnt 0x3
	v_pk_fma_f16 v12, v12, v21, v22
	v_pk_fma_f16 v13, v13, v21, v20
	v_mul_u32_u24_e32 v20, 0x10001, v23
	v_and_b32_e32 v28, 0xffff, v19
	s_delay_alu instid0(VALU_DEP_4) | instskip(NEXT) | instid1(VALU_DEP_4)
	v_pk_fma_f16 v21, v14, v16, v12
	v_pk_fma_f16 v16, v15, v16, v13
	ds_load_2addr_b64 v[12:15], v57 offset0:144 offset1:168
	s_wait_dscnt 0x2
	v_pk_fma_f16 v8, v8, v20, v21
	v_pk_fma_f16 v9, v9, v20, v16
	v_lshrrev_b32_e32 v16, 16, v18
	v_mul_u32_u24_e32 v17, 0x10001, v17
	v_mul_u32_u24_e32 v18, 0x10001, v24
	ds_load_2addr_b64 v[20:23], v57 offset0:192 offset1:216
	v_mul_u32_u24_e32 v16, 0x10001, v16
	v_pk_fma_f16 v24, v10, v17, v8
	v_pk_fma_f16 v17, v11, v17, v9
	ds_load_2addr_b64 v[8:11], v81 offset0:112 offset1:136
	s_wait_dscnt 0x3
	v_pk_fma_f16 v4, v4, v18, v24
	v_pk_fma_f16 v5, v5, v18, v17
	v_lshrrev_b32_e32 v17, 16, v19
	v_mul_u32_u24_e32 v18, 0x10001, v28
	v_and_b32_e32 v28, 0xffff, v0
	v_pk_fma_f16 v19, v6, v16, v4
	v_pk_fma_f16 v16, v7, v16, v5
	v_lshrrev_b32_e32 v0, 16, v0
	v_mul_u32_u24_e32 v17, 0x10001, v17
	ds_load_2addr_b64 v[24:27], v80 offset0:32 offset1:56
	s_wait_dscnt 0x3
	v_pk_fma_f16 v12, v12, v18, v19
	v_pk_fma_f16 v13, v13, v18, v16
	v_mul_u32_u24_e32 v16, 0x10001, v28
	v_mul_u32_u24_e32 v0, 0x10001, v0
	ds_load_2addr_b64 v[4:7], v80 offset0:80 offset1:104
	v_pk_fma_f16 v12, v14, v17, v12
	v_pk_fma_f16 v13, v15, v17, v13
	v_and_b32_e32 v14, 0xffff, v1
	v_lshrrev_b32_e32 v1, 16, v1
	s_wait_dscnt 0x0
	v_pk_fma_f16 v12, v20, v16, v12
	v_pk_fma_f16 v13, v21, v16, v13
	v_mul_u32_u24_e32 v14, 0x10001, v14
	s_barrier_signal -1
	s_barrier_wait -1
	v_pk_fma_f16 v12, v22, v0, v12
	v_pk_fma_f16 v0, v23, v0, v13
	v_and_b32_e32 v13, 0xffff, v2
	v_lshrrev_b32_e32 v2, 16, v2
	v_mul_u32_u24_e32 v1, 0x10001, v1
	v_pk_fma_f16 v8, v8, v14, v12
	v_pk_fma_f16 v0, v9, v14, v0
	s_load_b32 s7, s[26:27], 0x4
	v_mul_u32_u24_e32 v9, 0x10001, v13
	s_delay_alu instid0(VALU_DEP_3) | instskip(NEXT) | instid1(VALU_DEP_3)
	v_pk_fma_f16 v8, v10, v1, v8
	v_pk_fma_f16 v0, v11, v1, v0
	v_and_b32_e32 v1, 0xffff, v3
	v_mul_u32_u24_e32 v2, 0x10001, v2
	v_lshrrev_b32_e32 v3, 16, v3
	v_pk_fma_f16 v8, v24, v9, v8
	v_pk_fma_f16 v0, v25, v9, v0
	v_mul_u32_u24_e32 v1, 0x10001, v1
	s_delay_alu instid0(VALU_DEP_3) | instskip(NEXT) | instid1(VALU_DEP_3)
	v_pk_fma_f16 v8, v26, v2, v8
	v_pk_fma_f16 v0, v27, v2, v0
	v_mul_u32_u24_e32 v2, 0x10001, v3
	s_delay_alu instid0(VALU_DEP_3) | instskip(NEXT) | instid1(VALU_DEP_3)
	v_pk_fma_f16 v3, v4, v1, v8
	v_pk_fma_f16 v0, v5, v1, v0
	s_wait_kmcnt 0x0
	s_lshl_b32 s7, s7, 5
	s_delay_alu instid0(VALU_DEP_2) | instskip(NEXT) | instid1(VALU_DEP_2)
	v_pk_fma_f16 v62, v6, v2, v3
	v_pk_fma_f16 v61, v7, v2, v0
	s_add_co_i32 s14, s7, s14
	s_delay_alu instid0(SALU_CYCLE_1)
	s_cmp_lt_i32 s14, s40
	s_cbranch_scc0 .LBB62_32
; %bb.30:                               ;   in Loop: Header=BB62_10 Depth=1
	v_dual_mov_b32 v79, v68 :: v_dual_mov_b32 v78, v64
	s_branch .LBB62_10
.LBB62_31:
	v_dual_mov_b32 v61, 0 :: v_dual_mov_b32 v64, 0
	v_mov_b32_e32 v68, 0xfeffffff
	v_mov_b32_e32 v62, 0
.LBB62_32:
	s_cmp_gt_i32 s34, s14
	s_cbranch_scc1 .LBB62_35
; %bb.33:
	v_mbcnt_lo_u32_b32 v0, -1, 0
	v_mov_b32_e32 v50, 32
	s_delay_alu instid0(VALU_DEP_2)
	v_xor_b32_e32 v44, 16, v0
	v_xor_b32_e32 v45, 8, v0
	;; [unrolled: 1-line block ×5, first 2 shown]
	s_cbranch_execz .LBB62_36
; %bb.34:
	v_dual_mov_b32 v32, v68 :: v_dual_mov_b32 v58, v0
	s_branch .LBB62_58
.LBB62_35:
                                        ; implicit-def: $vgpr0
                                        ; implicit-def: $vgpr50
                                        ; implicit-def: $vgpr44
                                        ; implicit-def: $vgpr45
                                        ; implicit-def: $vgpr46
                                        ; implicit-def: $vgpr48
                                        ; implicit-def: $vgpr49
.LBB62_36:
	v_lshl_add_u32 v7, v60, 4, v70
	v_dual_lshlrev_b32 v12, 2, v47 :: v_dual_lshlrev_b32 v3, 20, v58
	s_ashr_i32 s15, s14, 31
	s_ashr_i32 s37, s36, 31
	s_delay_alu instid0(VALU_DEP_2) | instskip(NEXT) | instid1(VALU_DEP_2)
	v_mul_lo_u32 v0, s36, v7
	v_dual_mov_b32 v2, 0 :: v_dual_bitop2_b32 v1, 4, v12 bitop3:0x40
	s_mul_u64 s[4:5], s[14:15], s[36:37]
	v_mul_u32_u24_e32 v8, 0x70, v7
	s_lshl_b64 s[4:5], s[4:5], 2
	s_delay_alu instid0(VALU_DEP_2)
	v_lshlrev_b32_e32 v6, 2, v1
	s_sub_co_i32 s26, s34, s14
	s_add_nc_u64 s[6:7], s[24:25], s[4:5]
	v_add_nc_u64_e32 v[4:5], src_flat_scratch_base_lo, v[2:3]
	v_cmp_gt_u32_e64 s4, 32, v7
	v_ashrrev_i32_e32 v1, 31, v0
	v_add3_u32 v14, v8, v6, 64
	v_cmp_gt_i32_e64 s3, s26, v7
	s_delay_alu instid0(VALU_DEP_3)
	v_lshl_add_u64 v[8:9], v[0:1], 2, s[6:7]
	s_and_saveexec_b32 s5, s4
	s_cbranch_execz .LBB62_38
; %bb.37:
	v_mov_b32_e32 v0, 0
	s_delay_alu instid0(VALU_DEP_1) | instskip(NEXT) | instid1(VALU_DEP_1)
	v_mov_b32_e32 v7, v0
	v_add_nc_u64_e32 v[10:11], v[8:9], v[6:7]
	s_delay_alu instid0(VALU_DEP_1) | instskip(NEXT) | instid1(VALU_DEP_1)
	v_add_nc_u64_e32 v[10:11], 64, v[10:11]
	v_dual_cndmask_b32 v11, v5, v11, s3 :: v_dual_mov_b32 v1, v0
	v_mov_b32_e32 v2, v0
	s_delay_alu instid0(VALU_DEP_3)
	v_cndmask_b32_e64 v10, v4, v10, s3
	s_clause 0x1
	scratch_store_b32 off, v0, off
	scratch_store_b96 off, v[0:2], off offset:4
	flat_load_b128 v[16:19], v[10:11]
	s_wait_loadcnt_dscnt 0x0
	ds_store_b128 v14, v[16:19]
.LBB62_38:
	s_wait_xcnt 0x0
	s_or_b32 exec_lo, exec_lo, s5
	v_lshl_add_u32 v33, v60, 3, v69
	v_mov_b32_e32 v0, 0
	s_delay_alu instid0(VALU_DEP_2) | instskip(SKIP_3) | instid1(VALU_DEP_3)
	v_mul_lo_u32 v10, s36, v33
	v_and_b32_e32 v13, 12, v12
	v_cmp_gt_u32_e64 s5, 32, v33
	v_cmp_gt_i32_e32 vcc_lo, s26, v33
	v_dual_ashrrev_i32 v11, 31, v10 :: v_dual_lshlrev_b32 v34, 2, v13
	s_delay_alu instid0(VALU_DEP_1) | instskip(NEXT) | instid1(VALU_DEP_2)
	v_lshl_add_u64 v[10:11], v[10:11], 2, s[6:7]
	v_mad_u32_u24 v15, 0x70, v33, v34
	s_and_saveexec_b32 s6, s5
	s_cbranch_execz .LBB62_40
; %bb.39:
	v_dual_mov_b32 v35, v0 :: v_dual_mov_b32 v1, v0
	s_delay_alu instid0(VALU_DEP_1) | instskip(NEXT) | instid1(VALU_DEP_1)
	v_add_nc_u64_e32 v[16:17], v[10:11], v[34:35]
	v_dual_mov_b32 v2, v0 :: v_dual_cndmask_b32 v17, v5, v17
	s_delay_alu instid0(VALU_DEP_2)
	v_cndmask_b32_e32 v16, v4, v16, vcc_lo
	s_clause 0x1
	scratch_store_b32 off, v0, off
	scratch_store_b96 off, v[0:2], off offset:4
	flat_load_b128 v[16:19], v[16:17]
	s_wait_loadcnt_dscnt 0x0
	ds_store_b128 v15, v[16:19]
.LBB62_40:
	s_wait_xcnt 0x0
	s_or_b32 exec_lo, exec_lo, s6
	s_wait_storecnt_dscnt 0x0
	s_barrier_signal -1
	s_barrier_wait -1
	ds_load_b128 v[16:19], v67
	ds_load_b128 v[20:23], v66
	v_mov_b32_e32 v1, 0
	s_wait_dscnt 0x0
	;;#ASMSTART
	v_dot2_f32_f16 v1, v16, v20, v1
	;;#ASMEND
	;;#ASMSTART
	v_dot2_f32_f16 v1, v17, v21, v1
	;;#ASMEND
	;;#ASMSTART
	v_dot2_f32_f16 v1, v18, v22, v1
	;;#ASMEND
	;;#ASMSTART
	v_dot2_f32_f16 v1, v19, v23, v1
	;;#ASMEND
	ds_load_b128 v[16:19], v67 offset:16
	ds_load_b128 v[20:23], v66 offset:16
	s_wait_dscnt 0x0
	;;#ASMSTART
	v_dot2_f32_f16 v1, v16, v20, v1
	;;#ASMEND
	;;#ASMSTART
	v_dot2_f32_f16 v1, v17, v21, v1
	;;#ASMEND
	;;#ASMSTART
	v_dot2_f32_f16 v1, v18, v22, v1
	;;#ASMEND
	;;#ASMSTART
	v_dot2_f32_f16 v1, v19, v23, v1
	;;#ASMEND
	ds_load_b128 v[16:19], v67 offset:32
	ds_load_b128 v[20:23], v66 offset:32
	;; [unrolled: 15-line block ×5, first 2 shown]
	s_wait_dscnt 0x0
	;;#ASMSTART
	v_dot2_f32_f16 v1, v16, v20, v1
	;;#ASMEND
	;;#ASMSTART
	v_dot2_f32_f16 v1, v17, v21, v1
	;;#ASMEND
	;; [unrolled: 3-line block ×4, first 2 shown]
	s_barrier_signal -1
	s_barrier_wait -1
	s_and_saveexec_b32 s6, s4
	s_cbranch_execz .LBB62_42
; %bb.41:
	v_mov_b32_e32 v7, v0
	s_delay_alu instid0(VALU_DEP_1) | instskip(NEXT) | instid1(VALU_DEP_1)
	v_add_nc_u64_e32 v[6:7], v[8:9], v[6:7]
	v_add_nc_u64_e32 v[16:17], 0xa0, v[6:7]
	v_mov_b32_e32 v6, 0
	s_delay_alu instid0(VALU_DEP_1) | instskip(NEXT) | instid1(VALU_DEP_3)
	v_dual_mov_b32 v7, v6 :: v_dual_mov_b32 v8, v6
	v_dual_cndmask_b32 v17, v5, v17, s3 :: v_dual_cndmask_b32 v16, v4, v16, s3
	s_clause 0x1
	scratch_store_b32 off, v6, off
	scratch_store_b96 off, v[6:8], off offset:4
	flat_load_b128 v[6:9], v[16:17]
	s_wait_loadcnt_dscnt 0x0
	ds_store_b128 v14, v[6:9]
.LBB62_42:
	s_wait_xcnt 0x0
	s_or_b32 exec_lo, exec_lo, s6
	s_and_saveexec_b32 s3, s5
	s_cbranch_execz .LBB62_44
; %bb.43:
	v_mov_b32_e32 v6, 0
	s_delay_alu instid0(VALU_DEP_1) | instskip(NEXT) | instid1(VALU_DEP_1)
	v_mov_b32_e32 v35, v6
	v_add_nc_u64_e32 v[8:9], v[10:11], v[34:35]
	s_delay_alu instid0(VALU_DEP_1) | instskip(NEXT) | instid1(VALU_DEP_1)
	v_add_nc_u64_e32 v[10:11], 0x60, v[8:9]
	v_dual_cndmask_b32 v5, v5, v11, vcc_lo :: v_dual_mov_b32 v7, v6
	s_delay_alu instid0(VALU_DEP_2)
	v_dual_mov_b32 v8, v6 :: v_dual_cndmask_b32 v4, v4, v10, vcc_lo
	s_clause 0x1
	scratch_store_b32 off, v6, off
	scratch_store_b96 off, v[6:8], off offset:4
	flat_load_b128 v[4:7], v[4:5]
	s_wait_loadcnt_dscnt 0x0
	ds_store_b128 v15, v[4:7]
.LBB62_44:
	s_wait_xcnt 0x0
	s_or_b32 exec_lo, exec_lo, s3
	s_wait_storecnt_dscnt 0x0
	s_barrier_signal -1
	s_barrier_wait -1
	ds_load_b128 v[4:7], v67
	ds_load_b128 v[8:11], v66 offset:96
	v_mov_b32_e32 v0, v68
	s_mov_b32 s4, exec_lo
	s_wait_dscnt 0x0
	;;#ASMSTART
	v_dot2_f32_f16 v1, v4, v8, v1
	;;#ASMEND
	;;#ASMSTART
	v_dot2_f32_f16 v1, v5, v9, v1
	;;#ASMEND
	;;#ASMSTART
	v_dot2_f32_f16 v1, v6, v10, v1
	;;#ASMEND
	;;#ASMSTART
	v_dot2_f32_f16 v1, v7, v11, v1
	;;#ASMEND
	ds_load_b128 v[4:7], v67 offset:16
	ds_load_b128 v[8:11], v66 offset:112
	s_wait_dscnt 0x0
	;;#ASMSTART
	v_dot2_f32_f16 v1, v4, v8, v1
	;;#ASMEND
	;;#ASMSTART
	v_dot2_f32_f16 v1, v5, v9, v1
	;;#ASMEND
	;;#ASMSTART
	v_dot2_f32_f16 v1, v6, v10, v1
	;;#ASMEND
	;;#ASMSTART
	v_dot2_f32_f16 v1, v7, v11, v1
	;;#ASMEND
	ds_load_b128 v[4:7], v67 offset:32
	ds_load_b128 v[8:11], v66 offset:128
	s_wait_dscnt 0x0
	;;#ASMSTART
	v_dot2_f32_f16 v1, v4, v8, v1
	;;#ASMEND
	;;#ASMSTART
	v_dot2_f32_f16 v1, v5, v9, v1
	;;#ASMEND
	;;#ASMSTART
	v_dot2_f32_f16 v1, v6, v10, v1
	;;#ASMEND
	;;#ASMSTART
	v_dot2_f32_f16 v1, v7, v11, v1
	;;#ASMEND
	ds_load_b128 v[4:7], v67 offset:48
	ds_load_b128 v[8:11], v66 offset:144
	s_wait_dscnt 0x0
	;;#ASMSTART
	v_dot2_f32_f16 v1, v4, v8, v1
	;;#ASMEND
	;;#ASMSTART
	v_dot2_f32_f16 v1, v5, v9, v1
	;;#ASMEND
	;;#ASMSTART
	v_dot2_f32_f16 v1, v6, v10, v1
	;;#ASMEND
	;;#ASMSTART
	v_dot2_f32_f16 v1, v7, v11, v1
	;;#ASMEND
	ds_load_b128 v[4:7], v67 offset:64
	ds_load_b128 v[8:11], v66 offset:160
	s_wait_dscnt 0x0
	;;#ASMSTART
	v_dot2_f32_f16 v1, v4, v8, v1
	;;#ASMEND
	;;#ASMSTART
	v_dot2_f32_f16 v1, v5, v9, v1
	;;#ASMEND
	;;#ASMSTART
	v_dot2_f32_f16 v1, v6, v10, v1
	;;#ASMEND
	;;#ASMSTART
	v_dot2_f32_f16 v1, v7, v11, v1
	;;#ASMEND
	ds_load_b128 v[4:7], v67 offset:80
	ds_load_b128 v[8:11], v66 offset:176
	s_wait_dscnt 0x0
	;;#ASMSTART
	v_dot2_f32_f16 v1, v4, v8, v1
	;;#ASMEND
	;;#ASMSTART
	v_dot2_f32_f16 v1, v5, v9, v1
	;;#ASMEND
	;; [unrolled: 3-line block ×4, first 2 shown]
	v_cmpx_gt_i32_e64 s26, v47
	s_cbranch_execz .LBB62_49
; %bb.45:
	s_cmp_eq_u64 s[30:31], 0
	s_cbranch_scc1 .LBB62_47
; %bb.46:
	v_mul_hi_u32 v0, s20, v56
	s_delay_alu instid0(VALU_DEP_1) | instskip(NEXT) | instid1(VALU_DEP_1)
	v_add_nc_u32_e32 v0, v56, v0
	v_lshrrev_b32_e32 v0, s21, v0
	s_delay_alu instid0(VALU_DEP_1) | instskip(NEXT) | instid1(VALU_DEP_1)
	v_mul_lo_u32 v0, v0, s22
	v_sub_nc_u32_e32 v0, v56, v0
	s_delay_alu instid0(VALU_DEP_1) | instskip(NEXT) | instid1(VALU_DEP_1)
	v_mul_lo_u32 v0, v0, s35
	v_add3_u32 v0, v0, v47, s14
	global_load_u16 v0, v0, s[30:31] scale_offset
	s_wait_loadcnt 0x0
	v_cvt_f32_f16_e32 v0, v0
	s_delay_alu instid0(VALU_DEP_1)
	v_mul_f32_e32 v0, v63, v0
	s_branch .LBB62_48
.LBB62_47:
	v_mov_b32_e32 v0, 0
.LBB62_48:
	v_max_num_f32_e32 v2, v68, v68
	s_delay_alu instid0(VALU_DEP_2) | instskip(NEXT) | instid1(VALU_DEP_1)
	v_add_f32_e32 v1, v1, v0
	v_add_f32_e32 v0, 0x40051340, v1
	s_delay_alu instid0(VALU_DEP_1)
	v_max_num_f32_e32 v0, v2, v0
.LBB62_49:
	s_or_b32 exec_lo, exec_lo, s4
	v_xor_b32_e32 v44, 16, v58
	v_xor_b32_e32 v46, 4, v58
	;; [unrolled: 1-line block ×4, first 2 shown]
	v_mul_lo_u32 v38, s10, v33
	v_cmp_gt_i32_e64 s3, 32, v44
	v_mul_u32_u24_e32 v5, 0xc0, v33
	s_ashr_i32 s11, s10, 31
	s_delay_alu instid0(SALU_CYCLE_1)
	s_mul_u64 s[4:5], s[14:15], s[10:11]
	v_dual_cndmask_b32 v2, v58, v44, s3 :: v_dual_bitop2_b32 v45, 8, v58 bitop3:0x14
	s_lshl_b64 s[4:5], s[4:5], 2
	s_barrier_signal -1
	s_add_nc_u64 s[4:5], s[8:9], s[4:5]
	s_barrier_wait -1
	v_cmp_gt_i32_e64 s3, 32, v45
	v_lshlrev_b32_e32 v2, 2, v2
	s_delay_alu instid0(VALU_DEP_2)
	v_dual_ashrrev_i32 v39, 31, v38 :: v_dual_cndmask_b32 v4, v58, v45, s3
	ds_bpermute_b32 v2, v2, v0
	v_max_num_f32_e32 v0, v0, v0
	v_cmp_gt_i32_e64 s3, 32, v46
	s_wait_dscnt 0x0
	v_dual_lshlrev_b32 v4, 2, v4 :: v_dual_max_num_f32 v2, v2, v2
	s_delay_alu instid0(VALU_DEP_1) | instskip(SKIP_4) | instid1(VALU_DEP_2)
	v_max_num_f32_e32 v0, v0, v2
	ds_bpermute_b32 v2, v4, v0
	v_cndmask_b32_e64 v4, v58, v46, s3
	v_cmp_gt_i32_e64 s3, 32, v48
	s_wait_dscnt 0x0
	v_dual_lshlrev_b32 v4, 2, v4 :: v_dual_max_num_f32 v2, v2, v2
	s_delay_alu instid0(VALU_DEP_1) | instskip(SKIP_4) | instid1(VALU_DEP_2)
	v_max_num_f32_e32 v0, v0, v2
	ds_bpermute_b32 v2, v4, v0
	v_cndmask_b32_e64 v4, v58, v48, s3
	v_cmp_gt_i32_e64 s3, 32, v49
	s_wait_dscnt 0x0
	v_dual_lshlrev_b32 v4, 2, v4 :: v_dual_max_num_f32 v2, v2, v2
	s_delay_alu instid0(VALU_DEP_1) | instskip(SKIP_3) | instid1(VALU_DEP_1)
	v_max_num_f32_e32 v0, v0, v2
	ds_bpermute_b32 v2, v4, v0
	v_cndmask_b32_e64 v4, v58, v49, s3
	s_wait_dscnt 0x0
	v_dual_lshlrev_b32 v4, 2, v4 :: v_dual_max_num_f32 v2, v2, v2
	s_delay_alu instid0(VALU_DEP_1) | instskip(SKIP_3) | instid1(VALU_DEP_1)
	v_max_num_f32_e32 v0, v0, v2
	ds_bpermute_b32 v2, v4, v0
	s_wait_dscnt 0x0
	v_max_num_f32_e32 v2, v2, v2
	v_max_num_f32_e32 v32, v0, v2
	s_delay_alu instid0(VALU_DEP_1) | instskip(NEXT) | instid1(VALU_DEP_1)
	v_sub_f32_e32 v0, v1, v32
	v_mul_f32_e32 v1, 0x3fb8aa3b, v0
	v_cmp_ngt_f32_e64 s3, 0xc2ce8ed0, v0
	s_delay_alu instid0(VALU_DEP_2) | instskip(SKIP_1) | instid1(VALU_DEP_1)
	v_fma_f32 v2, 0x3fb8aa3b, v0, -v1
	v_rndne_f32_e32 v4, v1
	v_dual_fmamk_f32 v2, v0, 0x32a5705f, v2 :: v_dual_sub_f32 v1, v1, v4
	s_delay_alu instid0(VALU_DEP_1) | instskip(SKIP_2) | instid1(VALU_DEP_3)
	v_add_f32_e32 v1, v1, v2
	v_cvt_i32_f32_e32 v2, v4
	v_lshl_add_u32 v4, v47, 1, v59
	v_exp_f32_e32 v1, v1
	v_nop
	s_delay_alu instid0(TRANS32_DEP_1) | instskip(NEXT) | instid1(VALU_DEP_1)
	v_ldexp_f32 v1, v1, v2
	v_dual_mov_b32 v50, 32 :: v_dual_cndmask_b32 v1, 0, v1, s3
	v_cmp_nlt_f32_e64 s3, 0x42b17218, v0
	s_delay_alu instid0(VALU_DEP_1) | instskip(SKIP_3) | instid1(VALU_DEP_3)
	v_cndmask_b32_e64 v0, 0x7f800000, v1, s3
	v_cmp_gt_u32_e64 s3, s26, v47
	v_mov_b32_e32 v2, 0
	v_lshl_or_b32 v1, v13, 2, v5
	v_cndmask_b32_e64 v51, 0, v0, s3
	s_delay_alu instid0(VALU_DEP_3) | instskip(SKIP_1) | instid1(VALU_DEP_4)
	v_add_nc_u64_e32 v[36:37], src_flat_scratch_base_lo, v[2:3]
	v_cmp_gt_u32_e64 s3, 16, v33
	v_add_nc_u32_e32 v53, 0x80, v1
	s_delay_alu instid0(VALU_DEP_4)
	v_cvt_f16_f32_e32 v0, v51
	ds_store_b16 v4, v0
	s_and_saveexec_b32 s6, s3
	s_cbranch_execz .LBB62_51
; %bb.50:
	v_mov_b32_e32 v0, 0
	v_lshl_add_u64 v[2:3], v[38:39], 2, s[4:5]
	s_delay_alu instid0(VALU_DEP_2) | instskip(NEXT) | instid1(VALU_DEP_1)
	v_mov_b32_e32 v35, v0
	v_add_nc_u64_e32 v[2:3], v[2:3], v[34:35]
	s_delay_alu instid0(VALU_DEP_1) | instskip(NEXT) | instid1(VALU_DEP_1)
	v_add_nc_u64_e32 v[4:5], 0x80, v[2:3]
	v_dual_cndmask_b32 v5, v37, v5, vcc_lo :: v_dual_mov_b32 v1, v0
	v_mov_b32_e32 v2, v0
	s_delay_alu instid0(VALU_DEP_3)
	v_cndmask_b32_e32 v4, v36, v4, vcc_lo
	s_clause 0x1
	scratch_store_b32 off, v0, off
	scratch_store_b96 off, v[0:2], off offset:4
	flat_load_b128 v[0:3], v[4:5]
	s_wait_loadcnt_dscnt 0x0
	ds_store_b128 v53, v[0:3]
.LBB62_51:
	s_wait_xcnt 0x0
	s_or_b32 exec_lo, exec_lo, s6
	v_lshl_add_u32 v54, v60, 2, v65
	s_delay_alu instid0(VALU_DEP_1) | instskip(SKIP_2) | instid1(VALU_DEP_2)
	v_mul_lo_u32 v42, s10, v54
	v_and_b32_e32 v0, 28, v12
	v_cmp_gt_u32_e32 vcc_lo, 16, v54
	v_dual_ashrrev_i32 v43, 31, v42 :: v_dual_lshlrev_b32 v40, 2, v0
	v_mov_b32_e32 v0, 0
	s_delay_alu instid0(VALU_DEP_2)
	v_mad_u32_u24 v55, 0xc0, v54, v40
	s_and_saveexec_b32 s6, vcc_lo
	s_cbranch_execz .LBB62_53
; %bb.52:
	v_lshl_add_u64 v[2:3], v[42:43], 2, s[4:5]
	v_dual_mov_b32 v41, v0 :: v_dual_mov_b32 v1, v0
	v_cmp_gt_i32_e64 s4, s26, v54
	s_delay_alu instid0(VALU_DEP_2) | instskip(NEXT) | instid1(VALU_DEP_1)
	v_add_nc_u64_e32 v[4:5], v[2:3], v[40:41]
	v_dual_mov_b32 v2, v0 :: v_dual_cndmask_b32 v5, v37, v5, s4
	s_delay_alu instid0(VALU_DEP_2)
	v_cndmask_b32_e64 v4, v36, v4, s4
	s_clause 0x1
	scratch_store_b32 off, v0, off
	scratch_store_b96 off, v[0:2], off offset:4
	flat_load_b128 v[0:3], v[4:5]
	s_wait_loadcnt_dscnt 0x0
	ds_store_b128 v55, v[0:3]
.LBB62_53:
	s_wait_xcnt 0x0
	s_or_b32 exec_lo, exec_lo, s6
	v_dual_sub_f32 v35, v68, v32 :: v_dual_add_nc_u32 v2, 0x400, v57
	s_wait_storecnt_dscnt 0x0
	s_barrier_signal -1
	s_barrier_wait -1
	ds_load_2addr_b64 v[4:7], v57 offset1:24
	ds_load_b128 v[66:69], v59
	ds_load_b128 v[74:77], v59 offset:16
	v_mul_f32_e32 v0, 0x3fb8aa3b, v35
	s_or_b32 s4, s14, 16
	v_add_nc_u32_e32 v3, 0x800, v57
	s_ashr_i32 s5, s4, 31
	ds_load_2addr_b64 v[8:11], v57 offset0:48 offset1:72
	ds_load_2addr_b64 v[12:15], v57 offset0:96 offset1:120
	;; [unrolled: 1-line block ×3, first 2 shown]
	s_mul_u64 s[6:7], s[4:5], s[10:11]
	v_cmp_ngt_f32_e64 s4, 0xc2ce8ed0, v35
	ds_load_2addr_b64 v[28:31], v57 offset0:192 offset1:216
	ds_load_2addr_b64 v[24:27], v2 offset0:112 offset1:136
	;; [unrolled: 1-line block ×3, first 2 shown]
	s_add_co_i32 s26, s26, -16
	s_wait_dscnt 0x7
	v_lshrrev_b32_e32 v65, 16, v66
	v_fma_f32 v1, 0x3fb8aa3b, v35, -v0
	v_rndne_f32_e32 v41, v0
	v_dual_lshrrev_b32 v63, 16, v68 :: v_dual_lshrrev_b32 v60, 16, v67
	v_and_b32_e32 v71, 0xffff, v66
	s_delay_alu instid0(VALU_DEP_3)
	v_dual_fmamk_f32 v1, v35, 0x32a5705f, v1 :: v_dual_sub_f32 v0, v0, v41
	v_cvt_i32_f32_e32 v41, v41
	v_and_b32_e32 v73, 0xffff, v67
	v_and_b32_e32 v72, 0xffff, v68
	s_wait_dscnt 0x6
	v_dual_lshrrev_b32 v68, 16, v75 :: v_dual_lshrrev_b32 v67, 16, v76
	v_add_f32_e32 v0, v0, v1
	v_lshrrev_b32_e32 v66, 16, v77
	v_and_b32_e32 v80, 0xffff, v74
	v_and_b32_e32 v79, 0xffff, v75
	;; [unrolled: 1-line block ×3, first 2 shown]
	v_exp_f32_e32 v52, v0
	ds_load_2addr_b64 v[0:3], v3 offset0:80 offset1:104
	s_wait_dscnt 0x0
	v_lshrrev_b32_e32 v70, 16, v74
	v_and_b32_e32 v74, 0xffff, v77
	s_barrier_signal -1
	s_barrier_wait -1
	v_ldexp_f32 v52, v52, v41
	v_lshrrev_b32_e32 v41, 16, v69
	v_and_b32_e32 v69, 0xffff, v69
	s_delay_alu instid0(VALU_DEP_3) | instskip(SKIP_1) | instid1(VALU_DEP_1)
	v_cndmask_b32_e64 v52, 0, v52, s4
	v_cmp_nlt_f32_e64 s4, 0x42b17218, v35
	v_cndmask_b32_e64 v52, 0x7f800000, v52, s4
	s_lshl_b64 s[4:5], s[6:7], 2
	s_delay_alu instid0(SALU_CYCLE_1) | instskip(NEXT) | instid1(VALU_DEP_1)
	s_add_nc_u64 s[4:5], s[8:9], s[4:5]
	v_cvt_f16_f32_e32 v35, v52
	s_delay_alu instid0(VALU_DEP_1)
	v_and_b32_e32 v75, 0xffff, v35
	s_and_saveexec_b32 s6, s3
	s_cbranch_execz .LBB62_55
; %bb.54:
	v_cmp_gt_i32_e64 s3, s26, v33
	v_mov_b32_e32 v82, 0
	v_lshl_add_u64 v[38:39], v[38:39], 2, s[4:5]
	s_delay_alu instid0(VALU_DEP_2) | instskip(NEXT) | instid1(VALU_DEP_1)
	v_mov_b32_e32 v35, v82
	v_add_nc_u64_e32 v[34:35], v[38:39], v[34:35]
	s_delay_alu instid0(VALU_DEP_1) | instskip(NEXT) | instid1(VALU_DEP_1)
	v_add_nc_u64_e32 v[34:35], 0x80, v[34:35]
	v_dual_cndmask_b32 v35, v37, v35, s3 :: v_dual_mov_b32 v83, v82
	s_delay_alu instid0(VALU_DEP_2)
	v_dual_mov_b32 v84, v82 :: v_dual_cndmask_b32 v34, v36, v34, s3
	s_clause 0x1
	scratch_store_b32 off, v82, off
	scratch_store_b96 off, v[82:84], off offset:4
	flat_load_b128 v[82:85], v[34:35]
	s_wait_loadcnt_dscnt 0x0
	ds_store_b128 v53, v[82:85]
.LBB62_55:
	s_wait_xcnt 0x0
	s_or_b32 exec_lo, exec_lo, s6
	v_mul_u32_u24_e32 v77, 0x10001, v75
	v_mul_u32_u24_e32 v81, 0x10001, v71
	;; [unrolled: 1-line block ×17, first 2 shown]
	s_and_saveexec_b32 s3, vcc_lo
	s_cbranch_execz .LBB62_57
; %bb.56:
	v_cmp_gt_i32_e32 vcc_lo, s26, v54
	v_mov_b32_e32 v66, 0
	v_lshl_add_u64 v[42:43], v[42:43], 2, s[4:5]
	s_delay_alu instid0(VALU_DEP_2) | instskip(NEXT) | instid1(VALU_DEP_1)
	v_mov_b32_e32 v41, v66
	v_add_nc_u64_e32 v[40:41], v[42:43], v[40:41]
	s_delay_alu instid0(VALU_DEP_1) | instskip(NEXT) | instid1(VALU_DEP_2)
	v_dual_cndmask_b32 v37, v37, v41, vcc_lo :: v_dual_mov_b32 v67, v66
	v_dual_mov_b32 v68, v66 :: v_dual_cndmask_b32 v36, v36, v40, vcc_lo
	s_clause 0x1
	scratch_store_b32 off, v66, off
	scratch_store_b96 off, v[66:68], off offset:4
	flat_load_b128 v[40:43], v[36:37]
	s_wait_loadcnt_dscnt 0x0
	ds_store_b128 v55, v[40:43]
.LBB62_57:
	s_wait_xcnt 0x0
	s_or_b32 exec_lo, exec_lo, s3
	v_pk_mul_f16 v4, v4, v81
	v_pk_mul_f16 v5, v5, v81
	s_wait_storecnt_dscnt 0x0
	s_barrier_signal -1
	s_barrier_wait -1
	v_pk_fma_f16 v4, v62, v77, v4
	v_pk_fma_f16 v5, v61, v77, v5
	v_fmac_f32_e32 v51, v64, v52
	s_delay_alu instid0(VALU_DEP_3) | instskip(NEXT) | instid1(VALU_DEP_3)
	v_pk_fma_f16 v4, v6, v78, v4
	v_pk_fma_f16 v5, v7, v78, v5
	s_delay_alu instid0(VALU_DEP_3) | instskip(NEXT) | instid1(VALU_DEP_3)
	v_mov_b32_e32 v64, v51
	v_pk_fma_f16 v4, v8, v75, v4
	s_delay_alu instid0(VALU_DEP_3) | instskip(NEXT) | instid1(VALU_DEP_2)
	v_pk_fma_f16 v5, v9, v75, v5
	v_pk_fma_f16 v4, v10, v73, v4
	s_delay_alu instid0(VALU_DEP_2) | instskip(NEXT) | instid1(VALU_DEP_2)
	v_pk_fma_f16 v5, v11, v73, v5
	v_pk_fma_f16 v4, v12, v72, v4
	s_delay_alu instid0(VALU_DEP_2) | instskip(NEXT) | instid1(VALU_DEP_2)
	;; [unrolled: 3-line block ×6, first 2 shown]
	v_pk_fma_f16 v5, v29, v63, v5
	v_pk_fma_f16 v8, v30, v60, v4
	s_delay_alu instid0(VALU_DEP_2) | instskip(SKIP_3) | instid1(VALU_DEP_2)
	v_pk_fma_f16 v9, v31, v60, v5
	ds_load_b128 v[4:7], v59 offset:32
	v_pk_fma_f16 v8, v24, v53, v8
	v_pk_fma_f16 v9, v25, v53, v9
	;; [unrolled: 1-line block ×3, first 2 shown]
	s_delay_alu instid0(VALU_DEP_2) | instskip(SKIP_3) | instid1(VALU_DEP_2)
	v_pk_fma_f16 v13, v27, v39, v9
	ds_load_2addr_b64 v[8:11], v57 offset1:24
	v_pk_fma_f16 v12, v20, v38, v12
	v_pk_fma_f16 v13, v21, v38, v13
	;; [unrolled: 1-line block ×3, first 2 shown]
	s_delay_alu instid0(VALU_DEP_2)
	v_pk_fma_f16 v21, v23, v35, v13
	ds_load_b128 v[12:15], v59 offset:48
	ds_load_2addr_b64 v[16:19], v57 offset0:48 offset1:72
	s_wait_dscnt 0x3
	v_and_b32_e32 v22, 0xffff, v4
	v_lshrrev_b32_e32 v4, 16, v4
	v_pk_fma_f16 v0, v0, v34, v20
	v_pk_fma_f16 v1, v1, v34, v21
	v_and_b32_e32 v23, 0xffff, v5
	v_mul_u32_u24_e32 v20, 0x10001, v22
	v_lshrrev_b32_e32 v5, 16, v5
	v_pk_fma_f16 v21, v2, v33, v0
	v_pk_fma_f16 v22, v3, v33, v1
	ds_load_2addr_b64 v[0:3], v57 offset0:96 offset1:120
	v_mul_u32_u24_e32 v4, 0x10001, v4
	v_mul_u32_u24_e32 v5, 0x10001, v5
	s_wait_dscnt 0x3
	v_pk_fma_f16 v8, v8, v20, v21
	v_pk_fma_f16 v9, v9, v20, v22
	v_mul_u32_u24_e32 v20, 0x10001, v23
	v_and_b32_e32 v22, 0xffff, v6
	v_lshrrev_b32_e32 v6, 16, v6
	v_pk_fma_f16 v21, v10, v4, v8
	v_pk_fma_f16 v4, v11, v4, v9
	ds_load_2addr_b64 v[8:11], v57 offset0:144 offset1:168
	s_wait_dscnt 0x2
	v_pk_fma_f16 v16, v16, v20, v21
	v_pk_fma_f16 v4, v17, v20, v4
	v_mul_u32_u24_e32 v20, 0x10001, v22
	s_delay_alu instid0(VALU_DEP_3) | instskip(NEXT) | instid1(VALU_DEP_3)
	v_pk_fma_f16 v21, v18, v5, v16
	v_pk_fma_f16 v4, v19, v5, v4
	ds_load_2addr_b64 v[16:19], v57 offset0:192 offset1:216
	v_and_b32_e32 v5, 0xffff, v7
	v_lshrrev_b32_e32 v7, 16, v7
	v_mul_u32_u24_e32 v6, 0x10001, v6
	s_wait_dscnt 0x2
	v_pk_fma_f16 v0, v0, v20, v21
	v_pk_fma_f16 v1, v1, v20, v4
	v_add_nc_u32_e32 v4, 0x400, v57
	v_mul_u32_u24_e32 v5, 0x10001, v5
	v_mul_u32_u24_e32 v7, 0x10001, v7
	v_pk_fma_f16 v20, v2, v6, v0
	v_pk_fma_f16 v6, v3, v6, v1
	ds_load_2addr_b64 v[0:3], v4 offset0:112 offset1:136
	v_and_b32_e32 v4, 0xffff, v12
	v_lshrrev_b32_e32 v12, 16, v12
	s_wait_dscnt 0x2
	v_pk_fma_f16 v8, v8, v5, v20
	v_pk_fma_f16 v5, v9, v5, v6
	v_add_nc_u32_e32 v9, 0x800, v57
	v_mul_u32_u24_e32 v20, 0x10001, v4
	s_delay_alu instid0(VALU_DEP_4) | instskip(NEXT) | instid1(VALU_DEP_4)
	v_pk_fma_f16 v8, v10, v7, v8
	v_pk_fma_f16 v10, v11, v7, v5
	ds_load_2addr_b64 v[4:7], v9 offset0:32 offset1:56
	v_and_b32_e32 v11, 0xffff, v13
	v_lshrrev_b32_e32 v13, 16, v13
	v_mul_u32_u24_e32 v12, 0x10001, v12
	s_wait_dscnt 0x2
	v_pk_fma_f16 v8, v16, v20, v8
	v_pk_fma_f16 v10, v17, v20, v10
	v_mul_u32_u24_e32 v16, 0x10001, v11
	v_mul_u32_u24_e32 v13, 0x10001, v13
	s_delay_alu instid0(VALU_DEP_4) | instskip(NEXT) | instid1(VALU_DEP_4)
	v_pk_fma_f16 v17, v18, v12, v8
	v_pk_fma_f16 v12, v19, v12, v10
	ds_load_2addr_b64 v[8:11], v9 offset0:80 offset1:104
	v_and_b32_e32 v18, 0xffff, v14
	s_wait_dscnt 0x0
	v_pk_fma_f16 v0, v0, v16, v17
	v_pk_fma_f16 v1, v1, v16, v12
	v_lshrrev_b32_e32 v12, 16, v14
	v_mul_u32_u24_e32 v14, 0x10001, v18
	s_barrier_signal -1
	v_pk_fma_f16 v0, v2, v13, v0
	v_pk_fma_f16 v1, v3, v13, v1
	v_and_b32_e32 v2, 0xffff, v15
	s_barrier_wait -1
	s_delay_alu instid0(VALU_DEP_3) | instskip(NEXT) | instid1(VALU_DEP_3)
	v_pk_fma_f16 v0, v4, v14, v0
	v_pk_fma_f16 v1, v5, v14, v1
	v_lshrrev_b32_e32 v4, 16, v15
	v_mul_u32_u24_e32 v3, 0x10001, v12
	v_mul_u32_u24_e32 v2, 0x10001, v2
	s_delay_alu instid0(VALU_DEP_2) | instskip(SKIP_2) | instid1(VALU_DEP_3)
	v_pk_fma_f16 v0, v6, v3, v0
	v_pk_fma_f16 v1, v7, v3, v1
	v_mul_u32_u24_e32 v3, 0x10001, v4
	v_pk_fma_f16 v0, v8, v2, v0
	s_delay_alu instid0(VALU_DEP_3) | instskip(NEXT) | instid1(VALU_DEP_2)
	v_pk_fma_f16 v1, v9, v2, v1
	v_pk_fma_f16 v62, v10, v3, v0
	s_delay_alu instid0(VALU_DEP_2)
	v_pk_fma_f16 v61, v11, v3, v1
.LBB62_58:
	v_cmp_lt_i32_e32 vcc_lo, v44, v50
	s_cmp_eq_u64 s[12:13], 0
	s_cselect_b32 s3, -1, 0
	s_cmp_lg_u32 s29, 0
	v_cndmask_b32_e32 v0, v58, v44, vcc_lo
	v_cmp_lt_i32_e32 vcc_lo, v45, v50
	s_cselect_b32 s4, -1, 0
	s_delay_alu instid0(SALU_CYCLE_1) | instskip(NEXT) | instid1(VALU_DEP_2)
	s_or_b32 s3, s4, s3
	v_dual_cndmask_b32 v1, v58, v45 :: v_dual_lshlrev_b32 v0, 2, v0
	v_cmp_lt_i32_e32 vcc_lo, v46, v50
	s_delay_alu instid0(VALU_DEP_2)
	v_lshlrev_b32_e32 v1, 2, v1
	ds_bpermute_b32 v0, v0, v64
	v_cndmask_b32_e32 v2, v58, v46, vcc_lo
	v_cmp_lt_i32_e32 vcc_lo, v48, v50
	s_wait_dscnt 0x0
	v_add_f32_e32 v0, v64, v0
	ds_bpermute_b32 v1, v1, v0
	s_wait_dscnt 0x0
	v_dual_lshlrev_b32 v2, 2, v2 :: v_dual_add_f32 v0, v0, v1
	ds_bpermute_b32 v1, v2, v0
	v_cndmask_b32_e32 v2, v58, v48, vcc_lo
	v_cmp_lt_i32_e32 vcc_lo, v49, v50
	s_wait_dscnt 0x0
	s_delay_alu instid0(VALU_DEP_2) | instskip(SKIP_4) | instid1(VALU_DEP_1)
	v_dual_add_f32 v0, v0, v1 :: v_dual_lshlrev_b32 v2, 2, v2
	ds_bpermute_b32 v1, v2, v0
	v_cndmask_b32_e32 v2, v58, v49, vcc_lo
	s_and_b32 vcc_lo, exec_lo, s3
	s_wait_dscnt 0x0
	v_dual_add_f32 v0, v0, v1 :: v_dual_lshlrev_b32 v2, 2, v2
	ds_bpermute_b32 v1, v2, v0
	s_wait_dscnt 0x0
	v_add_f32_e32 v33, v0, v1
	s_cbranch_vccnz .LBB62_61
; %bb.59:
	v_mov_b32_e32 v0, s33
	global_load_b32 v1, v0, s[12:13] scale_offset
	s_wait_loadcnt 0x0
	v_dual_max_num_f32 v0, v32, v32 :: v_dual_max_num_f32 v2, v1, v1
	s_delay_alu instid0(VALU_DEP_1) | instskip(NEXT) | instid1(VALU_DEP_1)
	v_max_num_f32_e32 v0, v0, v2
	v_sub_f32_e32 v2, v32, v0
	s_delay_alu instid0(VALU_DEP_1) | instskip(NEXT) | instid1(VALU_DEP_1)
	v_mul_f32_e32 v3, 0x3fb8aa3b, v2
	v_fma_f32 v4, 0x3fb8aa3b, v2, -v3
	v_rndne_f32_e32 v5, v3
	s_delay_alu instid0(VALU_DEP_1) | instskip(NEXT) | instid1(VALU_DEP_3)
	v_dual_sub_f32 v3, v3, v5 :: v_dual_sub_f32 v1, v1, v0
	v_fmac_f32_e32 v4, 0x32a5705f, v2
	v_cvt_i32_f32_e32 v5, v5
	v_cmp_ngt_f32_e32 vcc_lo, 0xc2ce8ed0, v2
	s_delay_alu instid0(VALU_DEP_3) | instskip(NEXT) | instid1(VALU_DEP_1)
	v_dual_mul_f32 v6, 0x3fb8aa3b, v1 :: v_dual_add_f32 v3, v3, v4
	v_fma_f32 v7, 0x3fb8aa3b, v1, -v6
	s_delay_alu instid0(VALU_DEP_2) | instskip(SKIP_1) | instid1(VALU_DEP_2)
	v_exp_f32_e32 v3, v3
	v_rndne_f32_e32 v8, v6
	v_fmac_f32_e32 v7, 0x32a5705f, v1
	s_delay_alu instid0(TRANS32_DEP_1) | instskip(NEXT) | instid1(VALU_DEP_3)
	v_ldexp_f32 v3, v3, v5
	v_sub_f32_e32 v4, v6, v8
	v_cvt_i32_f32_e32 v5, v8
	s_delay_alu instid0(VALU_DEP_3) | instskip(SKIP_1) | instid1(VALU_DEP_2)
	v_cndmask_b32_e32 v3, 0, v3, vcc_lo
	v_cmp_nlt_f32_e32 vcc_lo, 0x42b17218, v2
	v_cndmask_b32_e32 v2, 0x7f800000, v3, vcc_lo
	v_add_f32_e32 v4, v4, v7
	v_cmp_ngt_f32_e32 vcc_lo, 0xc2ce8ed0, v1
	s_delay_alu instid0(VALU_DEP_2) | instskip(SKIP_1) | instid1(TRANS32_DEP_1)
	v_exp_f32_e32 v4, v4
	v_nop
	v_ldexp_f32 v3, v4, v5
	v_cvt_f16_f32_e32 v4, v2
	s_delay_alu instid0(VALU_DEP_2) | instskip(SKIP_1) | instid1(VALU_DEP_3)
	v_cndmask_b32_e32 v3, 0, v3, vcc_lo
	v_cmp_nlt_f32_e32 vcc_lo, 0x42b17218, v1
	v_and_b32_e32 v4, 0xffff, v4
	s_delay_alu instid0(VALU_DEP_3) | instskip(NEXT) | instid1(VALU_DEP_2)
	v_cndmask_b32_e32 v1, 0x7f800000, v3, vcc_lo
	v_mul_u32_u24_e32 v3, 0x10001, v4
	s_delay_alu instid0(VALU_DEP_2) | instskip(NEXT) | instid1(VALU_DEP_2)
	v_fmac_f32_e32 v1, v33, v2
	v_pk_mul_f16 v62, v62, v3
	v_pk_mul_f16 v61, v61, v3
	s_delay_alu instid0(VALU_DEP_3)
	v_mov_b64_e32 v[32:33], v[0:1]
	s_mov_b32 s3, exec_lo
	v_cmpx_gt_i32_e64 s22, v56
	s_cbranch_execnz .LBB62_62
.LBB62_60:
	s_sendmsg sendmsg(MSG_DEALLOC_VGPRS)
	s_endpgm
.LBB62_61:
	s_delay_alu instid0(VALU_DEP_1)
	v_mov_b32_e32 v1, v33
	s_mov_b32 s3, exec_lo
	v_cmpx_gt_i32_e64 s22, v56
	s_cbranch_execz .LBB62_60
.LBB62_62:
	v_mad_u32 v0, s28, s22, v56
	s_load_b32 s0, s[0:1], 0xd4
	s_delay_alu instid0(VALU_DEP_1) | instskip(SKIP_2) | instid1(VALU_DEP_1)
	v_mad_u32 v0, v0, s23, s33
	s_wait_kmcnt 0x0
	s_cmp_lg_u32 s0, 1
	v_mad_u32 v0, s0, v0, s29
	s_cselect_b32 s0, -1, 0
	s_and_saveexec_b32 s1, s2
	s_cbranch_execz .LBB62_64
; %bb.63:
	v_div_scale_f32 v2, null, v1, v1, 1.0
	v_div_scale_f32 v5, vcc_lo, 1.0, v1, 1.0
	v_lshrrev_b32_e32 v7, 16, v61
	s_delay_alu instid0(VALU_DEP_3) | instskip(NEXT) | instid1(VALU_DEP_1)
	v_rcp_f32_e32 v3, v2
	v_cvt_f32_f16_e32 v7, v7
	s_delay_alu instid0(TRANS32_DEP_1) | instskip(NEXT) | instid1(VALU_DEP_1)
	v_fma_f32 v4, -v2, v3, 1.0
	v_fmac_f32_e32 v3, v4, v3
	s_delay_alu instid0(VALU_DEP_1) | instskip(NEXT) | instid1(VALU_DEP_1)
	v_mul_f32_e32 v4, v5, v3
	v_fma_f32 v6, -v2, v4, v5
	s_delay_alu instid0(VALU_DEP_1) | instskip(SKIP_1) | instid1(VALU_DEP_2)
	v_fmac_f32_e32 v4, v6, v3
	v_cvt_f32_f16_e32 v6, v61
	v_dual_fma_f32 v2, -v2, v4, v5 :: v_dual_lshlrev_b32 v5, 2, v47
	s_delay_alu instid0(VALU_DEP_1) | instskip(NEXT) | instid1(VALU_DEP_2)
	v_div_fmas_f32 v4, v2, v3, v4
	v_mad_u32 v2, 0x60, v0, v5
	v_dual_lshrrev_b32 v5, 16, v62 :: v_dual_mov_b32 v3, 0
	s_delay_alu instid0(VALU_DEP_3) | instskip(SKIP_1) | instid1(VALU_DEP_3)
	v_div_fixup_f32 v1, v4, v1, 1.0
	v_cvt_f32_f16_e32 v4, v62
	v_cvt_f32_f16_e32 v5, v5
	s_delay_alu instid0(VALU_DEP_3) | instskip(SKIP_1) | instid1(VALU_DEP_2)
	v_cndmask_b32_e64 v8, v1, 1.0, s0
	v_lshl_add_u64 v[10:11], v[2:3], 2, s[16:17]
	v_pk_mul_f32 v[2:3], v[8:9], v[4:5] op_sel_hi:[0,1]
	v_pk_mul_f32 v[4:5], v[8:9], v[6:7] op_sel_hi:[0,1]
	global_store_b128 v[10:11], v[2:5], off
.LBB62_64:
	s_wait_xcnt 0x0
	s_or_b32 exec_lo, exec_lo, s1
	v_cmp_eq_u32_e32 vcc_lo, 0, v47
	s_and_b32 s0, vcc_lo, s0
	s_delay_alu instid0(SALU_CYCLE_1)
	s_and_b32 exec_lo, exec_lo, s0
	s_cbranch_execz .LBB62_60
; %bb.65:
	global_store_b64 v0, v[32:33], s[18:19] scale_offset
	s_sendmsg sendmsg(MSG_DEALLOC_VGPRS)
	s_endpgm
	.section	.rodata,"a",@progbits
	.p2align	6, 0x0
	.amdhsa_kernel _ZL15flash_attn_tileILi96ELi96ELi8ELi1ELb0EEvPKcS1_S1_S1_S1_PKiPfP15HIP_vector_typeIfLj2EEffffjfiS5_IjLj3EEiiiiiiiiiiiliiliiiiil
		.amdhsa_group_segment_fixed_size 5760
		.amdhsa_private_segment_fixed_size 32
		.amdhsa_kernarg_size 464
		.amdhsa_user_sgpr_count 2
		.amdhsa_user_sgpr_dispatch_ptr 0
		.amdhsa_user_sgpr_queue_ptr 0
		.amdhsa_user_sgpr_kernarg_segment_ptr 1
		.amdhsa_user_sgpr_dispatch_id 0
		.amdhsa_user_sgpr_kernarg_preload_length 0
		.amdhsa_user_sgpr_kernarg_preload_offset 0
		.amdhsa_user_sgpr_private_segment_size 0
		.amdhsa_wavefront_size32 1
		.amdhsa_uses_dynamic_stack 0
		.amdhsa_enable_private_segment 1
		.amdhsa_system_sgpr_workgroup_id_x 1
		.amdhsa_system_sgpr_workgroup_id_y 1
		.amdhsa_system_sgpr_workgroup_id_z 1
		.amdhsa_system_sgpr_workgroup_info 0
		.amdhsa_system_vgpr_workitem_id 1
		.amdhsa_next_free_vgpr 86
		.amdhsa_next_free_sgpr 46
		.amdhsa_named_barrier_count 0
		.amdhsa_reserve_vcc 1
		.amdhsa_float_round_mode_32 0
		.amdhsa_float_round_mode_16_64 0
		.amdhsa_float_denorm_mode_32 3
		.amdhsa_float_denorm_mode_16_64 3
		.amdhsa_fp16_overflow 0
		.amdhsa_memory_ordered 1
		.amdhsa_forward_progress 1
		.amdhsa_inst_pref_size 82
		.amdhsa_round_robin_scheduling 0
		.amdhsa_exception_fp_ieee_invalid_op 0
		.amdhsa_exception_fp_denorm_src 0
		.amdhsa_exception_fp_ieee_div_zero 0
		.amdhsa_exception_fp_ieee_overflow 0
		.amdhsa_exception_fp_ieee_underflow 0
		.amdhsa_exception_fp_ieee_inexact 0
		.amdhsa_exception_int_div_zero 0
	.end_amdhsa_kernel
	.section	.text._ZL15flash_attn_tileILi96ELi96ELi8ELi1ELb0EEvPKcS1_S1_S1_S1_PKiPfP15HIP_vector_typeIfLj2EEffffjfiS5_IjLj3EEiiiiiiiiiiiliiliiiiil,"axG",@progbits,_ZL15flash_attn_tileILi96ELi96ELi8ELi1ELb0EEvPKcS1_S1_S1_S1_PKiPfP15HIP_vector_typeIfLj2EEffffjfiS5_IjLj3EEiiiiiiiiiiiliiliiiiil,comdat
.Lfunc_end62:
	.size	_ZL15flash_attn_tileILi96ELi96ELi8ELi1ELb0EEvPKcS1_S1_S1_S1_PKiPfP15HIP_vector_typeIfLj2EEffffjfiS5_IjLj3EEiiiiiiiiiiiliiliiiiil, .Lfunc_end62-_ZL15flash_attn_tileILi96ELi96ELi8ELi1ELb0EEvPKcS1_S1_S1_S1_PKiPfP15HIP_vector_typeIfLj2EEffffjfiS5_IjLj3EEiiiiiiiiiiiliiliiiiil
                                        ; -- End function
	.set _ZL15flash_attn_tileILi96ELi96ELi8ELi1ELb0EEvPKcS1_S1_S1_S1_PKiPfP15HIP_vector_typeIfLj2EEffffjfiS5_IjLj3EEiiiiiiiiiiiliiliiiiil.num_vgpr, 86
	.set _ZL15flash_attn_tileILi96ELi96ELi8ELi1ELb0EEvPKcS1_S1_S1_S1_PKiPfP15HIP_vector_typeIfLj2EEffffjfiS5_IjLj3EEiiiiiiiiiiiliiliiiiil.num_agpr, 0
	.set _ZL15flash_attn_tileILi96ELi96ELi8ELi1ELb0EEvPKcS1_S1_S1_S1_PKiPfP15HIP_vector_typeIfLj2EEffffjfiS5_IjLj3EEiiiiiiiiiiiliiliiiiil.numbered_sgpr, 46
	.set _ZL15flash_attn_tileILi96ELi96ELi8ELi1ELb0EEvPKcS1_S1_S1_S1_PKiPfP15HIP_vector_typeIfLj2EEffffjfiS5_IjLj3EEiiiiiiiiiiiliiliiiiil.num_named_barrier, 0
	.set _ZL15flash_attn_tileILi96ELi96ELi8ELi1ELb0EEvPKcS1_S1_S1_S1_PKiPfP15HIP_vector_typeIfLj2EEffffjfiS5_IjLj3EEiiiiiiiiiiiliiliiiiil.private_seg_size, 32
	.set _ZL15flash_attn_tileILi96ELi96ELi8ELi1ELb0EEvPKcS1_S1_S1_S1_PKiPfP15HIP_vector_typeIfLj2EEffffjfiS5_IjLj3EEiiiiiiiiiiiliiliiiiil.uses_vcc, 1
	.set _ZL15flash_attn_tileILi96ELi96ELi8ELi1ELb0EEvPKcS1_S1_S1_S1_PKiPfP15HIP_vector_typeIfLj2EEffffjfiS5_IjLj3EEiiiiiiiiiiiliiliiiiil.uses_flat_scratch, 1
	.set _ZL15flash_attn_tileILi96ELi96ELi8ELi1ELb0EEvPKcS1_S1_S1_S1_PKiPfP15HIP_vector_typeIfLj2EEffffjfiS5_IjLj3EEiiiiiiiiiiiliiliiiiil.has_dyn_sized_stack, 0
	.set _ZL15flash_attn_tileILi96ELi96ELi8ELi1ELb0EEvPKcS1_S1_S1_S1_PKiPfP15HIP_vector_typeIfLj2EEffffjfiS5_IjLj3EEiiiiiiiiiiiliiliiiiil.has_recursion, 0
	.set _ZL15flash_attn_tileILi96ELi96ELi8ELi1ELb0EEvPKcS1_S1_S1_S1_PKiPfP15HIP_vector_typeIfLj2EEffffjfiS5_IjLj3EEiiiiiiiiiiiliiliiiiil.has_indirect_call, 0
	.section	.AMDGPU.csdata,"",@progbits
; Kernel info:
; codeLenInByte = 10376
; TotalNumSgprs: 48
; NumVgprs: 86
; ScratchSize: 32
; MemoryBound: 0
; FloatMode: 240
; IeeeMode: 1
; LDSByteSize: 5760 bytes/workgroup (compile time only)
; SGPRBlocks: 0
; VGPRBlocks: 5
; NumSGPRsForWavesPerEU: 48
; NumVGPRsForWavesPerEU: 86
; NamedBarCnt: 0
; Occupancy: 10
; WaveLimiterHint : 1
; COMPUTE_PGM_RSRC2:SCRATCH_EN: 1
; COMPUTE_PGM_RSRC2:USER_SGPR: 2
; COMPUTE_PGM_RSRC2:TRAP_HANDLER: 0
; COMPUTE_PGM_RSRC2:TGID_X_EN: 1
; COMPUTE_PGM_RSRC2:TGID_Y_EN: 1
; COMPUTE_PGM_RSRC2:TGID_Z_EN: 1
; COMPUTE_PGM_RSRC2:TIDIG_COMP_CNT: 1
	.section	.text._ZL33flash_attn_stream_k_fixup_uniformILi96ELi8ELi1EEvPfPK15HIP_vector_typeIfLj2EEiiiiiiS1_IjLj3EES5_S5_,"axG",@progbits,_ZL33flash_attn_stream_k_fixup_uniformILi96ELi8ELi1EEvPfPK15HIP_vector_typeIfLj2EEiiiiiiS1_IjLj3EES5_S5_,comdat
	.globl	_ZL33flash_attn_stream_k_fixup_uniformILi96ELi8ELi1EEvPfPK15HIP_vector_typeIfLj2EEiiiiiiS1_IjLj3EES5_S5_ ; -- Begin function _ZL33flash_attn_stream_k_fixup_uniformILi96ELi8ELi1EEvPfPK15HIP_vector_typeIfLj2EEiiiiiiS1_IjLj3EES5_S5_
	.p2align	8
	.type	_ZL33flash_attn_stream_k_fixup_uniformILi96ELi8ELi1EEvPfPK15HIP_vector_typeIfLj2EEiiiiiiS1_IjLj3EES5_S5_,@function
_ZL33flash_attn_stream_k_fixup_uniformILi96ELi8ELi1EEvPfPK15HIP_vector_typeIfLj2EEiiiiiiS1_IjLj3EES5_S5_: ; @_ZL33flash_attn_stream_k_fixup_uniformILi96ELi8ELi1EEvPfPK15HIP_vector_typeIfLj2EEiiiiiiS1_IjLj3EES5_S5_
; %bb.0:
	s_load_b256 s[4:11], s[0:1], 0x1c
	s_bfe_u32 s2, ttmp6, 0x40014
	s_lshr_b32 s3, ttmp7, 16
	s_add_co_i32 s2, s2, 1
	s_bfe_u32 s13, ttmp6, 0x40010
	s_mul_i32 s2, s3, s2
	s_bfe_u32 s12, ttmp6, 0x40008
	s_and_b32 s14, ttmp7, 0xffff
	s_add_co_i32 s13, s13, 1
	s_bfe_u32 s15, ttmp6, 0x4000c
	s_add_co_i32 s2, s12, s2
	s_mul_i32 s12, s14, s13
	s_bfe_u32 s13, ttmp6, 0x40004
	s_add_co_i32 s15, s15, 1
	s_add_co_i32 s13, s13, s12
	s_and_b32 s12, ttmp6, 15
	s_mul_i32 s15, ttmp9, s15
	s_getreg_b32 s20, hwreg(HW_REG_IB_STS2, 6, 4)
	s_add_co_i32 s12, s12, s15
	s_load_b128 s[16:19], s[0:1], 0x3c
	s_cmp_eq_u32 s20, 0
	s_cselect_b32 s12, ttmp9, s12
	s_cselect_b32 s13, s14, s13
	s_wait_kmcnt 0x0
	s_mul_hi_u32 s7, s7, s12
	s_cselect_b32 s14, s3, s2
	s_add_co_i32 s2, s12, s7
	s_delay_alu instid0(SALU_CYCLE_1) | instskip(NEXT) | instid1(SALU_CYCLE_1)
	s_lshr_b32 s7, s2, s8
	s_mul_i32 s2, s7, s9
	s_delay_alu instid0(SALU_CYCLE_1) | instskip(NEXT) | instid1(SALU_CYCLE_1)
	s_sub_co_i32 s8, s12, s2
	s_mul_hi_u32 s2, s8, s10
	s_delay_alu instid0(SALU_CYCLE_1) | instskip(SKIP_2) | instid1(SALU_CYCLE_1)
	s_add_co_i32 s9, s8, s2
	s_load_b64 s[2:3], s[0:1], 0x10
	s_lshr_b32 s15, s9, s11
	s_mul_i32 s9, s15, s16
	s_delay_alu instid0(SALU_CYCLE_1) | instskip(NEXT) | instid1(SALU_CYCLE_1)
	s_sub_co_i32 s8, s8, s9
	s_mul_hi_u32 s9, s8, s17
	s_delay_alu instid0(SALU_CYCLE_1) | instskip(NEXT) | instid1(SALU_CYCLE_1)
	s_add_co_i32 s9, s8, s9
	s_lshr_b32 s17, s9, s18
	s_delay_alu instid0(SALU_CYCLE_1) | instskip(NEXT) | instid1(SALU_CYCLE_1)
	s_mul_i32 s9, s17, s19
	s_sub_co_i32 s16, s8, s9
	s_delay_alu instid0(SALU_CYCLE_1) | instskip(NEXT) | instid1(SALU_CYCLE_1)
	s_lshl_b32 s8, s16, 3
	s_add_co_i32 s8, s8, s13
	s_wait_kmcnt 0x0
	s_cmp_lt_i32 s8, s2
	s_cselect_b32 s8, -1, 0
	s_add_co_i32 s17, s17, s14
	s_delay_alu instid0(SALU_CYCLE_1) | instskip(SKIP_1) | instid1(SALU_CYCLE_1)
	s_cmp_lt_i32 s17, s5
	s_cselect_b32 s9, -1, 0
	s_and_b32 s8, s8, s9
	s_delay_alu instid0(SALU_CYCLE_1)
	s_and_not1_b32 vcc_lo, exec_lo, s8
	s_cbranch_vccnz .LBB63_6
; %bb.1:
	s_load_b128 s[8:11], s[0:1], 0x0
	s_wait_xcnt 0x0
	s_mul_i32 s0, s7, s2
	s_mul_i32 s15, s15, s5
	s_add_co_i32 s0, s0, s13
	s_add_co_i32 s1, s17, s15
	s_mul_i32 s0, s0, s3
	s_mul_i32 s2, s3, s16
	s_add_co_i32 s0, s1, s0
	s_mulk_i32 s2, 0x300
	s_mulk_i32 s0, 0x60
	s_mul_i32 s7, s6, s12
	v_add3_u32 v4, s0, s2, v0
	s_add_co_i32 s5, s7, s6
	s_add_co_i32 s13, s13, s14
	s_lshl_b32 s0, s5, 3
	s_add_co_i32 s2, s5, -2
	s_add_co_i32 s0, s13, s0
	v_ashrrev_i32_e32 v5, 31, v4
	s_add_co_i32 s0, s0, -8
	s_delay_alu instid0(SALU_CYCLE_1)
	s_ashr_i32 s1, s0, 31
	s_wait_kmcnt 0x0
	global_load_b32 v3, v4, s[8:9] scale_offset
	s_lshl_b64 s[0:1], s[0:1], 3
	s_cmp_lt_i32 s2, s7
	s_add_nc_u64 s[0:1], s[10:11], s[0:1]
	s_load_b32 s14, s[0:1], 0x4
	s_cbranch_scc1 .LBB63_4
; %bb.2:
	s_wait_xcnt 0x0
	s_load_b32 s0, s[0:1], 0x0
	s_add_co_i32 s12, s12, 1
	s_lshl_b32 s2, s4, 5
	s_wait_xcnt 0x0
	s_mul_i32 s1, s6, s12
	s_mul_i32 s6, s13, 0x60
	s_lshl_b32 s12, s1, 3
	s_mulk_i32 s1, 0x300
	s_ashr_i32 s3, s2, 31
	s_add_co_i32 s6, s6, s1
	s_add_co_i32 s12, s13, s12
	s_lshl_b32 s1, s4, 3
	v_add3_u32 v0, s6, v0, 0xfffffa00
	s_wait_kmcnt 0x0
	v_mov_b32_e32 v2, s14
	s_lshl_b64 s[2:3], s[2:3], 2
	s_add_co_i32 s4, s12, s1
	s_add_nc_u64 s[2:3], s[10:11], s[2:3]
	s_add_co_i32 s1, s5, -1
	s_add_co_i32 s4, s4, -16
.LBB63_3:                               ; =>This Inner Loop Header: Depth=1
	global_load_b32 v7, v0, s[2:3] scale_offset
	s_ashr_i32 s5, s4, 31
	v_max_num_f32_e64 v1, s0, s0
	s_lshl_b64 s[12:13], s[4:5], 3
	s_delay_alu instid0(SALU_CYCLE_1) | instskip(SKIP_1) | instid1(VALU_DEP_1)
	s_add_nc_u64 s[12:13], s[10:11], s[12:13]
	s_load_b64 s[12:13], s[12:13], 0x0
	v_readfirstlane_b32 s5, v1
	v_add_nc_u32_e32 v0, 0xfffffd00, v0
	s_wait_kmcnt 0x0
	v_max_num_f32_e64 v1, s12, s12
	s_delay_alu instid0(VALU_DEP_1) | instskip(SKIP_1) | instid1(SALU_CYCLE_3)
	v_readfirstlane_b32 s6, v1
	s_max_num_f32 s5, s5, s6
	s_sub_f32 s0, s0, s5
	s_sub_f32 s6, s12, s5
	s_delay_alu instid0(SALU_CYCLE_2) | instskip(NEXT) | instid1(SALU_CYCLE_2)
	s_mul_f32 s12, s0, 0x3fb8aa3b
	s_mul_f32 s14, s6, 0x3fb8aa3b
	s_delay_alu instid0(SALU_CYCLE_2)
	s_xor_b32 s15, s12, 0x80000000
	s_rndne_f32 s16, s12
	s_fmamk_f32 s15, s0, 0x3fb8aa3b, s15
	s_cmp_nlt_f32 s0, 0xc2ce8ed0
	s_rndne_f32 s17, s14
	s_sub_f32 s12, s12, s16
	s_fmamk_f32 s15, s0, 0x32a5705f, s15
	s_cselect_b32 vcc_lo, -1, 0
	s_cmp_ngt_f32 s0, 0x42b17218
	s_delay_alu instid0(SALU_CYCLE_1) | instskip(SKIP_2) | instid1(SALU_CYCLE_1)
	s_add_f32 s12, s12, s15
	s_cvt_i32_f32 s15, s16
	s_sub_f32 s16, s14, s17
	v_s_exp_f32 s12, s12
	v_nop
	s_delay_alu instid0(TRANS32_DEP_1) | instskip(SKIP_1) | instid1(VALU_DEP_1)
	v_ldexp_f32 v1, s12, s15
	s_cvt_i32_f32 s12, s17
	v_cndmask_b32_e32 v1, 0, v1, vcc_lo
	s_cselect_b32 vcc_lo, -1, 0
	s_cmp_ge_f32 s0, 0xc1a00000
	s_delay_alu instid0(VALU_DEP_1)
	v_cndmask_b32_e32 v1, 0x7f800000, v1, vcc_lo
	s_cselect_b32 vcc_lo, -1, 0
	s_xor_b32 s0, s14, 0x80000000
	s_cmp_nlt_f32 s6, 0xc2ce8ed0
	s_fmamk_f32 s0, s6, 0x3fb8aa3b, s0
	v_cndmask_b32_e32 v10, 0, v1, vcc_lo
	s_delay_alu instid0(SALU_CYCLE_2) | instskip(NEXT) | instid1(SALU_CYCLE_3)
	s_fmamk_f32 s0, s6, 0x32a5705f, s0
	s_add_f32 s0, s16, s0
	s_delay_alu instid0(SALU_CYCLE_3) | instskip(SKIP_1) | instid1(TRANS32_DEP_1)
	v_s_exp_f32 s0, s0
	v_nop
	v_ldexp_f32 v6, s0, s12
	s_cselect_b32 s0, -1, 0
	s_cmp_ngt_f32 s6, 0x42b17218
	s_delay_alu instid0(VALU_DEP_1) | instskip(SKIP_2) | instid1(VALU_DEP_1)
	v_cndmask_b32_e64 v6, 0, v6, s0
	s_cselect_b32 s0, -1, 0
	s_cmp_ge_f32 s6, 0xc1a00000
	v_cndmask_b32_e64 v8, 0x7f800000, v6, s0
	s_cselect_b32 s0, -1, 0
	v_mov_b32_e32 v6, s13
	s_add_co_i32 s1, s1, -1
	s_add_co_i32 s4, s4, -8
	v_cndmask_b32_e64 v8, 0, v8, s0
	s_cmp_le_i32 s1, s7
	s_mov_b32 s0, s5
	s_wait_loadcnt 0x0
	s_delay_alu instid0(VALU_DEP_1) | instskip(NEXT) | instid1(VALU_DEP_1)
	v_pk_mul_f32 v[6:7], v[6:7], v[8:9] op_sel_hi:[1,0]
	v_pk_fma_f32 v[2:3], v[2:3], v[10:11], v[6:7] op_sel_hi:[1,0,1]
	s_cbranch_scc0 .LBB63_3
	s_branch .LBB63_5
.LBB63_4:
	s_wait_kmcnt 0x0
	v_mov_b32_e32 v2, s14
.LBB63_5:
	v_lshl_add_u64 v[0:1], v[4:5], 2, s[8:9]
	s_wait_loadcnt 0x0
	s_delay_alu instid0(VALU_DEP_2) | instskip(NEXT) | instid1(VALU_DEP_1)
	v_div_scale_f32 v4, null, v2, v2, v3
	v_rcp_f32_e32 v5, v4
	v_nop
	s_delay_alu instid0(TRANS32_DEP_1) | instskip(NEXT) | instid1(VALU_DEP_1)
	v_fma_f32 v6, -v4, v5, 1.0
	v_fmac_f32_e32 v5, v6, v5
	v_div_scale_f32 v6, vcc_lo, v3, v2, v3
	s_delay_alu instid0(VALU_DEP_1) | instskip(NEXT) | instid1(VALU_DEP_1)
	v_mul_f32_e32 v7, v6, v5
	v_fma_f32 v8, -v4, v7, v6
	s_delay_alu instid0(VALU_DEP_1) | instskip(NEXT) | instid1(VALU_DEP_1)
	v_fmac_f32_e32 v7, v8, v5
	v_fma_f32 v4, -v4, v7, v6
	s_delay_alu instid0(VALU_DEP_1) | instskip(NEXT) | instid1(VALU_DEP_1)
	v_div_fmas_f32 v4, v4, v5, v7
	v_div_fixup_f32 v2, v4, v2, v3
	global_store_b32 v[0:1], v2, off
.LBB63_6:
	s_endpgm
	.section	.rodata,"a",@progbits
	.p2align	6, 0x0
	.amdhsa_kernel _ZL33flash_attn_stream_k_fixup_uniformILi96ELi8ELi1EEvPfPK15HIP_vector_typeIfLj2EEiiiiiiS1_IjLj3EES5_S5_
		.amdhsa_group_segment_fixed_size 0
		.amdhsa_private_segment_fixed_size 0
		.amdhsa_kernarg_size 76
		.amdhsa_user_sgpr_count 2
		.amdhsa_user_sgpr_dispatch_ptr 0
		.amdhsa_user_sgpr_queue_ptr 0
		.amdhsa_user_sgpr_kernarg_segment_ptr 1
		.amdhsa_user_sgpr_dispatch_id 0
		.amdhsa_user_sgpr_kernarg_preload_length 0
		.amdhsa_user_sgpr_kernarg_preload_offset 0
		.amdhsa_user_sgpr_private_segment_size 0
		.amdhsa_wavefront_size32 1
		.amdhsa_uses_dynamic_stack 0
		.amdhsa_enable_private_segment 0
		.amdhsa_system_sgpr_workgroup_id_x 1
		.amdhsa_system_sgpr_workgroup_id_y 1
		.amdhsa_system_sgpr_workgroup_id_z 1
		.amdhsa_system_sgpr_workgroup_info 0
		.amdhsa_system_vgpr_workitem_id 0
		.amdhsa_next_free_vgpr 12
		.amdhsa_next_free_sgpr 21
		.amdhsa_named_barrier_count 0
		.amdhsa_reserve_vcc 1
		.amdhsa_float_round_mode_32 0
		.amdhsa_float_round_mode_16_64 0
		.amdhsa_float_denorm_mode_32 3
		.amdhsa_float_denorm_mode_16_64 3
		.amdhsa_fp16_overflow 0
		.amdhsa_memory_ordered 1
		.amdhsa_forward_progress 1
		.amdhsa_inst_pref_size 9
		.amdhsa_round_robin_scheduling 0
		.amdhsa_exception_fp_ieee_invalid_op 0
		.amdhsa_exception_fp_denorm_src 0
		.amdhsa_exception_fp_ieee_div_zero 0
		.amdhsa_exception_fp_ieee_overflow 0
		.amdhsa_exception_fp_ieee_underflow 0
		.amdhsa_exception_fp_ieee_inexact 0
		.amdhsa_exception_int_div_zero 0
	.end_amdhsa_kernel
	.section	.text._ZL33flash_attn_stream_k_fixup_uniformILi96ELi8ELi1EEvPfPK15HIP_vector_typeIfLj2EEiiiiiiS1_IjLj3EES5_S5_,"axG",@progbits,_ZL33flash_attn_stream_k_fixup_uniformILi96ELi8ELi1EEvPfPK15HIP_vector_typeIfLj2EEiiiiiiS1_IjLj3EES5_S5_,comdat
.Lfunc_end63:
	.size	_ZL33flash_attn_stream_k_fixup_uniformILi96ELi8ELi1EEvPfPK15HIP_vector_typeIfLj2EEiiiiiiS1_IjLj3EES5_S5_, .Lfunc_end63-_ZL33flash_attn_stream_k_fixup_uniformILi96ELi8ELi1EEvPfPK15HIP_vector_typeIfLj2EEiiiiiiS1_IjLj3EES5_S5_
                                        ; -- End function
	.set _ZL33flash_attn_stream_k_fixup_uniformILi96ELi8ELi1EEvPfPK15HIP_vector_typeIfLj2EEiiiiiiS1_IjLj3EES5_S5_.num_vgpr, 12
	.set _ZL33flash_attn_stream_k_fixup_uniformILi96ELi8ELi1EEvPfPK15HIP_vector_typeIfLj2EEiiiiiiS1_IjLj3EES5_S5_.num_agpr, 0
	.set _ZL33flash_attn_stream_k_fixup_uniformILi96ELi8ELi1EEvPfPK15HIP_vector_typeIfLj2EEiiiiiiS1_IjLj3EES5_S5_.numbered_sgpr, 21
	.set _ZL33flash_attn_stream_k_fixup_uniformILi96ELi8ELi1EEvPfPK15HIP_vector_typeIfLj2EEiiiiiiS1_IjLj3EES5_S5_.num_named_barrier, 0
	.set _ZL33flash_attn_stream_k_fixup_uniformILi96ELi8ELi1EEvPfPK15HIP_vector_typeIfLj2EEiiiiiiS1_IjLj3EES5_S5_.private_seg_size, 0
	.set _ZL33flash_attn_stream_k_fixup_uniformILi96ELi8ELi1EEvPfPK15HIP_vector_typeIfLj2EEiiiiiiS1_IjLj3EES5_S5_.uses_vcc, 1
	.set _ZL33flash_attn_stream_k_fixup_uniformILi96ELi8ELi1EEvPfPK15HIP_vector_typeIfLj2EEiiiiiiS1_IjLj3EES5_S5_.uses_flat_scratch, 0
	.set _ZL33flash_attn_stream_k_fixup_uniformILi96ELi8ELi1EEvPfPK15HIP_vector_typeIfLj2EEiiiiiiS1_IjLj3EES5_S5_.has_dyn_sized_stack, 0
	.set _ZL33flash_attn_stream_k_fixup_uniformILi96ELi8ELi1EEvPfPK15HIP_vector_typeIfLj2EEiiiiiiS1_IjLj3EES5_S5_.has_recursion, 0
	.set _ZL33flash_attn_stream_k_fixup_uniformILi96ELi8ELi1EEvPfPK15HIP_vector_typeIfLj2EEiiiiiiS1_IjLj3EES5_S5_.has_indirect_call, 0
	.section	.AMDGPU.csdata,"",@progbits
; Kernel info:
; codeLenInByte = 1072
; TotalNumSgprs: 23
; NumVgprs: 12
; ScratchSize: 0
; MemoryBound: 0
; FloatMode: 240
; IeeeMode: 1
; LDSByteSize: 0 bytes/workgroup (compile time only)
; SGPRBlocks: 0
; VGPRBlocks: 0
; NumSGPRsForWavesPerEU: 23
; NumVGPRsForWavesPerEU: 12
; NamedBarCnt: 0
; Occupancy: 16
; WaveLimiterHint : 0
; COMPUTE_PGM_RSRC2:SCRATCH_EN: 0
; COMPUTE_PGM_RSRC2:USER_SGPR: 2
; COMPUTE_PGM_RSRC2:TRAP_HANDLER: 0
; COMPUTE_PGM_RSRC2:TGID_X_EN: 1
; COMPUTE_PGM_RSRC2:TGID_Y_EN: 1
; COMPUTE_PGM_RSRC2:TGID_Z_EN: 1
; COMPUTE_PGM_RSRC2:TIDIG_COMP_CNT: 0
	.section	.text._ZL33flash_attn_stream_k_fixup_generalILi96ELi8ELi1EEvPfPK15HIP_vector_typeIfLj2EEiiiiS1_IjLj3EES5_S5_S5_,"axG",@progbits,_ZL33flash_attn_stream_k_fixup_generalILi96ELi8ELi1EEvPfPK15HIP_vector_typeIfLj2EEiiiiS1_IjLj3EES5_S5_S5_,comdat
	.globl	_ZL33flash_attn_stream_k_fixup_generalILi96ELi8ELi1EEvPfPK15HIP_vector_typeIfLj2EEiiiiS1_IjLj3EES5_S5_S5_ ; -- Begin function _ZL33flash_attn_stream_k_fixup_generalILi96ELi8ELi1EEvPfPK15HIP_vector_typeIfLj2EEiiiiS1_IjLj3EES5_S5_S5_
	.p2align	8
	.type	_ZL33flash_attn_stream_k_fixup_generalILi96ELi8ELi1EEvPfPK15HIP_vector_typeIfLj2EEiiiiS1_IjLj3EES5_S5_S5_,@function
_ZL33flash_attn_stream_k_fixup_generalILi96ELi8ELi1EEvPfPK15HIP_vector_typeIfLj2EEiiiiS1_IjLj3EES5_S5_S5_: ; @_ZL33flash_attn_stream_k_fixup_generalILi96ELi8ELi1EEvPfPK15HIP_vector_typeIfLj2EEiiiiS1_IjLj3EES5_S5_S5_
; %bb.0:
	s_clause 0x1
	s_load_b128 s[4:7], s[0:1], 0x10
	s_load_b32 s16, s[0:1], 0x50
	s_bfe_u32 s2, ttmp6, 0x4000c
	s_and_b32 s3, ttmp6, 15
	s_add_co_i32 s2, s2, 1
	s_getreg_b32 s15, hwreg(HW_REG_IB_STS2, 6, 4)
	s_mul_i32 s2, ttmp9, s2
	s_mov_b32 s17, 0
	s_add_co_i32 s3, s3, s2
	s_cmp_eq_u32 s15, 0
	s_cselect_b32 s2, ttmp9, s3
	s_delay_alu instid0(SALU_CYCLE_1) | instskip(SKIP_3) | instid1(SALU_CYCLE_1)
	s_ashr_i32 s3, s2, 31
	s_wait_kmcnt 0x0
	s_ashr_i32 s19, s7, 31
	s_mov_b32 s18, s7
	s_mul_u64 s[8:9], s[18:19], s[2:3]
	s_delay_alu instid0(SALU_CYCLE_1) | instskip(NEXT) | instid1(SALU_CYCLE_1)
	s_and_b64 s[10:11], s[8:9], 0xffffffff00000000
	s_cmp_lg_u64 s[10:11], 0
	s_cbranch_scc0 .LBB64_21
; %bb.1:
	s_add_nc_u64 s[10:11], s[16:17], 0
	s_mov_b32 s23, s17
	s_xor_b64 s[10:11], s[10:11], 0
	s_mov_b32 s27, s17
	s_cvt_f32_u32 s3, s10
	s_cvt_f32_u32 s7, s11
	s_sub_nc_u64 s[20:21], 0, s[10:11]
	s_delay_alu instid0(SALU_CYCLE_2) | instskip(NEXT) | instid1(SALU_CYCLE_3)
	s_fmamk_f32 s3, s7, 0x4f800000, s3
	v_s_rcp_f32 s3, s3
	s_delay_alu instid0(TRANS32_DEP_1) | instskip(NEXT) | instid1(SALU_CYCLE_3)
	s_mul_f32 s3, s3, 0x5f7ffffc
	s_mul_f32 s7, s3, 0x2f800000
	s_delay_alu instid0(SALU_CYCLE_3) | instskip(NEXT) | instid1(SALU_CYCLE_3)
	s_trunc_f32 s7, s7
	s_fmamk_f32 s3, s7, 0xcf800000, s3
	s_cvt_u32_f32 s13, s7
	s_delay_alu instid0(SALU_CYCLE_2) | instskip(NEXT) | instid1(SALU_CYCLE_3)
	s_cvt_u32_f32 s12, s3
	s_mul_u64 s[24:25], s[20:21], s[12:13]
	s_delay_alu instid0(SALU_CYCLE_1)
	s_mul_hi_u32 s29, s12, s25
	s_mul_i32 s28, s12, s25
	s_mul_hi_u32 s22, s12, s24
	s_mul_i32 s7, s13, s24
	s_add_nc_u64 s[22:23], s[22:23], s[28:29]
	s_mul_hi_u32 s3, s13, s24
	s_mul_hi_u32 s14, s13, s25
	s_add_co_u32 s7, s22, s7
	s_add_co_ci_u32 s26, s23, s3
	s_mul_i32 s24, s13, s25
	s_add_co_ci_u32 s25, s14, 0
	s_delay_alu instid0(SALU_CYCLE_1) | instskip(SKIP_3) | instid1(SALU_CYCLE_1)
	s_add_nc_u64 s[22:23], s[26:27], s[24:25]
	s_mov_b32 s25, s17
	s_add_co_u32 s12, s12, s22
	s_cselect_b32 s3, -1, 0
	s_cmp_lg_u32 s3, 0
	s_add_co_ci_u32 s13, s13, s23
	s_mov_b32 s23, s17
	s_mul_u64 s[20:21], s[20:21], s[12:13]
	s_delay_alu instid0(SALU_CYCLE_1)
	s_mul_hi_u32 s27, s12, s21
	s_mul_i32 s26, s12, s21
	s_mul_hi_u32 s22, s12, s20
	s_mul_i32 s7, s13, s20
	s_add_nc_u64 s[22:23], s[22:23], s[26:27]
	s_mul_hi_u32 s3, s13, s20
	s_mul_hi_u32 s14, s13, s21
	s_add_co_u32 s7, s22, s7
	s_add_co_ci_u32 s24, s23, s3
	s_mul_i32 s20, s13, s21
	s_add_co_ci_u32 s21, s14, 0
	s_mov_b32 s23, s17
	s_add_nc_u64 s[20:21], s[24:25], s[20:21]
	s_delay_alu instid0(SALU_CYCLE_1) | instskip(SKIP_1) | instid1(SALU_CYCLE_1)
	s_add_co_u32 s3, s12, s20
	s_cselect_b32 s7, -1, 0
	s_cmp_lg_u32 s7, 0
	s_add_co_ci_u32 s7, s13, s21
	s_ashr_i32 s12, s9, 31
	s_delay_alu instid0(SALU_CYCLE_1) | instskip(NEXT) | instid1(SALU_CYCLE_1)
	s_mov_b32 s13, s12
	s_add_nc_u64 s[20:21], s[8:9], s[12:13]
	s_delay_alu instid0(SALU_CYCLE_1) | instskip(NEXT) | instid1(SALU_CYCLE_1)
	s_xor_b64 s[20:21], s[20:21], s[12:13]
	s_mul_hi_u32 s27, s20, s7
	s_mul_i32 s26, s20, s7
	s_mul_hi_u32 s22, s20, s3
	s_mul_hi_u32 s14, s21, s3
	s_mul_i32 s3, s21, s3
	s_add_nc_u64 s[22:23], s[22:23], s[26:27]
	s_mul_hi_u32 s9, s21, s7
	s_add_co_u32 s3, s22, s3
	s_add_co_ci_u32 s24, s23, s14
	s_mul_i32 s26, s21, s7
	s_add_co_ci_u32 s27, s9, 0
	s_delay_alu instid0(SALU_CYCLE_1) | instskip(NEXT) | instid1(SALU_CYCLE_1)
	s_add_nc_u64 s[22:23], s[24:25], s[26:27]
	s_and_b64 s[24:25], s[22:23], 0xffffffff00000000
	s_delay_alu instid0(SALU_CYCLE_1) | instskip(NEXT) | instid1(SALU_CYCLE_1)
	s_or_b32 s24, s24, s22
	s_mul_u64 s[22:23], s[10:11], s[24:25]
	s_add_nc_u64 s[26:27], s[24:25], 1
	s_sub_co_u32 s3, s20, s22
	s_cselect_b32 s7, -1, 0
	s_sub_co_i32 s9, s21, s23
	s_cmp_lg_u32 s7, 0
	s_add_nc_u64 s[28:29], s[24:25], 2
	s_sub_co_ci_u32 s9, s9, s11
	s_sub_co_u32 s14, s3, s10
	s_cselect_b32 s20, -1, 0
	s_delay_alu instid0(SALU_CYCLE_1) | instskip(SKIP_1) | instid1(SALU_CYCLE_1)
	s_cmp_lg_u32 s20, 0
	s_sub_co_ci_u32 s9, s9, 0
	s_cmp_ge_u32 s9, s11
	s_cselect_b32 s20, -1, 0
	s_cmp_ge_u32 s14, s10
	s_cselect_b32 s14, -1, 0
	s_cmp_eq_u32 s9, s11
	s_cselect_b32 s9, s14, s20
	s_delay_alu instid0(SALU_CYCLE_1) | instskip(SKIP_4) | instid1(SALU_CYCLE_1)
	s_cmp_lg_u32 s9, 0
	s_cselect_b32 s9, s28, s26
	s_cselect_b32 s14, s29, s27
	s_cmp_lg_u32 s7, 0
	s_sub_co_ci_u32 s7, s21, s23
	s_cmp_ge_u32 s7, s11
	s_cselect_b32 s20, -1, 0
	s_cmp_ge_u32 s3, s10
	s_cselect_b32 s3, -1, 0
	s_cmp_eq_u32 s7, s11
	s_cselect_b32 s3, s3, s20
	s_delay_alu instid0(SALU_CYCLE_1) | instskip(SKIP_4) | instid1(SALU_CYCLE_1)
	s_cmp_lg_u32 s3, 0
	s_mov_b32 s3, s17
	s_cselect_b32 s11, s14, s25
	s_cselect_b32 s10, s9, s24
	s_xor_b64 s[12:13], s[12:13], 0
	s_xor_b64 s[10:11], s[10:11], s[12:13]
	s_delay_alu instid0(SALU_CYCLE_1)
	s_sub_nc_u64 s[20:21], s[10:11], s[12:13]
	s_and_not1_b32 vcc_lo, exec_lo, s3
	s_cbranch_vccnz .LBB64_3
.LBB64_2:
	v_cvt_f32_u32_e32 v1, s16
	s_sub_co_i32 s7, 0, s16
	s_mov_b32 s21, 0
	s_delay_alu instid0(VALU_DEP_1) | instskip(SKIP_1) | instid1(TRANS32_DEP_1)
	v_rcp_iflag_f32_e32 v1, v1
	v_nop
	v_mul_f32_e32 v1, 0x4f7ffffe, v1
	s_delay_alu instid0(VALU_DEP_1) | instskip(NEXT) | instid1(VALU_DEP_1)
	v_cvt_u32_f32_e32 v1, v1
	v_readfirstlane_b32 s3, v1
	s_mul_i32 s7, s7, s3
	s_delay_alu instid0(SALU_CYCLE_1) | instskip(NEXT) | instid1(SALU_CYCLE_1)
	s_mul_hi_u32 s7, s3, s7
	s_add_co_i32 s3, s3, s7
	s_delay_alu instid0(SALU_CYCLE_1) | instskip(NEXT) | instid1(SALU_CYCLE_1)
	s_mul_hi_u32 s3, s8, s3
	s_mul_i32 s7, s3, s16
	s_delay_alu instid0(SALU_CYCLE_1)
	s_sub_co_i32 s7, s8, s7
	s_add_co_i32 s8, s3, 1
	s_sub_co_i32 s9, s7, s16
	s_cmp_ge_u32 s7, s16
	s_cselect_b32 s3, s8, s3
	s_cselect_b32 s7, s9, s7
	s_add_co_i32 s8, s3, 1
	s_cmp_ge_u32 s7, s16
	s_cselect_b32 s20, s8, s3
.LBB64_3:
	s_add_co_i32 s8, s2, 1
	s_delay_alu instid0(SALU_CYCLE_1) | instskip(NEXT) | instid1(SALU_CYCLE_1)
	s_ashr_i32 s9, s8, 31
	s_mul_u64 s[8:9], s[18:19], s[8:9]
	s_delay_alu instid0(SALU_CYCLE_1) | instskip(NEXT) | instid1(SALU_CYCLE_1)
	s_and_b64 s[10:11], s[8:9], 0xffffffff00000000
	s_cmp_lg_u64 s[10:11], 0
	s_cbranch_scc0 .LBB64_22
; %bb.4:
	s_add_nc_u64 s[10:11], s[16:17], 0
	s_delay_alu instid0(SALU_CYCLE_1) | instskip(SKIP_4) | instid1(SALU_CYCLE_2)
	s_xor_b64 s[12:13], s[10:11], 0
	s_mov_b32 s11, 0
	s_cvt_f32_u32 s3, s12
	s_cvt_f32_u32 s7, s13
	s_sub_nc_u64 s[24:25], 0, s[12:13]
	s_fmamk_f32 s3, s7, 0x4f800000, s3
	s_delay_alu instid0(SALU_CYCLE_3) | instskip(NEXT) | instid1(TRANS32_DEP_1)
	v_s_rcp_f32 s3, s3
	s_mul_f32 s3, s3, 0x5f7ffffc
	s_delay_alu instid0(SALU_CYCLE_3) | instskip(NEXT) | instid1(SALU_CYCLE_3)
	s_mul_f32 s7, s3, 0x2f800000
	s_trunc_f32 s7, s7
	s_delay_alu instid0(SALU_CYCLE_3) | instskip(SKIP_1) | instid1(SALU_CYCLE_2)
	s_fmamk_f32 s3, s7, 0xcf800000, s3
	s_cvt_u32_f32 s23, s7
	s_cvt_u32_f32 s22, s3
	s_delay_alu instid0(SALU_CYCLE_3) | instskip(NEXT) | instid1(SALU_CYCLE_1)
	s_mul_u64 s[26:27], s[24:25], s[22:23]
	s_mul_hi_u32 s29, s22, s27
	s_mul_i32 s28, s22, s27
	s_mul_hi_u32 s10, s22, s26
	s_mul_i32 s7, s23, s26
	s_add_nc_u64 s[28:29], s[10:11], s[28:29]
	s_mul_hi_u32 s3, s23, s26
	s_mul_hi_u32 s14, s23, s27
	s_add_co_u32 s7, s28, s7
	s_add_co_ci_u32 s10, s29, s3
	s_mul_i32 s26, s23, s27
	s_add_co_ci_u32 s27, s14, 0
	s_delay_alu instid0(SALU_CYCLE_1) | instskip(NEXT) | instid1(SALU_CYCLE_1)
	s_add_nc_u64 s[26:27], s[10:11], s[26:27]
	s_add_co_u32 s22, s22, s26
	s_cselect_b32 s3, -1, 0
	s_delay_alu instid0(SALU_CYCLE_1) | instskip(SKIP_1) | instid1(SALU_CYCLE_1)
	s_cmp_lg_u32 s3, 0
	s_add_co_ci_u32 s23, s23, s27
	s_mul_u64 s[24:25], s[24:25], s[22:23]
	s_delay_alu instid0(SALU_CYCLE_1)
	s_mul_hi_u32 s27, s22, s25
	s_mul_i32 s26, s22, s25
	s_mul_hi_u32 s10, s22, s24
	s_mul_i32 s7, s23, s24
	s_add_nc_u64 s[26:27], s[10:11], s[26:27]
	s_mul_hi_u32 s3, s23, s24
	s_mul_hi_u32 s14, s23, s25
	s_add_co_u32 s7, s26, s7
	s_add_co_ci_u32 s10, s27, s3
	s_mul_i32 s24, s23, s25
	s_add_co_ci_u32 s25, s14, 0
	s_delay_alu instid0(SALU_CYCLE_1) | instskip(NEXT) | instid1(SALU_CYCLE_1)
	s_add_nc_u64 s[24:25], s[10:11], s[24:25]
	s_add_co_u32 s3, s22, s24
	s_cselect_b32 s7, -1, 0
	s_delay_alu instid0(SALU_CYCLE_1) | instskip(SKIP_2) | instid1(SALU_CYCLE_1)
	s_cmp_lg_u32 s7, 0
	s_add_co_ci_u32 s7, s23, s25
	s_ashr_i32 s22, s9, 31
	s_mov_b32 s23, s22
	s_delay_alu instid0(SALU_CYCLE_1) | instskip(NEXT) | instid1(SALU_CYCLE_1)
	s_add_nc_u64 s[24:25], s[8:9], s[22:23]
	s_xor_b64 s[24:25], s[24:25], s[22:23]
	s_delay_alu instid0(SALU_CYCLE_1)
	s_mul_hi_u32 s27, s24, s7
	s_mul_i32 s26, s24, s7
	s_mul_hi_u32 s10, s24, s3
	s_mul_hi_u32 s14, s25, s3
	s_mul_i32 s3, s25, s3
	s_add_nc_u64 s[26:27], s[10:11], s[26:27]
	s_mul_hi_u32 s9, s25, s7
	s_add_co_u32 s3, s26, s3
	s_add_co_ci_u32 s10, s27, s14
	s_mul_i32 s28, s25, s7
	s_add_co_ci_u32 s29, s9, 0
	s_delay_alu instid0(SALU_CYCLE_1) | instskip(NEXT) | instid1(SALU_CYCLE_1)
	s_add_nc_u64 s[26:27], s[10:11], s[28:29]
	s_and_b64 s[28:29], s[26:27], 0xffffffff00000000
	s_delay_alu instid0(SALU_CYCLE_1) | instskip(NEXT) | instid1(SALU_CYCLE_1)
	s_or_b32 s28, s28, s26
	s_mul_u64 s[26:27], s[12:13], s[28:29]
	s_add_nc_u64 s[30:31], s[28:29], 1
	s_sub_co_u32 s3, s24, s26
	s_cselect_b32 s7, -1, 0
	s_sub_co_i32 s9, s25, s27
	s_cmp_lg_u32 s7, 0
	s_add_nc_u64 s[34:35], s[28:29], 2
	s_sub_co_ci_u32 s9, s9, s13
	s_sub_co_u32 s10, s3, s12
	s_cselect_b32 s14, -1, 0
	s_delay_alu instid0(SALU_CYCLE_1) | instskip(SKIP_1) | instid1(SALU_CYCLE_1)
	s_cmp_lg_u32 s14, 0
	s_sub_co_ci_u32 s9, s9, 0
	s_cmp_ge_u32 s9, s13
	s_cselect_b32 s14, -1, 0
	s_cmp_ge_u32 s10, s12
	s_cselect_b32 s10, -1, 0
	s_cmp_eq_u32 s9, s13
	s_cselect_b32 s9, s10, s14
	s_delay_alu instid0(SALU_CYCLE_1) | instskip(SKIP_4) | instid1(SALU_CYCLE_1)
	s_cmp_lg_u32 s9, 0
	s_cselect_b32 s9, s34, s30
	s_cselect_b32 s10, s35, s31
	s_cmp_lg_u32 s7, 0
	s_sub_co_ci_u32 s7, s25, s27
	s_cmp_ge_u32 s7, s13
	s_cselect_b32 s14, -1, 0
	s_cmp_ge_u32 s3, s12
	s_cselect_b32 s3, -1, 0
	s_cmp_eq_u32 s7, s13
	s_cselect_b32 s3, s3, s14
	s_delay_alu instid0(SALU_CYCLE_1) | instskip(SKIP_3) | instid1(SALU_CYCLE_1)
	s_cmp_lg_u32 s3, 0
	s_cselect_b32 s13, s10, s29
	s_cselect_b32 s12, s9, s28
	s_xor_b64 s[22:23], s[22:23], 0
	s_xor_b64 s[12:13], s[12:13], s[22:23]
	s_delay_alu instid0(SALU_CYCLE_1)
	s_sub_nc_u64 s[24:25], s[12:13], s[22:23]
	s_load_b96 s[12:14], s[0:1], 0x44
	s_cbranch_execnz .LBB64_6
.LBB64_5:
	v_cvt_f32_u32_e32 v1, s16
	s_sub_co_i32 s7, 0, s16
	s_delay_alu instid0(VALU_DEP_1) | instskip(SKIP_1) | instid1(TRANS32_DEP_1)
	v_rcp_iflag_f32_e32 v1, v1
	v_nop
	v_mul_f32_e32 v1, 0x4f7ffffe, v1
	s_delay_alu instid0(VALU_DEP_1) | instskip(NEXT) | instid1(VALU_DEP_1)
	v_cvt_u32_f32_e32 v1, v1
	v_readfirstlane_b32 s3, v1
	s_mul_i32 s7, s7, s3
	s_delay_alu instid0(SALU_CYCLE_1) | instskip(NEXT) | instid1(SALU_CYCLE_1)
	s_mul_hi_u32 s7, s3, s7
	s_add_co_i32 s3, s3, s7
	s_delay_alu instid0(SALU_CYCLE_1) | instskip(NEXT) | instid1(SALU_CYCLE_1)
	s_mul_hi_u32 s3, s8, s3
	s_mul_i32 s7, s3, s16
	s_delay_alu instid0(SALU_CYCLE_1)
	s_sub_co_i32 s7, s8, s7
	s_add_co_i32 s8, s3, 1
	s_sub_co_i32 s9, s7, s16
	s_cmp_ge_u32 s7, s16
	s_cselect_b32 s3, s8, s3
	s_cselect_b32 s7, s9, s7
	s_add_co_i32 s8, s3, 1
	s_cmp_ge_u32 s7, s16
	s_cselect_b32 s24, s8, s3
.LBB64_6:
	s_delay_alu instid0(SALU_CYCLE_1)
	s_cmp_eq_u32 s20, s24
	s_mov_b64 s[8:9], 0xffffffff
	s_cselect_b32 s3, -1, 0
	s_and_b64 s[8:9], s[20:21], s[8:9]
	s_mov_b32 s23, 0
	s_wait_kmcnt 0x0
	s_mov_b32 s22, s12
	s_mov_b32 s25, s23
	s_mul_u64 s[10:11], s[8:9], s[22:23]
	s_delay_alu instid0(SALU_CYCLE_1) | instskip(SKIP_2) | instid1(SALU_CYCLE_1)
	s_add_co_i32 s7, s11, s20
	s_mul_u64 s[10:11], s[24:25], s[22:23]
	s_lshr_b32 s12, s7, s13
	s_mul_i32 s7, s12, s14
	s_delay_alu instid0(SALU_CYCLE_1) | instskip(SKIP_2) | instid1(SALU_CYCLE_1)
	s_cmp_eq_u32 s7, s20
	s_cselect_b32 s7, -1, 0
	s_add_co_i32 s10, s11, s24
	s_lshr_b32 s10, s10, s13
	s_delay_alu instid0(SALU_CYCLE_1)
	s_cmp_eq_u32 s12, s10
	s_mul_i32 s10, s10, s14
	s_cselect_b32 s11, -1, 0
	s_cmp_lg_u32 s10, s24
	s_cselect_b32 s10, -1, 0
	s_or_b32 s3, s3, s7
	s_and_b32 s10, s11, s10
	s_delay_alu instid0(SALU_CYCLE_1) | instskip(NEXT) | instid1(SALU_CYCLE_1)
	s_or_b32 s3, s3, s10
	s_and_b32 vcc_lo, exec_lo, s3
	s_cbranch_vccnz .LBB64_24
; %bb.7:
	s_load_b256 s[24:31], s[0:1], 0x20
	s_bfe_u32 s7, ttmp6, 0x40014
	s_bfe_u32 s33, ttmp6, 0x40010
	s_lshr_b32 s3, ttmp7, 16
	s_add_co_i32 s7, s7, 1
	s_and_b32 s21, ttmp7, 0xffff
	s_add_co_i32 s33, s33, 1
	s_bfe_u32 s10, ttmp6, 0x40008
	s_mul_i32 s7, s3, s7
	s_bfe_u32 s34, ttmp6, 0x40004
	s_mul_i32 s33, s21, s33
	s_mov_b32 s11, s23
	s_add_co_i32 s7, s10, s7
	s_add_co_i32 s34, s34, s33
	s_cmp_eq_u32 s15, 0
	s_cselect_b32 s15, s21, s34
	s_cselect_b32 s3, s3, s7
	s_wait_kmcnt 0x0
	s_mov_b32 s10, s24
	s_delay_alu instid0(SALU_CYCLE_1) | instskip(SKIP_2) | instid1(SALU_CYCLE_1)
	s_mul_u64 s[8:9], s[8:9], s[10:11]
	s_load_b32 s8, s[0:1], 0x40
	s_add_co_i32 s7, s9, s20
	s_lshr_b32 s7, s7, s25
	s_delay_alu instid0(SALU_CYCLE_1) | instskip(NEXT) | instid1(SALU_CYCLE_1)
	s_mul_i32 s9, s7, s26
	s_sub_co_i32 s9, s20, s9
	s_delay_alu instid0(SALU_CYCLE_1) | instskip(NEXT) | instid1(SALU_CYCLE_1)
	s_mul_hi_u32 s10, s9, s27
	s_add_co_i32 s10, s9, s10
	s_delay_alu instid0(SALU_CYCLE_1) | instskip(NEXT) | instid1(SALU_CYCLE_1)
	s_lshr_b32 s21, s10, s28
	s_mul_i32 s10, s21, s29
	s_delay_alu instid0(SALU_CYCLE_1) | instskip(NEXT) | instid1(SALU_CYCLE_1)
	s_sub_co_i32 s10, s9, s10
	s_mul_hi_u32 s9, s10, s30
	s_delay_alu instid0(SALU_CYCLE_1) | instskip(NEXT) | instid1(SALU_CYCLE_1)
	s_add_co_i32 s9, s10, s9
	s_lshr_b32 s25, s9, s31
	s_mov_b32 s9, s23
	s_wait_kmcnt 0x0
	s_mul_i32 s8, s25, s8
	s_delay_alu instid0(SALU_CYCLE_1) | instskip(NEXT) | instid1(SALU_CYCLE_1)
	s_sub_co_i32 s8, s10, s8
	s_mul_u64 s[10:11], s[8:9], s[22:23]
	s_delay_alu instid0(SALU_CYCLE_1) | instskip(NEXT) | instid1(SALU_CYCLE_1)
	s_add_co_i32 s8, s8, s11
	s_lshr_b32 s24, s8, s13
	s_delay_alu instid0(SALU_CYCLE_1) | instskip(NEXT) | instid1(SALU_CYCLE_1)
	s_lshl_b32 s8, s24, 3
	s_add_co_i32 s8, s8, s15
	s_delay_alu instid0(SALU_CYCLE_1) | instskip(SKIP_2) | instid1(SALU_CYCLE_1)
	s_cmp_lt_i32 s8, s4
	s_cselect_b32 s8, -1, 0
	s_add_co_i32 s25, s25, s3
	s_cmp_lt_i32 s25, s6
	s_cselect_b32 s9, -1, 0
	s_delay_alu instid0(SALU_CYCLE_1) | instskip(NEXT) | instid1(SALU_CYCLE_1)
	s_and_b32 s8, s8, s9
	s_and_not1_b32 vcc_lo, exec_lo, s8
	s_cbranch_vccnz .LBB64_24
; %bb.8:
	s_load_b128 s[8:11], s[0:1], 0x0
	s_wait_xcnt 0x0
	s_mul_i32 s0, s7, s4
	s_mul_i32 s21, s21, s6
	s_add_co_i32 s0, s0, s15
	s_add_co_i32 s1, s25, s21
	s_mul_i32 s0, s0, s5
	s_mul_i32 s4, s5, s24
	s_add_co_i32 s0, s1, s0
	s_mulk_i32 s4, 0x300
	s_mulk_i32 s0, 0x60
	s_add_co_i32 s15, s15, s3
	v_add3_u32 v2, s4, s0, v0
	s_add_nc_u64 s[0:1], s[16:17], 0
	v_cvt_f32_u32_e32 v4, s16
	s_xor_b64 s[6:7], s[0:1], 0
	s_lshl_b32 s0, s2, 3
	s_cvt_f32_u32 s3, s6
	s_cvt_f32_u32 s4, s7
	s_add_co_i32 s0, s0, s15
	v_rcp_iflag_f32_e32 v4, v4
	s_wait_kmcnt 0x0
	global_load_b32 v1, v2, s[8:9] scale_offset
	s_fmamk_f32 s3, s4, 0x4f800000, s3
	s_ashr_i32 s1, s0, 31
	s_lshl_b32 s24, s16, 5
	s_lshl_b64 s[0:1], s[0:1], 3
	v_s_rcp_f32 s3, s3
	s_add_nc_u64 s[0:1], s[10:11], s[0:1]
	s_mov_b32 s25, 0
	s_load_b64 s[28:29], s[0:1], 0x0
	v_mad_u32 v6, 0x60, s15, v0
	v_dual_mul_f32 v4, 0x4f7ffffe, v4 :: v_dual_ashrrev_i32 v3, 31, v2
	s_wait_xcnt 0x0
	s_lshl_b64 s[0:1], s[24:25], 2
	s_mul_f32 s3, s3, 0x5f7ffffc
	s_add_nc_u64 s[26:27], s[10:11], s[0:1]
	v_lshl_add_u64 v[2:3], v[2:3], 2, s[8:9]
	v_cvt_u32_f32_e32 v7, v4
	s_mul_f32 s4, s3, 0x2f800000
	s_mov_b64 s[8:9], 0xffffffff
	s_add_co_i32 s36, s2, -1
	s_sub_nc_u64 s[34:35], 0, s[6:7]
	s_trunc_f32 s4, s4
	s_delay_alu instid0(SALU_CYCLE_3)
	s_fmamk_f32 s0, s4, 0xcf800000, s3
	s_cvt_u32_f32 s31, s4
	s_wait_kmcnt 0x0
	v_mov_b32_e32 v0, s29
	s_cvt_u32_f32 s30, s0
.LBB64_9:                               ; =>This Inner Loop Header: Depth=1
	s_ashr_i32 s37, s36, 31
                                        ; implicit-def: $sgpr40_sgpr41
	s_delay_alu instid0(SALU_CYCLE_1) | instskip(NEXT) | instid1(SALU_CYCLE_1)
	s_mul_u64 s[0:1], s[36:37], s[18:19]
	s_and_b64 s[2:3], s[0:1], 0xffffffff00000000
	s_delay_alu instid0(SALU_CYCLE_1)
	s_cmp_lg_u64 s[2:3], 0
	s_mov_b32 s2, -1
	s_cbranch_scc0 .LBB64_11
; %bb.10:                               ;   in Loop: Header=BB64_9 Depth=1
	s_mul_u64 s[2:3], s[34:35], s[30:31]
	s_delay_alu instid0(SALU_CYCLE_1)
	s_mul_hi_u32 s5, s30, s3
	s_mul_i32 s4, s30, s3
	s_mul_hi_u32 s24, s30, s2
	s_mul_hi_u32 s17, s31, s2
	s_add_nc_u64 s[4:5], s[24:25], s[4:5]
	s_mul_i32 s2, s31, s2
	s_mul_hi_u32 s21, s31, s3
	s_add_co_u32 s2, s4, s2
	s_add_co_ci_u32 s24, s5, s17
	s_add_co_ci_u32 s5, s21, 0
	s_mul_i32 s4, s31, s3
	s_delay_alu instid0(SALU_CYCLE_1) | instskip(NEXT) | instid1(SALU_CYCLE_1)
	s_add_nc_u64 s[2:3], s[24:25], s[4:5]
	s_add_co_u32 s2, s30, s2
	s_cselect_b32 s4, -1, 0
	s_delay_alu instid0(SALU_CYCLE_1) | instskip(SKIP_1) | instid1(SALU_CYCLE_1)
	s_cmp_lg_u32 s4, 0
	s_add_co_ci_u32 s3, s31, s3
	s_mul_u64 s[4:5], s[34:35], s[2:3]
	s_delay_alu instid0(SALU_CYCLE_1)
	s_mul_hi_u32 s39, s2, s5
	s_mul_i32 s38, s2, s5
	s_mul_hi_u32 s24, s2, s4
	s_mul_hi_u32 s17, s3, s4
	s_mul_i32 s4, s3, s4
	s_add_nc_u64 s[38:39], s[24:25], s[38:39]
	s_mul_hi_u32 s21, s3, s5
	s_add_co_u32 s4, s38, s4
	s_add_co_ci_u32 s24, s39, s17
	s_mul_i32 s4, s3, s5
	s_add_co_ci_u32 s5, s21, 0
	s_delay_alu instid0(SALU_CYCLE_1) | instskip(NEXT) | instid1(SALU_CYCLE_1)
	s_add_nc_u64 s[4:5], s[24:25], s[4:5]
	s_add_co_u32 s17, s2, s4
	s_cselect_b32 s2, -1, 0
	s_delay_alu instid0(SALU_CYCLE_1) | instskip(SKIP_2) | instid1(SALU_CYCLE_1)
	s_cmp_lg_u32 s2, 0
	s_add_co_ci_u32 s21, s3, s5
	s_ashr_i32 s2, s1, 31
	s_mov_b32 s3, s2
	s_delay_alu instid0(SALU_CYCLE_1) | instskip(NEXT) | instid1(SALU_CYCLE_1)
	s_add_nc_u64 s[4:5], s[0:1], s[2:3]
	s_xor_b64 s[4:5], s[4:5], s[2:3]
	s_delay_alu instid0(SALU_CYCLE_1)
	s_mul_hi_u32 s39, s4, s21
	s_mul_i32 s38, s4, s21
	s_mul_hi_u32 s24, s4, s17
	s_mul_hi_u32 s29, s5, s17
	s_mul_i32 s17, s5, s17
	s_add_nc_u64 s[38:39], s[24:25], s[38:39]
	s_mul_hi_u32 s1, s5, s21
	s_add_co_u32 s17, s38, s17
	s_add_co_ci_u32 s24, s39, s29
	s_mul_i32 s40, s5, s21
	s_add_co_ci_u32 s41, s1, 0
	s_delay_alu instid0(SALU_CYCLE_1) | instskip(NEXT) | instid1(SALU_CYCLE_1)
	s_add_nc_u64 s[38:39], s[24:25], s[40:41]
	s_and_b64 s[40:41], s[38:39], 0xffffffff00000000
	s_delay_alu instid0(SALU_CYCLE_1) | instskip(NEXT) | instid1(SALU_CYCLE_1)
	s_or_b32 s40, s40, s38
	s_mul_u64 s[38:39], s[6:7], s[40:41]
	s_add_nc_u64 s[42:43], s[40:41], 1
	s_sub_co_u32 s1, s4, s38
	s_cselect_b32 s4, -1, 0
	s_sub_co_i32 s17, s5, s39
	s_cmp_lg_u32 s4, 0
	s_add_nc_u64 s[44:45], s[40:41], 2
	s_sub_co_ci_u32 s17, s17, s7
	s_sub_co_u32 s21, s1, s6
	s_cselect_b32 s24, -1, 0
	s_delay_alu instid0(SALU_CYCLE_1) | instskip(SKIP_1) | instid1(SALU_CYCLE_1)
	s_cmp_lg_u32 s24, 0
	s_sub_co_ci_u32 s17, s17, 0
	s_cmp_ge_u32 s17, s7
	s_cselect_b32 s24, -1, 0
	s_cmp_ge_u32 s21, s6
	s_cselect_b32 s21, -1, 0
	s_cmp_eq_u32 s17, s7
	s_cselect_b32 s17, s21, s24
	s_delay_alu instid0(SALU_CYCLE_1) | instskip(SKIP_4) | instid1(SALU_CYCLE_1)
	s_cmp_lg_u32 s17, 0
	s_cselect_b32 s17, s44, s42
	s_cselect_b32 s21, s45, s43
	s_cmp_lg_u32 s4, 0
	s_sub_co_ci_u32 s4, s5, s39
	s_cmp_ge_u32 s4, s7
	s_cselect_b32 s5, -1, 0
	s_cmp_ge_u32 s1, s6
	s_cselect_b32 s1, -1, 0
	s_cmp_eq_u32 s4, s7
	s_cselect_b32 s1, s1, s5
	s_delay_alu instid0(SALU_CYCLE_1) | instskip(SKIP_3) | instid1(SALU_CYCLE_1)
	s_cmp_lg_u32 s1, 0
	s_cselect_b32 s5, s21, s41
	s_cselect_b32 s4, s17, s40
	s_xor_b64 s[2:3], s[2:3], 0
	s_xor_b64 s[4:5], s[4:5], s[2:3]
	s_delay_alu instid0(SALU_CYCLE_1)
	s_sub_nc_u64 s[40:41], s[4:5], s[2:3]
	s_mov_b32 s2, 0
.LBB64_11:                              ;   in Loop: Header=BB64_9 Depth=1
	s_delay_alu instid0(SALU_CYCLE_1)
	s_and_not1_b32 vcc_lo, exec_lo, s2
	s_cbranch_vccnz .LBB64_13
; %bb.12:                               ;   in Loop: Header=BB64_9 Depth=1
	v_readfirstlane_b32 s1, v7
	s_sub_co_i32 s2, 0, s16
	s_delay_alu instid0(SALU_CYCLE_1) | instskip(NEXT) | instid1(SALU_CYCLE_1)
	s_mul_i32 s2, s2, s1
	s_mul_hi_u32 s2, s1, s2
	s_delay_alu instid0(SALU_CYCLE_1) | instskip(NEXT) | instid1(SALU_CYCLE_1)
	s_add_co_i32 s1, s1, s2
	s_mul_hi_u32 s1, s0, s1
	s_delay_alu instid0(SALU_CYCLE_1) | instskip(NEXT) | instid1(SALU_CYCLE_1)
	s_mul_i32 s2, s1, s16
	s_sub_co_i32 s0, s0, s2
	s_add_co_i32 s2, s1, 1
	s_sub_co_i32 s3, s0, s16
	s_cmp_ge_u32 s0, s16
	s_cselect_b32 s1, s2, s1
	s_cselect_b32 s0, s3, s0
	s_add_co_i32 s2, s1, 1
	s_cmp_ge_u32 s0, s16
	s_cselect_b32 s24, s2, s1
	s_delay_alu instid0(SALU_CYCLE_1)
	s_mov_b64 s[40:41], s[24:25]
.LBB64_13:                              ;   in Loop: Header=BB64_9 Depth=1
	s_delay_alu instid0(SALU_CYCLE_1)
	s_cmp_lg_u32 s20, s40
	s_mov_b32 s0, -1
                                        ; implicit-def: $vgpr4_vgpr5
                                        ; implicit-def: $sgpr24
                                        ; implicit-def: $sgpr17
                                        ; implicit-def: $sgpr21
                                        ; implicit-def: $sgpr29
	s_cbranch_scc0 .LBB64_18
; %bb.14:                               ;   in Loop: Header=BB64_9 Depth=1
	s_add_co_i32 s0, s36, s16
	v_max_num_f32_e64 v4, s28, s28
	s_lshl_b32 s0, s0, 3
	s_mov_b32 s29, s20
	s_add_co_i32 s0, s0, s15
	s_load_b64 s[38:39], s[10:11], s0 offset:0x0 scale_offset
	s_wait_xcnt 0x0
	v_readfirstlane_b32 s0, v4
	s_wait_kmcnt 0x0
	v_max_num_f32_e64 v5, s38, s38
	s_delay_alu instid0(VALU_DEP_1) | instskip(SKIP_1) | instid1(SALU_CYCLE_3)
	v_readfirstlane_b32 s1, v5
	s_max_num_f32 s17, s0, s1
	s_sub_f32 s33, s28, s17
	s_sub_f32 s37, s38, s17
	s_delay_alu instid0(SALU_CYCLE_2)
	s_cmp_nlt_f32 s33, 0xc2ce8ed0
	s_cselect_b32 s1, -1, 0
	s_cmp_ngt_f32 s33, 0x42b17218
	s_cselect_b32 s2, -1, 0
	s_cmp_ge_f32 s33, 0xc1a00000
	s_cselect_b32 s0, -1, 0
	s_cmp_nlt_f32 s37, 0xc2ce8ed0
	s_cselect_b32 s3, -1, 0
	s_cmp_ngt_f32 s37, 0x42b17218
	s_cselect_b32 s4, -1, 0
	s_cmp_ge_f32 s37, 0xc1a00000
	s_cselect_b32 s5, -1, 0
	s_and_b64 s[42:43], s[40:41], s[8:9]
	s_delay_alu instid0(SALU_CYCLE_1) | instskip(NEXT) | instid1(SALU_CYCLE_1)
	s_mul_u64 s[42:43], s[42:43], s[22:23]
	s_add_co_i32 s21, s43, s40
	s_delay_alu instid0(SALU_CYCLE_1) | instskip(NEXT) | instid1(SALU_CYCLE_1)
	s_lshr_b32 s21, s21, s13
	s_mul_i32 s24, s21, s14
	s_delay_alu instid0(SALU_CYCLE_1) | instskip(SKIP_3) | instid1(SALU_CYCLE_1)
	s_cmp_eq_u32 s24, s40
	s_cselect_b32 s24, -1, 0
	s_cmp_lt_u32 s21, s12
	s_cselect_b32 s21, -1, 0
	s_or_b32 s21, s21, s24
	s_mov_b32 s24, -1
	s_and_b32 vcc_lo, exec_lo, s21
	s_mov_b32 s21, s36
	s_cbranch_vccnz .LBB64_16
; %bb.15:                               ;   in Loop: Header=BB64_9 Depth=1
	s_add_co_i32 s21, s36, -1
	s_mov_b32 s24, 0
	s_mov_b32 s29, s40
.LBB64_16:                              ;   in Loop: Header=BB64_9 Depth=1
	v_mad_u32 v4, 0x300, s36, v6
	s_mul_f32 s40, s33, 0x3fb8aa3b
	s_mul_f32 s38, s37, 0x3fb8aa3b
	s_delay_alu instid0(SALU_CYCLE_2)
	s_xor_b32 s42, s40, 0x80000000
	s_rndne_f32 s44, s40
	s_fmamk_f32 s42, s33, 0x3fb8aa3b, s42
	s_xor_b32 s41, s38, 0x80000000
	s_rndne_f32 s43, s38
	s_sub_f32 s40, s40, s44
	global_load_b32 v5, v4, s[26:27] scale_offset
	s_fmamk_f32 s33, s33, 0x32a5705f, s42
	s_fmamk_f32 s41, s37, 0x3fb8aa3b, s41
	s_sub_f32 s38, s38, s43
	s_delay_alu instid0(SALU_CYCLE_1) | instskip(NEXT) | instid1(SALU_CYCLE_1)
	s_add_f32 s33, s40, s33
	s_fmamk_f32 s37, s37, 0x32a5705f, s41
	s_cvt_i32_f32 s40, s44
	s_delay_alu instid0(SALU_CYCLE_1) | instskip(NEXT) | instid1(SALU_CYCLE_1)
	v_s_exp_f32 s33, s33
	s_add_f32 s37, s38, s37
	s_cvt_i32_f32 s38, s43
	s_delay_alu instid0(SALU_CYCLE_2) | instskip(NEXT) | instid1(TRANS32_DEP_2)
	v_s_exp_f32 s37, s37
	v_ldexp_f32 v8, s33, s40
	s_wait_xcnt 0x0
	s_delay_alu instid0(TRANS32_DEP_1) | instskip(NEXT) | instid1(VALU_DEP_2)
	v_ldexp_f32 v4, s37, s38
	v_cndmask_b32_e64 v8, 0, v8, s1
	s_delay_alu instid0(VALU_DEP_1) | instskip(NEXT) | instid1(VALU_DEP_1)
	v_cndmask_b32_e64 v9, 0x7f800000, v8, s2
	v_dual_cndmask_b32 v4, 0, v4, s3 :: v_dual_cndmask_b32 v10, 0, v9, s0
	s_delay_alu instid0(VALU_DEP_1) | instskip(NEXT) | instid1(VALU_DEP_1)
	v_cndmask_b32_e64 v4, 0x7f800000, v4, s4
	v_dual_cndmask_b32 v8, 0, v4, s5 :: v_dual_mov_b32 v4, s39
	s_wait_loadcnt 0x0
	s_delay_alu instid0(VALU_DEP_1) | instskip(NEXT) | instid1(VALU_DEP_1)
	v_pk_mul_f32 v[4:5], v[4:5], v[8:9] op_sel_hi:[1,0]
	v_pk_fma_f32 v[4:5], v[0:1], v[10:11], v[4:5] op_sel_hi:[1,0,1]
	s_cbranch_execz .LBB64_19
.LBB64_17:                              ;   in Loop: Header=BB64_9 Depth=1
	s_and_not1_b32 vcc_lo, exec_lo, s24
	s_cbranch_vccnz .LBB64_20
	s_branch .LBB64_23
.LBB64_18:                              ;   in Loop: Header=BB64_9 Depth=1
	s_and_not1_b32 vcc_lo, exec_lo, s0
	s_cbranch_vccnz .LBB64_17
.LBB64_19:                              ;   in Loop: Header=BB64_9 Depth=1
	s_wait_loadcnt 0x0
	v_mov_b64_e32 v[4:5], v[0:1]
	s_add_co_i32 s21, s36, -1
	s_mov_b32 s29, s20
	s_mov_b32 s17, s28
	s_cbranch_execz .LBB64_23
.LBB64_20:                              ;   in Loop: Header=BB64_9 Depth=1
	s_wait_loadcnt 0x0
	s_delay_alu instid0(VALU_DEP_1)
	v_mov_b64_e32 v[0:1], v[4:5]
	s_mov_b32 s20, s29
	s_mov_b32 s36, s21
	;; [unrolled: 1-line block ×3, first 2 shown]
	s_branch .LBB64_9
.LBB64_21:
                                        ; implicit-def: $sgpr20_sgpr21
	s_branch .LBB64_2
.LBB64_22:
                                        ; implicit-def: $sgpr24_sgpr25
	s_load_b96 s[12:14], s[0:1], 0x44
	s_branch .LBB64_5
.LBB64_23:
	s_delay_alu instid0(VALU_DEP_1) | instskip(SKIP_1) | instid1(VALU_DEP_1)
	v_div_scale_f32 v0, null, v4, v4, v5
	s_wait_loadcnt 0x0
	v_rcp_f32_e32 v1, v0
	v_nop
	s_delay_alu instid0(TRANS32_DEP_1) | instskip(NEXT) | instid1(VALU_DEP_1)
	v_fma_f32 v6, -v0, v1, 1.0
	v_fmac_f32_e32 v1, v6, v1
	v_div_scale_f32 v6, vcc_lo, v5, v4, v5
	s_delay_alu instid0(VALU_DEP_1) | instskip(NEXT) | instid1(VALU_DEP_1)
	v_mul_f32_e32 v7, v6, v1
	v_fma_f32 v8, -v0, v7, v6
	s_delay_alu instid0(VALU_DEP_1) | instskip(NEXT) | instid1(VALU_DEP_1)
	v_fmac_f32_e32 v7, v8, v1
	v_fma_f32 v0, -v0, v7, v6
	s_delay_alu instid0(VALU_DEP_1) | instskip(NEXT) | instid1(VALU_DEP_1)
	v_div_fmas_f32 v0, v0, v1, v7
	v_div_fixup_f32 v0, v0, v4, v5
	global_store_b32 v[2:3], v0, off
.LBB64_24:
	s_endpgm
	.section	.rodata,"a",@progbits
	.p2align	6, 0x0
	.amdhsa_kernel _ZL33flash_attn_stream_k_fixup_generalILi96ELi8ELi1EEvPfPK15HIP_vector_typeIfLj2EEiiiiS1_IjLj3EES5_S5_S5_
		.amdhsa_group_segment_fixed_size 0
		.amdhsa_private_segment_fixed_size 0
		.amdhsa_kernarg_size 336
		.amdhsa_user_sgpr_count 2
		.amdhsa_user_sgpr_dispatch_ptr 0
		.amdhsa_user_sgpr_queue_ptr 0
		.amdhsa_user_sgpr_kernarg_segment_ptr 1
		.amdhsa_user_sgpr_dispatch_id 0
		.amdhsa_user_sgpr_kernarg_preload_length 0
		.amdhsa_user_sgpr_kernarg_preload_offset 0
		.amdhsa_user_sgpr_private_segment_size 0
		.amdhsa_wavefront_size32 1
		.amdhsa_uses_dynamic_stack 0
		.amdhsa_enable_private_segment 0
		.amdhsa_system_sgpr_workgroup_id_x 1
		.amdhsa_system_sgpr_workgroup_id_y 1
		.amdhsa_system_sgpr_workgroup_id_z 1
		.amdhsa_system_sgpr_workgroup_info 0
		.amdhsa_system_vgpr_workitem_id 0
		.amdhsa_next_free_vgpr 12
		.amdhsa_next_free_sgpr 46
		.amdhsa_named_barrier_count 0
		.amdhsa_reserve_vcc 1
		.amdhsa_float_round_mode_32 0
		.amdhsa_float_round_mode_16_64 0
		.amdhsa_float_denorm_mode_32 3
		.amdhsa_float_denorm_mode_16_64 3
		.amdhsa_fp16_overflow 0
		.amdhsa_memory_ordered 1
		.amdhsa_forward_progress 1
		.amdhsa_inst_pref_size 27
		.amdhsa_round_robin_scheduling 0
		.amdhsa_exception_fp_ieee_invalid_op 0
		.amdhsa_exception_fp_denorm_src 0
		.amdhsa_exception_fp_ieee_div_zero 0
		.amdhsa_exception_fp_ieee_overflow 0
		.amdhsa_exception_fp_ieee_underflow 0
		.amdhsa_exception_fp_ieee_inexact 0
		.amdhsa_exception_int_div_zero 0
	.end_amdhsa_kernel
	.section	.text._ZL33flash_attn_stream_k_fixup_generalILi96ELi8ELi1EEvPfPK15HIP_vector_typeIfLj2EEiiiiS1_IjLj3EES5_S5_S5_,"axG",@progbits,_ZL33flash_attn_stream_k_fixup_generalILi96ELi8ELi1EEvPfPK15HIP_vector_typeIfLj2EEiiiiS1_IjLj3EES5_S5_S5_,comdat
.Lfunc_end64:
	.size	_ZL33flash_attn_stream_k_fixup_generalILi96ELi8ELi1EEvPfPK15HIP_vector_typeIfLj2EEiiiiS1_IjLj3EES5_S5_S5_, .Lfunc_end64-_ZL33flash_attn_stream_k_fixup_generalILi96ELi8ELi1EEvPfPK15HIP_vector_typeIfLj2EEiiiiS1_IjLj3EES5_S5_S5_
                                        ; -- End function
	.set _ZL33flash_attn_stream_k_fixup_generalILi96ELi8ELi1EEvPfPK15HIP_vector_typeIfLj2EEiiiiS1_IjLj3EES5_S5_S5_.num_vgpr, 12
	.set _ZL33flash_attn_stream_k_fixup_generalILi96ELi8ELi1EEvPfPK15HIP_vector_typeIfLj2EEiiiiS1_IjLj3EES5_S5_S5_.num_agpr, 0
	.set _ZL33flash_attn_stream_k_fixup_generalILi96ELi8ELi1EEvPfPK15HIP_vector_typeIfLj2EEiiiiS1_IjLj3EES5_S5_S5_.numbered_sgpr, 46
	.set _ZL33flash_attn_stream_k_fixup_generalILi96ELi8ELi1EEvPfPK15HIP_vector_typeIfLj2EEiiiiS1_IjLj3EES5_S5_S5_.num_named_barrier, 0
	.set _ZL33flash_attn_stream_k_fixup_generalILi96ELi8ELi1EEvPfPK15HIP_vector_typeIfLj2EEiiiiS1_IjLj3EES5_S5_S5_.private_seg_size, 0
	.set _ZL33flash_attn_stream_k_fixup_generalILi96ELi8ELi1EEvPfPK15HIP_vector_typeIfLj2EEiiiiS1_IjLj3EES5_S5_S5_.uses_vcc, 1
	.set _ZL33flash_attn_stream_k_fixup_generalILi96ELi8ELi1EEvPfPK15HIP_vector_typeIfLj2EEiiiiS1_IjLj3EES5_S5_S5_.uses_flat_scratch, 0
	.set _ZL33flash_attn_stream_k_fixup_generalILi96ELi8ELi1EEvPfPK15HIP_vector_typeIfLj2EEiiiiS1_IjLj3EES5_S5_S5_.has_dyn_sized_stack, 0
	.set _ZL33flash_attn_stream_k_fixup_generalILi96ELi8ELi1EEvPfPK15HIP_vector_typeIfLj2EEiiiiS1_IjLj3EES5_S5_S5_.has_recursion, 0
	.set _ZL33flash_attn_stream_k_fixup_generalILi96ELi8ELi1EEvPfPK15HIP_vector_typeIfLj2EEiiiiS1_IjLj3EES5_S5_S5_.has_indirect_call, 0
	.section	.AMDGPU.csdata,"",@progbits
; Kernel info:
; codeLenInByte = 3344
; TotalNumSgprs: 48
; NumVgprs: 12
; ScratchSize: 0
; MemoryBound: 0
; FloatMode: 240
; IeeeMode: 1
; LDSByteSize: 0 bytes/workgroup (compile time only)
; SGPRBlocks: 0
; VGPRBlocks: 0
; NumSGPRsForWavesPerEU: 48
; NumVGPRsForWavesPerEU: 12
; NamedBarCnt: 0
; Occupancy: 16
; WaveLimiterHint : 0
; COMPUTE_PGM_RSRC2:SCRATCH_EN: 0
; COMPUTE_PGM_RSRC2:USER_SGPR: 2
; COMPUTE_PGM_RSRC2:TRAP_HANDLER: 0
; COMPUTE_PGM_RSRC2:TGID_X_EN: 1
; COMPUTE_PGM_RSRC2:TGID_Y_EN: 1
; COMPUTE_PGM_RSRC2:TGID_Z_EN: 1
; COMPUTE_PGM_RSRC2:TIDIG_COMP_CNT: 0
	.section	.text._ZL15flash_attn_tileILi96ELi96ELi4ELi1ELb0EEvPKcS1_S1_S1_S1_PKiPfP15HIP_vector_typeIfLj2EEffffjfiS5_IjLj3EEiiiiiiiiiiiliiliiiiil,"axG",@progbits,_ZL15flash_attn_tileILi96ELi96ELi4ELi1ELb0EEvPKcS1_S1_S1_S1_PKiPfP15HIP_vector_typeIfLj2EEffffjfiS5_IjLj3EEiiiiiiiiiiiliiliiiiil,comdat
	.globl	_ZL15flash_attn_tileILi96ELi96ELi4ELi1ELb0EEvPKcS1_S1_S1_S1_PKiPfP15HIP_vector_typeIfLj2EEffffjfiS5_IjLj3EEiiiiiiiiiiiliiliiiiil ; -- Begin function _ZL15flash_attn_tileILi96ELi96ELi4ELi1ELb0EEvPKcS1_S1_S1_S1_PKiPfP15HIP_vector_typeIfLj2EEffffjfiS5_IjLj3EEiiiiiiiiiiiliiliiiiil
	.p2align	8
	.type	_ZL15flash_attn_tileILi96ELi96ELi4ELi1ELb0EEvPKcS1_S1_S1_S1_PKiPfP15HIP_vector_typeIfLj2EEffffjfiS5_IjLj3EEiiiiiiiiiiiliiliiiiil,@function
_ZL15flash_attn_tileILi96ELi96ELi4ELi1ELb0EEvPKcS1_S1_S1_S1_PKiPfP15HIP_vector_typeIfLj2EEffffjfiS5_IjLj3EEiiiiiiiiiiiliiliiiiil: ; @_ZL15flash_attn_tileILi96ELi96ELi4ELi1ELb0EEvPKcS1_S1_S1_S1_PKiPfP15HIP_vector_typeIfLj2EEffffjfiS5_IjLj3EEiiiiiiiiiiiliiliiiiil
; %bb.0:
	s_clause 0x1
	s_load_b128 s[20:23], s[0:1], 0x5c
	s_load_b64 s[34:35], s[0:1], 0x80
	s_bfe_u32 s4, ttmp6, 0x40014
	s_lshr_b32 s3, ttmp7, 16
	s_add_co_i32 s4, s4, 1
	s_bfe_u32 s5, ttmp6, 0x40008
	s_mul_i32 s4, s3, s4
	s_getreg_b32 s38, hwreg(HW_REG_IB_STS2, 6, 4)
	s_add_co_i32 s5, s5, s4
	s_mov_b32 s37, 0
	s_mov_b64 s[30:31], 0
	s_wait_kmcnt 0x0
	s_cvt_f32_u32 s2, s23
	s_sub_co_i32 s6, 0, s23
	s_delay_alu instid0(SALU_CYCLE_2) | instskip(SKIP_1) | instid1(TRANS32_DEP_1)
	v_rcp_iflag_f32_e32 v1, s2
	v_nop
	v_readfirstlane_b32 s2, v1
	s_mul_f32 s2, s2, 0x4f7ffffe
	s_delay_alu instid0(SALU_CYCLE_3) | instskip(NEXT) | instid1(SALU_CYCLE_3)
	s_cvt_u32_f32 s2, s2
	s_mul_i32 s6, s6, s2
	s_delay_alu instid0(SALU_CYCLE_1) | instskip(NEXT) | instid1(SALU_CYCLE_1)
	s_mul_hi_u32 s6, s2, s6
	s_add_co_i32 s2, s2, s6
	s_cmp_eq_u32 s38, 0
	s_cselect_b32 s3, s3, s5
	s_delay_alu instid0(SALU_CYCLE_1) | instskip(NEXT) | instid1(SALU_CYCLE_1)
	s_mul_hi_u32 s2, s3, s2
	s_mul_i32 s4, s2, s23
	s_add_co_i32 s5, s2, 1
	s_sub_co_i32 s4, s3, s4
	s_delay_alu instid0(SALU_CYCLE_1)
	s_sub_co_i32 s6, s4, s23
	s_cmp_ge_u32 s4, s23
	s_cselect_b32 s2, s5, s2
	s_cselect_b32 s4, s6, s4
	s_add_co_i32 s5, s2, 1
	s_cmp_ge_u32 s4, s23
	s_cselect_b32 s28, s5, s2
	s_abs_i32 s2, s35
	s_abs_i32 s7, s23
	s_cvt_f32_u32 s4, s2
	s_sub_co_i32 s5, 0, s2
	s_xor_b32 s6, s23, s35
	s_delay_alu instid0(SALU_CYCLE_1) | instskip(SKIP_2) | instid1(TRANS32_DEP_1)
	v_rcp_iflag_f32_e32 v1, s4
	s_ashr_i32 s6, s6, 31
	v_nop
	v_readfirstlane_b32 s4, v1
	s_mul_f32 s4, s4, 0x4f7ffffe
	s_delay_alu instid0(SALU_CYCLE_3) | instskip(NEXT) | instid1(SALU_CYCLE_3)
	s_cvt_u32_f32 s4, s4
	s_mul_i32 s5, s5, s4
	s_delay_alu instid0(SALU_CYCLE_1) | instskip(NEXT) | instid1(SALU_CYCLE_1)
	s_mul_hi_u32 s5, s4, s5
	s_add_co_i32 s4, s4, s5
	s_mul_i32 s5, s28, s23
	s_mul_hi_u32 s4, s7, s4
	s_sub_co_i32 s33, s3, s5
	s_mul_i32 s8, s4, s2
	s_add_co_i32 s5, s4, 1
	s_sub_co_i32 s3, s7, s8
	s_delay_alu instid0(SALU_CYCLE_1)
	s_sub_co_i32 s7, s3, s2
	s_cmp_ge_u32 s3, s2
	s_cselect_b32 s4, s5, s4
	s_cselect_b32 s3, s7, s3
	s_add_co_i32 s5, s4, 1
	s_cmp_ge_u32 s3, s2
	s_cselect_b32 s2, s5, s4
	s_delay_alu instid0(SALU_CYCLE_1) | instskip(NEXT) | instid1(SALU_CYCLE_1)
	s_xor_b32 s2, s2, s6
	s_sub_co_i32 s29, s2, s6
	s_delay_alu instid0(SALU_CYCLE_1) | instskip(NEXT) | instid1(SALU_CYCLE_1)
	s_abs_i32 s39, s29
	s_cvt_f32_u32 s2, s39
	s_delay_alu instid0(SALU_CYCLE_3) | instskip(SKIP_4) | instid1(TRANS32_DEP_1)
	v_rcp_iflag_f32_e32 v1, s2
	s_clause 0x1
	s_load_b512 s[4:19], s[0:1], 0x0
	s_load_b64 s[2:3], s[0:1], 0xb8
	v_nop
	v_readfirstlane_b32 s24, v1
	s_mul_f32 s24, s24, 0x4f7ffffe
	s_delay_alu instid0(SALU_CYCLE_3) | instskip(SKIP_4) | instid1(SALU_CYCLE_1)
	s_cvt_u32_f32 s35, s24
	s_sub_co_i32 s24, 0, s39
	s_wait_kmcnt 0x0
	s_cmp_eq_u64 s[10:11], 0
	s_mul_i32 s24, s24, s35
	s_mul_hi_u32 s40, s35, s24
	s_cbranch_scc1 .LBB65_2
; %bb.1:
	s_abs_i32 s2, s2
	s_abs_i32 s26, s28
	s_cvt_f32_u32 s24, s2
	s_sub_co_i32 s25, 0, s2
	s_delay_alu instid0(SALU_CYCLE_2) | instskip(SKIP_1) | instid1(TRANS32_DEP_1)
	v_rcp_iflag_f32_e32 v1, s24
	v_nop
	v_readfirstlane_b32 s24, v1
	s_mul_f32 s24, s24, 0x4f7ffffe
	s_delay_alu instid0(SALU_CYCLE_3) | instskip(NEXT) | instid1(SALU_CYCLE_3)
	s_cvt_u32_f32 s24, s24
	s_mul_i32 s25, s25, s24
	s_delay_alu instid0(SALU_CYCLE_1) | instskip(NEXT) | instid1(SALU_CYCLE_1)
	s_mul_hi_u32 s25, s24, s25
	s_add_co_i32 s24, s24, s25
	s_delay_alu instid0(SALU_CYCLE_1) | instskip(SKIP_2) | instid1(SALU_CYCLE_1)
	s_mul_hi_u32 s27, s26, s24
	s_load_b64 s[24:25], s[0:1], 0xc8
	s_mul_i32 s27, s27, s2
	s_sub_co_i32 s26, s26, s27
	s_ashr_i32 s27, s28, 31
	s_sub_co_i32 s30, s26, s2
	s_cmp_ge_u32 s26, s2
	s_cselect_b32 s26, s30, s26
	s_delay_alu instid0(SALU_CYCLE_1) | instskip(SKIP_2) | instid1(SALU_CYCLE_1)
	s_sub_co_i32 s30, s26, s2
	s_cmp_ge_u32 s26, s2
	s_cselect_b32 s2, s30, s26
	s_xor_b32 s2, s2, s27
	s_delay_alu instid0(SALU_CYCLE_1) | instskip(NEXT) | instid1(SALU_CYCLE_1)
	s_sub_co_i32 s26, s2, s27
	s_ashr_i32 s27, s26, 31
	s_wait_kmcnt 0x0
	s_mul_u64 s[24:25], s[24:25], s[26:27]
	s_delay_alu instid0(SALU_CYCLE_1)
	s_add_nc_u64 s[30:31], s[10:11], s[24:25]
.LBB65_2:
	s_clause 0x1
	s_load_b128 s[24:27], s[0:1], 0x40
	s_load_b32 s2, s[0:1], 0x50
	s_abs_i32 s36, s33
	s_add_co_i32 s10, s35, s40
	v_mov_b32_e32 v64, 1.0
	s_wait_kmcnt 0x0
	s_cmp_le_f32 s25, 0
	s_cbranch_scc1 .LBB65_4
; %bb.3:
	v_sub_co_u32 v1, s2, s33, s2
	s_and_b32 s35, s2, exec_lo
	s_cselect_b32 s26, s26, s27
	s_add_co_i32 s27, s33, 1
	v_readfirstlane_b32 s11, v1
	s_lshl_b32 s11, s11, 1
	s_delay_alu instid0(SALU_CYCLE_1) | instskip(SKIP_4) | instid1(SALU_CYCLE_3)
	s_or_b32 s11, s11, 1
	s_and_b32 s2, s2, exec_lo
	s_cselect_b32 s2, s27, s11
	s_cmp_neq_f32 s26, 1.0
	s_cvt_f32_i32 s2, s2
	s_cselect_b32 s11, s2, 1.0
	s_delay_alu instid0(SALU_CYCLE_1) | instskip(SKIP_1) | instid1(SALU_CYCLE_1)
	s_cmp_neq_f32 s11, 0
	s_cselect_b32 s2, s26, 1.0
	v_cvt_f64_f32_e64 v[2:3], |s2|
	s_delay_alu instid0(VALU_DEP_1) | instskip(SKIP_1) | instid1(VALU_DEP_1)
	v_frexp_exp_i32_f64_e32 v1, v[2:3]
	v_frexp_mant_f32_e64 v2, |s2|
	v_readfirstlane_b32 s26, v2
	s_cmp_lt_f32 s26, 0x3f2aaaab
	s_cselect_b32 vcc_lo, -1, 0
	s_delay_alu instid0(SALU_CYCLE_1) | instskip(SKIP_1) | instid1(SALU_CYCLE_1)
	s_and_b32 s27, vcc_lo, exec_lo
	s_cselect_b32 s27, 2.0, 1.0
	s_mul_f32 s26, s26, s27
	s_delay_alu instid0(SALU_CYCLE_3) | instskip(SKIP_1) | instid1(SALU_CYCLE_2)
	s_add_f32 s27, s26, 1.0
	s_add_f32 s40, s26, -1.0
	v_s_rcp_f32 s35, s27
	s_add_f32 s43, s27, -1.0
	v_subrev_co_ci_u32_e64 v1, null, 0, v1, vcc_lo
	s_delay_alu instid0(SALU_CYCLE_2) | instskip(NEXT) | instid1(TRANS32_DEP_1)
	s_sub_f32 s26, s26, s43
	s_mul_f32 s41, s40, s35
	v_cvt_f32_i32_e32 v1, v1
	s_delay_alu instid0(SALU_CYCLE_2) | instskip(NEXT) | instid1(SALU_CYCLE_3)
	s_mul_f32 s42, s27, s41
	v_dual_mov_b32 v3, s40 :: v_dual_mov_b32 v4, s42
	s_xor_b32 s44, s42, 0x80000000
	s_delay_alu instid0(SALU_CYCLE_1) | instskip(NEXT) | instid1(SALU_CYCLE_3)
	s_fmac_f32 s44, s41, s27
	s_fmac_f32 s44, s41, s26
	s_delay_alu instid0(SALU_CYCLE_3) | instskip(SKIP_2) | instid1(SALU_CYCLE_1)
	s_add_f32 s26, s42, s44
	v_mov_b32_e32 v6, s44
	s_mov_b32 s42, 0x3e76c4e1
	s_sub_f32 s27, s40, s26
	v_dual_mov_b32 v2, s26 :: v_dual_mov_b32 v7, s26
	s_delay_alu instid0(SALU_CYCLE_2) | instskip(NEXT) | instid1(VALU_DEP_1)
	v_mov_b32_e32 v5, s27
	v_pk_add_f32 v[2:3], v[2:3], v[4:5] neg_lo:[0,1] neg_hi:[0,1]
	s_delay_alu instid0(VALU_DEP_1) | instskip(NEXT) | instid1(VALU_DEP_1)
	v_pk_add_f32 v[2:3], v[2:3], v[6:7] neg_lo:[0,1] neg_hi:[0,1]
	v_readfirstlane_b32 s26, v3
	s_delay_alu instid0(VALU_DEP_2) | instskip(SKIP_1) | instid1(SALU_CYCLE_3)
	v_readfirstlane_b32 s40, v2
	s_add_f32 s26, s40, s26
	s_add_f32 s26, s27, s26
	s_delay_alu instid0(SALU_CYCLE_3) | instskip(NEXT) | instid1(SALU_CYCLE_3)
	s_mul_f32 s27, s35, s26
	s_add_f32 s26, s41, s27
	s_delay_alu instid0(SALU_CYCLE_3) | instskip(SKIP_1) | instid1(SALU_CYCLE_2)
	s_sub_f32 s35, s26, s41
	s_mul_f32 s41, s26, s26
	s_sub_f32 s35, s27, s35
	s_delay_alu instid0(SALU_CYCLE_2) | instskip(NEXT) | instid1(SALU_CYCLE_1)
	s_xor_b32 s27, s41, 0x80000000
	s_fmac_f32 s27, s26, s26
	s_delay_alu instid0(SALU_CYCLE_1) | instskip(NEXT) | instid1(SALU_CYCLE_3)
	s_add_f32 s40, s35, s35
	s_fmac_f32 s27, s26, s40
	s_delay_alu instid0(SALU_CYCLE_3) | instskip(NEXT) | instid1(SALU_CYCLE_3)
	s_add_f32 s40, s41, s27
	s_fmaak_f32 s42, s40, s42, 0x3e91f4c4
	s_sub_f32 s41, s40, s41
	s_delay_alu instid0(SALU_CYCLE_2) | instskip(NEXT) | instid1(SALU_CYCLE_2)
	s_fmaak_f32 s42, s40, s42, 0x3ecccdef
	s_sub_f32 s45, s27, s41
	s_delay_alu instid0(SALU_CYCLE_2) | instskip(NEXT) | instid1(SALU_CYCLE_3)
	s_mul_f32 s43, s40, s42
	s_xor_b32 s44, s43, 0x80000000
	s_delay_alu instid0(SALU_CYCLE_1) | instskip(NEXT) | instid1(SALU_CYCLE_3)
	s_fmac_f32 s44, s40, s42
	s_fmac_f32 s44, s45, s42
	s_delay_alu instid0(SALU_CYCLE_3) | instskip(NEXT) | instid1(SALU_CYCLE_3)
	s_add_f32 s41, s43, s44
	s_sub_f32 s27, s41, s43
	s_add_f32 s42, s41, 0x3f2aaaaa
	s_delay_alu instid0(SALU_CYCLE_2) | instskip(NEXT) | instid1(SALU_CYCLE_2)
	s_sub_f32 s27, s44, s27
	s_add_f32 s43, s42, 0xbf2aaaaa
	s_delay_alu instid0(SALU_CYCLE_2) | instskip(NEXT) | instid1(SALU_CYCLE_2)
	s_add_f32 s27, s27, 0x31739010
	s_sub_f32 s41, s41, s43
	s_delay_alu instid0(SALU_CYCLE_2) | instskip(NEXT) | instid1(SALU_CYCLE_2)
	v_mov_b64_e32 v[2:3], s[26:27]
	v_mov_b64_e32 v[4:5], s[40:41]
	s_delay_alu instid0(VALU_DEP_1) | instskip(SKIP_2) | instid1(VALU_DEP_3)
	v_pk_mul_f32 v[6:7], v[2:3], v[4:5]
	v_pk_add_f32 v[2:3], v[2:3], v[4:5]
	v_mov_b32_e32 v9, s42
	v_xor_b32_e32 v8, 0x80000000, v6
	s_delay_alu instid0(VALU_DEP_3) | instskip(NEXT) | instid1(VALU_DEP_2)
	v_mov_b32_e32 v7, v3
	v_fmac_f32_e64 v8, s40, s26
	s_delay_alu instid0(VALU_DEP_1) | instskip(NEXT) | instid1(VALU_DEP_1)
	v_fmac_f32_e64 v8, s40, s35
	v_fmac_f32_e64 v8, s45, s26
	s_delay_alu instid0(VALU_DEP_1) | instskip(NEXT) | instid1(VALU_DEP_1)
	v_pk_add_f32 v[4:5], v[6:7], v[8:9]
	v_dual_mov_b32 v2, v5 :: v_dual_sub_f32 v7, s42, v5
	v_mul_f32_e32 v12, 0x3f317218, v1
	s_delay_alu instid0(VALU_DEP_2) | instskip(NEXT) | instid1(VALU_DEP_3)
	v_pk_mul_f32 v[10:11], v[4:5], v[2:3]
	v_add_f32_e32 v3, v3, v7
	s_delay_alu instid0(VALU_DEP_3) | instskip(NEXT) | instid1(VALU_DEP_3)
	v_xor_b32_e32 v7, 0x80000000, v12
	v_xor_b32_e32 v2, 0x80000000, v10
	s_delay_alu instid0(VALU_DEP_2) | instskip(NEXT) | instid1(VALU_DEP_2)
	v_dual_sub_f32 v6, v4, v6 :: v_dual_fmac_f32 v7, 0x3f317218, v1
	v_fmac_f32_e32 v2, v4, v5
	s_delay_alu instid0(VALU_DEP_2) | instskip(NEXT) | instid1(VALU_DEP_2)
	v_sub_f32_e32 v6, v8, v6
	v_fmac_f32_e32 v2, v4, v3
	s_delay_alu instid0(VALU_DEP_1) | instskip(SKIP_3) | instid1(VALU_DEP_2)
	v_fmac_f32_e32 v2, v6, v5
	v_fmamk_f32 v4, v1, 0xb102e308, v7
	v_ldexp_f32 v5, s26, 1
	v_ldexp_f32 v1, s35, 1
	v_dual_add_f32 v13, v10, v2 :: v_dual_mov_b32 v11, v5
	s_delay_alu instid0(VALU_DEP_1) | instskip(SKIP_1) | instid1(VALU_DEP_2)
	v_pk_add_f32 v[6:7], v[12:13], v[4:5]
	v_dual_mov_b32 v8, v13 :: v_dual_mov_b32 v3, v13
	v_dual_mov_b32 v9, v7 :: v_dual_mov_b32 v5, v6
	v_mov_b32_e32 v14, v7
	s_delay_alu instid0(VALU_DEP_2) | instskip(NEXT) | instid1(VALU_DEP_1)
	v_pk_add_f32 v[8:9], v[8:9], v[10:11] neg_lo:[0,1] neg_hi:[0,1]
	v_pk_add_f32 v[2:3], v[2:3], v[8:9] neg_lo:[0,1] neg_hi:[0,1]
	s_delay_alu instid0(VALU_DEP_1) | instskip(NEXT) | instid1(VALU_DEP_1)
	v_add_f32_e32 v1, v1, v2
	v_add_f32_e32 v13, v1, v3
	s_delay_alu instid0(VALU_DEP_1) | instskip(SKIP_1) | instid1(VALU_DEP_2)
	v_pk_add_f32 v[2:3], v[6:7], v[12:13]
	v_pk_add_f32 v[8:9], v[6:7], v[12:13] neg_lo:[0,1] neg_hi:[0,1]
	v_mov_b32_e32 v9, v3
	s_delay_alu instid0(VALU_DEP_1) | instskip(SKIP_2) | instid1(VALU_DEP_3)
	v_pk_add_f32 v[10:11], v[4:5], v[8:9]
	v_pk_add_f32 v[4:5], v[4:5], v[8:9] neg_lo:[0,1] neg_hi:[0,1]
	v_dual_mov_b32 v16, v3 :: v_dual_mov_b32 v5, v6
	v_dual_mov_b32 v12, v11 :: v_dual_mov_b32 v17, v11
	s_delay_alu instid0(VALU_DEP_3) | instskip(NEXT) | instid1(VALU_DEP_2)
	v_readfirstlane_b32 s26, v4
	v_pk_add_f32 v[8:9], v[12:13], v[6:7] neg_lo:[0,1] neg_hi:[0,1]
	s_delay_alu instid0(VALU_DEP_2) | instskip(NEXT) | instid1(VALU_DEP_2)
	v_dual_mov_b32 v4, v13 :: v_dual_mov_b32 v10, s26
	v_dual_mov_b32 v15, v8 :: v_dual_mov_b32 v1, v8
	s_delay_alu instid0(VALU_DEP_1) | instskip(NEXT) | instid1(VALU_DEP_2)
	v_pk_add_f32 v[6:7], v[16:17], v[14:15] neg_lo:[0,1] neg_hi:[0,1]
	v_pk_add_f32 v[2:3], v[2:3], v[0:1] neg_lo:[0,1] neg_hi:[0,1]
	v_mov_b32_e32 v2, s26
	s_delay_alu instid0(VALU_DEP_3) | instskip(NEXT) | instid1(VALU_DEP_1)
	v_pk_add_f32 v[4:5], v[4:5], v[6:7] neg_lo:[0,1] neg_hi:[0,1]
	v_pk_add_f32 v[2:3], v[2:3], v[4:5]
	s_delay_alu instid0(VALU_DEP_1) | instskip(NEXT) | instid1(VALU_DEP_2)
	v_readfirstlane_b32 s27, v2
	v_mov_b32_e32 v6, v3
	s_delay_alu instid0(VALU_DEP_1) | instskip(NEXT) | instid1(VALU_DEP_3)
	v_pk_add_f32 v[6:7], v[2:3], v[6:7]
	v_mov_b32_e32 v2, s27
	s_delay_alu instid0(VALU_DEP_2) | instskip(SKIP_1) | instid1(VALU_DEP_2)
	v_pk_add_f32 v[8:9], v[12:13], v[6:7]
	v_mov_b32_e32 v5, v6
	v_readfirstlane_b32 s35, v8
	s_delay_alu instid0(VALU_DEP_1) | instskip(NEXT) | instid1(VALU_DEP_1)
	v_mov_b32_e32 v3, s35
	v_pk_add_f32 v[2:3], v[2:3], v[10:11] neg_lo:[0,1] neg_hi:[0,1]
	s_delay_alu instid0(VALU_DEP_1) | instskip(NEXT) | instid1(VALU_DEP_2)
	v_readfirstlane_b32 s40, v2
	v_pk_add_f32 v[2:3], v[4:5], v[2:3] neg_lo:[0,1] neg_hi:[0,1]
	s_sub_f32 s27, s27, s40
	s_delay_alu instid0(VALU_DEP_1) | instskip(NEXT) | instid1(SALU_CYCLE_2)
	v_readfirstlane_b32 s40, v2
	s_sub_f32 s26, s26, s27
	v_readfirstlane_b32 s27, v3
	s_delay_alu instid0(SALU_CYCLE_2) | instskip(NEXT) | instid1(SALU_CYCLE_3)
	s_add_f32 s26, s40, s26
	s_add_f32 s26, s26, s27
	s_delay_alu instid0(SALU_CYCLE_3) | instskip(NEXT) | instid1(SALU_CYCLE_3)
	s_add_f32 s27, s35, s26
	s_mul_f32 s40, s11, s27
	s_sub_f32 s35, s27, s35
	s_delay_alu instid0(SALU_CYCLE_2) | instskip(NEXT) | instid1(SALU_CYCLE_2)
	s_xor_b32 s41, s40, 0x80000000
	s_sub_f32 s26, s26, s35
	s_fmac_f32 s41, s11, s27
	s_delay_alu instid0(SALU_CYCLE_3) | instskip(SKIP_1) | instid1(SALU_CYCLE_2)
	s_fmac_f32 s41, s11, s26
	v_cmp_class_f32_e64 s26, s40, 0x204
	s_add_f32 s27, s40, s41
	s_and_b32 s26, s26, exec_lo
	s_delay_alu instid0(SALU_CYCLE_2) | instskip(SKIP_1) | instid1(SALU_CYCLE_1)
	s_sub_f32 s26, s27, s40
	s_cselect_b32 s27, s40, s27
	s_and_b32 s35, s27, 0x7fffffff
	s_delay_alu instid0(SALU_CYCLE_1) | instskip(SKIP_1) | instid1(SALU_CYCLE_2)
	s_sub_f32 s26, s41, s26
	s_cmp_neq_f32 s35, 0x7f800000
	s_cselect_b32 s26, s26, 0
	s_cmp_eq_f32 s27, 0x42b17218
	s_cselect_b32 s35, 0x37000000, 0
	s_delay_alu instid0(SALU_CYCLE_1) | instskip(SKIP_1) | instid1(SALU_CYCLE_2)
	s_sub_f32 s27, s27, s35
	s_add_f32 s26, s35, s26
	s_mul_f32 s40, s27, 0x3fb8aa3b
	s_delay_alu instid0(SALU_CYCLE_3) | instskip(SKIP_3) | instid1(SALU_CYCLE_1)
	s_xor_b32 s41, s40, 0x80000000
	s_rndne_f32 s42, s40
	s_fmamk_f32 s41, s27, 0x3fb8aa3b, s41
	s_cmp_nlt_f32 s27, 0xc2ce8ed0
	s_sub_f32 s40, s40, s42
	s_delay_alu instid0(SALU_CYCLE_1)
	s_fmamk_f32 s41, s27, 0x32a5705f, s41
	s_cselect_b32 vcc_lo, -1, 0
	s_cmp_ngt_f32 s27, 0x42b17218
	s_trunc_f32 s27, s11
	s_add_f32 s40, s40, s41
	s_cvt_i32_f32 s41, s42
	s_delay_alu instid0(SALU_CYCLE_2)
	v_s_exp_f32 s40, s40
	v_nop
	s_delay_alu instid0(TRANS32_DEP_1) | instid1(SALU_CYCLE_1)
	v_ldexp_f32 v1, s40, s41
	s_mul_f32 s40, s11, 0.5
	s_delay_alu instid0(VALU_DEP_1) | instskip(SKIP_3) | instid1(VALU_DEP_1)
	v_cndmask_b32_e32 v1, 0, v1, vcc_lo
	s_cselect_b32 vcc_lo, -1, 0
	s_cmp_eq_f32 s27, s11
	s_trunc_f32 s41, s40
	v_cndmask_b32_e32 v1, 0x7f800000, v1, vcc_lo
	s_cselect_b32 s42, -1, 0
	s_delay_alu instid0(SALU_CYCLE_1) | instskip(NEXT) | instid1(VALU_DEP_1)
	s_cmp_neq_f32 s41, s40
	v_fma_f32 v2, s26, v1, v1
	v_cmp_class_f32_e64 vcc_lo, v1, 0x204
	s_cselect_b32 s35, -1, 0
	s_delay_alu instid0(SALU_CYCLE_1)
	s_and_b32 s26, s42, s35
	v_cndmask_b32_e32 v1, v2, v1, vcc_lo
	s_and_b32 s35, s26, exec_lo
	s_cselect_b32 s35, s2, 1.0
	s_cmp_eq_f32 s27, s11
	v_cmp_class_f32_e64 s27, s2, 0x204
	v_bfi_b32 v1, 0x7fffffff, v1, s35
	s_cselect_b32 vcc_lo, -1, 0
	s_cmp_lt_f32 s2, 0
	s_delay_alu instid0(VALU_DEP_1) | instskip(SKIP_2) | instid1(VALU_DEP_1)
	v_cndmask_b32_e32 v2, 0x7fc00000, v1, vcc_lo
	s_cselect_b32 vcc_lo, -1, 0
	s_cmp_eq_f32 s2, 0
	v_cndmask_b32_e32 v1, v1, v2, vcc_lo
	s_cselect_b32 s35, -1, 0
	s_delay_alu instid0(SALU_CYCLE_1) | instskip(SKIP_2) | instid1(SALU_CYCLE_1)
	s_or_b32 vcc_lo, s35, s27
	s_cmp_lt_f32 s11, 0
	s_cselect_b32 s11, -1, 0
	s_xor_b32 s11, s11, s35
	s_delay_alu instid0(SALU_CYCLE_1)
	s_and_b32 s11, s11, exec_lo
	s_cselect_b32 s11, 0, 0x7f800000
	s_and_b32 s26, s26, exec_lo
	s_cselect_b32 s26, s2, 0
	s_cmp_o_f32 s2, s2
	v_mov_b32_e32 v2, s26
	s_delay_alu instid0(VALU_DEP_1) | instskip(NEXT) | instid1(VALU_DEP_1)
	v_bfi_b32 v2, 0x7fffffff, s11, v2
	v_cndmask_b32_e32 v1, v1, v2, vcc_lo
	s_cselect_b32 vcc_lo, -1, 0
	s_delay_alu instid0(VALU_DEP_1)
	v_cndmask_b32_e32 v64, 0x7fc00000, v1, vcc_lo
.LBB65_4:
	s_bfe_u32 s2, ttmp6, 0x4000c
	s_and_b32 s11, ttmp6, 15
	s_add_co_i32 s2, s2, 1
	v_bfe_u32 v61, v0, 10, 10
	s_mul_i32 s2, ttmp9, s2
	v_and_b32_e32 v56, 0x3ff, v0
	s_add_co_i32 s11, s11, s2
	s_cmp_eq_u32 s38, 0
	s_movk_i32 s27, 0xc0
	s_cselect_b32 s26, ttmp9, s11
	v_cmp_gt_u32_e64 s2, 24, v56
	s_lshl_b32 s11, s26, 2
	v_mad_u32_u24 v66, v61, s27, 0xe80
	v_dual_lshlrev_b32 v58, 3, v56 :: v_dual_add_nc_u32 v57, s11, v61
	s_mov_b32 s11, s37
	s_and_saveexec_b32 s27, s2
	s_cbranch_execz .LBB65_6
; %bb.5:
	s_delay_alu instid0(VALU_DEP_1) | instskip(SKIP_1) | instid1(VALU_DEP_1)
	v_mul_hi_u32 v0, s20, v57
	s_load_b96 s[40:42], s[0:1], 0x70
	v_dual_mov_b32 v1, 0 :: v_dual_add_nc_u32 v0, v57, v0
	s_delay_alu instid0(VALU_DEP_1) | instskip(SKIP_2) | instid1(VALU_DEP_1)
	v_lshrrev_b32_e32 v0, s21, v0
	s_wait_kmcnt 0x0
	s_mul_i32 s44, s33, s41
	v_mul_lo_u32 v0, v0, s22
	s_ashr_i32 s41, s40, 31
	s_ashr_i32 s45, s44, 31
	s_lshr_b64 s[40:41], s[40:41], 2
	s_delay_alu instid0(VALU_DEP_1) | instskip(NEXT) | instid1(VALU_DEP_1)
	v_sub_nc_u32_e32 v0, v57, v0
	v_mul_u64_e32 v[2:3], s[40:41], v[0:1]
	s_mul_i32 s40, s28, s42
	v_lshlrev_b32_e32 v0, 4, v56
	s_ashr_i32 s41, s40, 31
	s_delay_alu instid0(SALU_CYCLE_1) | instskip(NEXT) | instid1(SALU_CYCLE_1)
	s_add_nc_u64 s[4:5], s[4:5], s[40:41]
	s_add_nc_u64 s[4:5], s[4:5], s[44:45]
	s_delay_alu instid0(VALU_DEP_2) | instid1(SALU_CYCLE_1)
	v_lshl_add_u64 v[2:3], v[2:3], 2, s[4:5]
	s_delay_alu instid0(VALU_DEP_1) | instskip(SKIP_4) | instid1(VALU_DEP_1)
	v_add_nc_u64_e32 v[0:1], v[2:3], v[0:1]
	global_load_b128 v[0:3], v[0:1], off
	s_wait_loadcnt 0x0
	v_fma_mixlo_f16 v4, s24, v0, 0
	v_mov_b32_e32 v0, v3
	v_pk_mul_f32 v[0:1], s[24:25], v[0:1] op_sel_hi:[0,1]
	s_delay_alu instid0(VALU_DEP_1) | instskip(SKIP_2) | instid1(VALU_DEP_3)
	v_cvt_pk_f16_f32 v0, v0, v1
	v_fma_mixlo_f16 v1, s24, v2, 0
	v_and_b32_e32 v2, 0xffff, v4
	v_and_b32_e32 v3, 0xffff0000, v0
	s_delay_alu instid0(VALU_DEP_3) | instskip(NEXT) | instid1(VALU_DEP_2)
	v_and_b32_e32 v1, 0xffff, v1
	v_dual_lshlrev_b32 v0, 16, v0 :: v_dual_bitop2_b32 v2, v3, v2 bitop3:0x54
	v_add_nc_u32_e32 v3, v66, v58
	s_delay_alu instid0(VALU_DEP_2) | instskip(NEXT) | instid1(VALU_DEP_3)
	v_or3_b32 v1, v0, v1, 0
	v_or3_b32 v0, 0, 0, v2
	ds_store_b64 v3, v[0:1]
.LBB65_6:
	s_or_b32 exec_lo, exec_lo, s27
	s_ashr_i32 s40, s33, 31
	s_ashr_i32 s41, s29, 31
	s_mul_u64 s[4:5], s[36:37], s[10:11]
	s_cmp_eq_u64 s[14:15], 0
	s_wait_dscnt 0x0
	s_barrier_signal -1
	s_barrier_wait -1
	s_cbranch_scc1 .LBB65_8
; %bb.7:
	s_load_b32 s4, s[0:1], 0xd0
	s_wait_kmcnt 0x0
	s_mul_i32 s4, s4, s28
	s_delay_alu instid0(SALU_CYCLE_1)
	s_add_co_i32 s4, s4, s26
	s_load_b32 s34, s[14:15], s4 offset:0x0 scale_offset
.LBB65_8:
	s_clause 0x1
	s_load_b64 s[10:11], s[0:1], 0x8c
	s_load_b128 s[24:27], s[0:1], 0x98
	s_wait_xcnt 0x0
	s_load_b64 s[14:15], s[0:1], 0xa8
	s_mul_i32 s4, s5, s39
	s_ashr_i32 s35, s3, 1
	s_sub_co_i32 s4, s36, s4
	s_ashr_i32 s29, s28, 31
	s_xor_b32 s3, s40, s41
	s_add_co_i32 s37, s5, 1
	s_sub_co_i32 s42, s4, s39
	v_dual_lshrrev_b32 v70, 1, v56 :: v_dual_lshrrev_b32 v69, 2, v56
	v_mul_u32_u24_e32 v67, 0x70, v56
	v_lshl_add_u32 v60, v61, 6, 0x1180
	v_lshrrev_b32_e32 v65, 3, v56
	v_mbcnt_lo_u32_b32 v59, -1, 0
	s_wait_kmcnt 0x0
	s_ashr_i32 s36, s10, 2
	s_ashr_i32 s10, s26, 2
	s_cmp_ge_u32 s4, s39
	s_mul_u64 s[40:41], s[14:15], s[28:29]
	s_cselect_b32 s14, s37, s5
	s_cselect_b32 s4, s42, s4
	s_add_co_i32 s15, s14, 1
	s_mul_u64 s[24:25], s[24:25], s[28:29]
	s_cmp_ge_u32 s4, s39
	s_add_nc_u64 s[4:5], s[6:7], s[24:25]
	s_cselect_b32 s6, s15, s14
	s_bfe_u32 s7, ttmp6, 0x40010
	s_xor_b32 s6, s6, s3
	s_and_b32 s14, ttmp7, 0xffff
	s_add_co_i32 s7, s7, 1
	s_sub_co_i32 s3, s6, s3
	s_bfe_u32 s15, ttmp6, 0x40004
	s_mul_i32 s7, s14, s7
	s_mul_i32 s6, s3, s11
	;; [unrolled: 1-line block ×3, first 2 shown]
	s_add_co_i32 s15, s15, s7
	s_ashr_i32 s7, s6, 31
	s_ashr_i32 s27, s26, 31
	s_cmp_eq_u32 s38, 0
	s_add_nc_u64 s[24:25], s[4:5], s[6:7]
	s_cselect_b32 s29, s14, s15
	s_sub_co_i32 s38, s34, 32
	s_lshl_b32 s14, s29, 5
	s_add_nc_u64 s[4:5], s[8:9], s[40:41]
	s_cmp_ge_i32 s14, s38
	s_add_nc_u64 s[6:7], s[4:5], s[26:27]
	s_cbranch_scc1 .LBB65_23
; %bb.9:
	v_mul_hi_u32 v1, s20, v57
	v_dual_mov_b32 v41, 0 :: v_dual_lshlrev_b32 v4, 2, v56
	v_lshl_add_u32 v3, v61, 4, v70
	v_lshl_add_u32 v5, v61, 3, v69
	;; [unrolled: 1-line block ×3, first 2 shown]
	s_delay_alu instid0(VALU_DEP_4)
	v_and_b32_e32 v0, 12, v4
	s_ashr_i32 s37, s36, 31
	v_cmp_gt_u32_e64 s3, 32, v3
	v_mul_u32_u24_e32 v7, 0x70, v3
	v_mul_lo_u32 v44, s36, v3
	v_dual_add_nc_u32 v1, v57, v1 :: v_dual_bitop2_b32 v2, 4, v4 bitop3:0x40
	v_mul_u32_u24_e32 v3, 0xc0, v5
	v_dual_lshlrev_b32 v8, 2, v0 :: v_dual_lshlrev_b32 v50, 2, v0
	s_delay_alu instid0(VALU_DEP_3)
	v_lshrrev_b32_e32 v1, s21, v1
	v_mul_lo_u32 v42, s36, v5
	v_mul_lo_u32 v46, s10, v6
	;; [unrolled: 1-line block ×3, first 2 shown]
	v_dual_lshlrev_b32 v9, 2, v2 :: v_dual_bitop2_b32 v4, 28, v4 bitop3:0x40
	v_mul_lo_u32 v1, v1, s22
	v_or_b32_e32 v0, v3, v8
	v_lshl_add_u32 v71, v56, 1, v60
	s_delay_alu instid0(VALU_DEP_4)
	v_lshlrev_b32_e32 v10, 2, v4
	v_cmp_gt_u32_e64 s4, 16, v5
	v_mad_u32_u24 v72, 0x70, v5, v8
	v_add3_u32 v73, v7, v9, 64
	v_ashrrev_i32_e32 v43, 31, v42
	v_mad_u32_u24 v74, 0xc0, v6, v10
	v_dual_ashrrev_i32 v45, 31, v44 :: v_dual_ashrrev_i32 v47, 31, v46
	v_dual_sub_nc_u32 v1, v57, v1 :: v_dual_ashrrev_i32 v49, 31, v48
	v_dual_mov_b32 v52, v50 :: v_dual_add_nc_u32 v75, 0x80, v0
	v_mov_b32_e32 v62, v41
	s_delay_alu instid0(VALU_DEP_3)
	v_mad_u32 v76, v1, s35, v56
	v_dual_mov_b32 v79, 0xfeffffff :: v_dual_lshlrev_b32 v40, 2, v4
	v_dual_mov_b32 v53, v41 :: v_dual_lshlrev_b32 v54, 2, v2
	v_mbcnt_lo_u32_b32 v77, -1, 0
	v_dual_mov_b32 v63, v41 :: v_dual_mov_b32 v78, v41
	s_cmp_lg_u64 s[30:31], 0
	s_add_nc_u64 s[8:9], s[0:1], 0xd0
	s_cselect_b32 s39, -1, 0
	s_ashr_i32 s11, s10, 31
.LBB65_10:                              ; =>This Inner Loop Header: Depth=1
	s_ashr_i32 s15, s14, 31
	s_delay_alu instid0(SALU_CYCLE_1) | instskip(NEXT) | instid1(SALU_CYCLE_1)
	s_mul_u64 s[26:27], s[14:15], s[36:37]
	s_lshl_b64 s[26:27], s[26:27], 2
	s_delay_alu instid0(SALU_CYCLE_1) | instskip(NEXT) | instid1(SALU_CYCLE_1)
	s_add_nc_u64 s[26:27], s[24:25], s[26:27]
	v_lshl_add_u64 v[0:1], v[44:45], 2, s[26:27]
	s_and_saveexec_b32 s5, s3
	s_cbranch_execz .LBB65_12
; %bb.11:                               ;   in Loop: Header=BB65_10 Depth=1
	v_mov_b32_e32 v55, v41
	s_delay_alu instid0(VALU_DEP_1)
	v_add_nc_u64_e32 v[2:3], v[0:1], v[54:55]
	global_load_b128 v[2:5], v[2:3], off offset:64
	s_wait_loadcnt 0x0
	ds_store_b128 v73, v[2:5]
.LBB65_12:                              ;   in Loop: Header=BB65_10 Depth=1
	s_or_b32 exec_lo, exec_lo, s5
	v_lshl_add_u64 v[2:3], v[42:43], 2, s[26:27]
	s_delay_alu instid0(VALU_DEP_1)
	v_add_nc_u64_e32 v[2:3], v[2:3], v[52:53]
	global_load_b128 v[4:7], v[2:3], off
	s_wait_loadcnt 0x0
	ds_store_b128 v72, v[4:7]
	s_wait_dscnt 0x0
	s_barrier_signal -1
	s_barrier_wait -1
	ds_load_b128 v[6:9], v67
	ds_load_b128 v[10:13], v66
	v_mov_b32_e32 v4, v41
	s_wait_dscnt 0x0
	;;#ASMSTART
	v_dot2_f32_f16 v4, v6, v10, v4
	;;#ASMEND
	;;#ASMSTART
	v_dot2_f32_f16 v4, v7, v11, v4
	;;#ASMEND
	;;#ASMSTART
	v_dot2_f32_f16 v4, v8, v12, v4
	;;#ASMEND
	;;#ASMSTART
	v_dot2_f32_f16 v4, v9, v13, v4
	;;#ASMEND
	ds_load_b128 v[6:9], v67 offset:16
	ds_load_b128 v[10:13], v66 offset:16
	s_wait_dscnt 0x0
	;;#ASMSTART
	v_dot2_f32_f16 v4, v6, v10, v4
	;;#ASMEND
	;;#ASMSTART
	v_dot2_f32_f16 v4, v7, v11, v4
	;;#ASMEND
	;;#ASMSTART
	v_dot2_f32_f16 v4, v8, v12, v4
	;;#ASMEND
	;;#ASMSTART
	v_dot2_f32_f16 v4, v9, v13, v4
	;;#ASMEND
	ds_load_b128 v[6:9], v67 offset:32
	ds_load_b128 v[10:13], v66 offset:32
	;; [unrolled: 15-line block ×5, first 2 shown]
	s_wait_dscnt 0x0
	;;#ASMSTART
	v_dot2_f32_f16 v4, v6, v10, v4
	;;#ASMEND
	;;#ASMSTART
	v_dot2_f32_f16 v4, v7, v11, v4
	;;#ASMEND
	;; [unrolled: 3-line block ×4, first 2 shown]
	s_barrier_signal -1
	s_barrier_wait -1
	s_and_saveexec_b32 s5, s3
	s_cbranch_execz .LBB65_14
; %bb.13:                               ;   in Loop: Header=BB65_10 Depth=1
	v_mov_b32_e32 v55, v41
	s_delay_alu instid0(VALU_DEP_1)
	v_add_nc_u64_e32 v[0:1], v[0:1], v[54:55]
	global_load_b128 v[6:9], v[0:1], off offset:160
	s_wait_loadcnt 0x0
	ds_store_b128 v73, v[6:9]
.LBB65_14:                              ;   in Loop: Header=BB65_10 Depth=1
	s_or_b32 exec_lo, exec_lo, s5
	global_load_b128 v[0:3], v[2:3], off offset:96
	s_and_not1_b32 vcc_lo, exec_lo, s39
	s_wait_loadcnt 0x0
	ds_store_b128 v72, v[0:3]
	s_wait_dscnt 0x0
	s_barrier_signal -1
	s_barrier_wait -1
	ds_load_b128 v[0:3], v67
	ds_load_b128 v[6:9], v66 offset:96
	s_wait_dscnt 0x0
	;;#ASMSTART
	v_dot2_f32_f16 v4, v0, v6, v4
	;;#ASMEND
	;;#ASMSTART
	v_dot2_f32_f16 v4, v1, v7, v4
	;;#ASMEND
	;;#ASMSTART
	v_dot2_f32_f16 v4, v2, v8, v4
	;;#ASMEND
	;;#ASMSTART
	v_dot2_f32_f16 v4, v3, v9, v4
	;;#ASMEND
	ds_load_b128 v[0:3], v67 offset:16
	ds_load_b128 v[6:9], v66 offset:112
	s_wait_dscnt 0x0
	;;#ASMSTART
	v_dot2_f32_f16 v4, v0, v6, v4
	;;#ASMEND
	;;#ASMSTART
	v_dot2_f32_f16 v4, v1, v7, v4
	;;#ASMEND
	;;#ASMSTART
	v_dot2_f32_f16 v4, v2, v8, v4
	;;#ASMEND
	;;#ASMSTART
	v_dot2_f32_f16 v4, v3, v9, v4
	;;#ASMEND
	ds_load_b128 v[0:3], v67 offset:32
	;; [unrolled: 15-line block ×5, first 2 shown]
	ds_load_b128 v[6:9], v66 offset:176
	s_wait_dscnt 0x0
	;;#ASMSTART
	v_dot2_f32_f16 v4, v0, v6, v4
	;;#ASMEND
	;;#ASMSTART
	v_dot2_f32_f16 v4, v1, v7, v4
	;;#ASMEND
	;;#ASMSTART
	v_dot2_f32_f16 v4, v2, v8, v4
	;;#ASMEND
	;;#ASMSTART
	v_dot2_f32_f16 v4, v3, v9, v4
	;;#ASMEND
	s_cbranch_vccnz .LBB65_16
; %bb.15:                               ;   in Loop: Header=BB65_10 Depth=1
	v_add_nc_u32_e32 v0, s14, v76
	global_load_u16 v0, v0, s[30:31] scale_offset
	s_wait_loadcnt 0x0
	v_cvt_f32_f16_e32 v0, v0
	s_delay_alu instid0(VALU_DEP_1)
	v_mul_f32_e32 v0, v64, v0
	s_branch .LBB65_17
.LBB65_16:                              ;   in Loop: Header=BB65_10 Depth=1
	v_mov_b32_e32 v0, 0
.LBB65_17:                              ;   in Loop: Header=BB65_10 Depth=1
	s_delay_alu instid0(VALU_DEP_1) | instskip(SKIP_1) | instid1(SALU_CYCLE_1)
	v_dual_add_f32 v0, v4, v0 :: v_dual_bitop2_b32 v1, 16, v77 bitop3:0x14
	s_mul_u64 s[26:27], s[14:15], s[10:11]
	s_lshl_b64 s[26:27], s[26:27], 2
	s_delay_alu instid0(VALU_DEP_1) | instskip(NEXT) | instid1(VALU_DEP_2)
	v_cmp_gt_i32_e32 vcc_lo, 32, v1
	v_dual_max_num_f32 v2, v79, v79 :: v_dual_add_f32 v3, 0x40051340, v0
	s_add_nc_u64 s[26:27], s[6:7], s[26:27]
	s_barrier_signal -1
	v_cndmask_b32_e32 v1, v77, v1, vcc_lo
	s_barrier_wait -1
	s_delay_alu instid0(VALU_DEP_1) | instskip(SKIP_3) | instid1(VALU_DEP_1)
	v_dual_max_num_f32 v2, v2, v3 :: v_dual_lshlrev_b32 v1, 2, v1
	ds_bpermute_b32 v1, v1, v2
	s_wait_dscnt 0x0
	v_max_num_f32_e32 v1, v1, v1
	v_max_num_f32_e32 v1, v2, v1
	v_xor_b32_e32 v3, 8, v77
	s_delay_alu instid0(VALU_DEP_1) | instskip(SKIP_1) | instid1(VALU_DEP_1)
	v_cmp_gt_i32_e32 vcc_lo, 32, v3
	v_cndmask_b32_e32 v3, v77, v3, vcc_lo
	v_lshlrev_b32_e32 v3, 2, v3
	ds_bpermute_b32 v2, v3, v1
	v_xor_b32_e32 v3, 4, v77
	s_delay_alu instid0(VALU_DEP_1) | instskip(SKIP_2) | instid1(VALU_DEP_1)
	v_cmp_gt_i32_e32 vcc_lo, 32, v3
	v_cndmask_b32_e32 v3, v77, v3, vcc_lo
	s_wait_dscnt 0x0
	v_dual_max_num_f32 v2, v2, v2 :: v_dual_lshlrev_b32 v3, 2, v3
	s_delay_alu instid0(VALU_DEP_1) | instskip(SKIP_3) | instid1(VALU_DEP_1)
	v_max_num_f32_e32 v1, v1, v2
	ds_bpermute_b32 v2, v3, v1
	s_wait_dscnt 0x0
	v_max_num_f32_e32 v2, v2, v2
	v_dual_max_num_f32 v1, v1, v2 :: v_dual_bitop2_b32 v3, 2, v77 bitop3:0x14
	s_delay_alu instid0(VALU_DEP_1) | instskip(SKIP_1) | instid1(VALU_DEP_1)
	v_cmp_gt_i32_e32 vcc_lo, 32, v3
	v_cndmask_b32_e32 v3, v77, v3, vcc_lo
	v_lshlrev_b32_e32 v3, 2, v3
	ds_bpermute_b32 v2, v3, v1
	v_xor_b32_e32 v3, 1, v77
	s_delay_alu instid0(VALU_DEP_1) | instskip(SKIP_2) | instid1(VALU_DEP_1)
	v_cmp_gt_i32_e32 vcc_lo, 32, v3
	v_cndmask_b32_e32 v3, v77, v3, vcc_lo
	s_wait_dscnt 0x0
	v_dual_max_num_f32 v2, v2, v2 :: v_dual_lshlrev_b32 v3, 2, v3
	s_delay_alu instid0(VALU_DEP_1) | instskip(SKIP_3) | instid1(VALU_DEP_1)
	v_max_num_f32_e32 v1, v1, v2
	ds_bpermute_b32 v2, v3, v1
	s_wait_dscnt 0x0
	v_max_num_f32_e32 v2, v2, v2
	v_max_num_f32_e32 v68, v1, v2
	s_delay_alu instid0(VALU_DEP_1) | instskip(NEXT) | instid1(VALU_DEP_1)
	v_sub_f32_e32 v0, v0, v68
	v_mul_f32_e32 v1, 0x3fb8aa3b, v0
	v_cmp_ngt_f32_e32 vcc_lo, 0xc2ce8ed0, v0
	s_delay_alu instid0(VALU_DEP_2) | instskip(SKIP_1) | instid1(VALU_DEP_1)
	v_fma_f32 v2, 0x3fb8aa3b, v0, -v1
	v_rndne_f32_e32 v3, v1
	v_dual_fmac_f32 v2, 0x32a5705f, v0 :: v_dual_sub_f32 v1, v1, v3
	s_delay_alu instid0(VALU_DEP_1) | instskip(SKIP_1) | instid1(VALU_DEP_2)
	v_add_f32_e32 v1, v1, v2
	v_cvt_i32_f32_e32 v2, v3
	v_exp_f32_e32 v1, v1
	v_nop
	s_delay_alu instid0(TRANS32_DEP_1) | instskip(NEXT) | instid1(VALU_DEP_1)
	v_ldexp_f32 v1, v1, v2
	v_cndmask_b32_e32 v1, 0, v1, vcc_lo
	v_cmp_nlt_f32_e32 vcc_lo, 0x42b17218, v0
	s_delay_alu instid0(VALU_DEP_2) | instskip(NEXT) | instid1(VALU_DEP_1)
	v_cndmask_b32_e32 v55, 0x7f800000, v1, vcc_lo
	v_cvt_f16_f32_e32 v0, v55
	ds_store_b16 v71, v0
	s_and_saveexec_b32 s5, s4
	s_cbranch_execz .LBB65_19
; %bb.18:                               ;   in Loop: Header=BB65_10 Depth=1
	v_lshl_add_u64 v[0:1], v[48:49], 2, s[26:27]
	v_mov_b32_e32 v51, v41
	s_delay_alu instid0(VALU_DEP_1)
	v_add_nc_u64_e32 v[0:1], v[0:1], v[50:51]
	global_load_b128 v[0:3], v[0:1], off offset:128
	s_wait_loadcnt 0x0
	ds_store_b128 v75, v[0:3]
.LBB65_19:                              ;   in Loop: Header=BB65_10 Depth=1
	s_or_b32 exec_lo, exec_lo, s5
	v_lshl_add_u64 v[0:1], v[46:47], 2, s[26:27]
	v_add_nc_u32_e32 v81, 0x400, v58
	v_dual_sub_f32 v79, v79, v68 :: v_dual_add_nc_u32 v80, 0x800, v58
	s_or_b32 s26, s14, 16
	s_delay_alu instid0(VALU_DEP_3) | instskip(SKIP_1) | instid1(SALU_CYCLE_1)
	v_add_nc_u64_e32 v[0:1], v[0:1], v[40:41]
	s_ashr_i32 s27, s26, 31
	s_mul_u64 s[26:27], s[26:27], s[10:11]
	v_cmp_nlt_f32_e64 s5, 0x42b17218, v79
	s_lshl_b64 s[26:27], s[26:27], 2
	v_cmp_ngt_f32_e32 vcc_lo, 0xc2ce8ed0, v79
	global_load_b128 v[0:3], v[0:1], off
	s_add_nc_u64 s[26:27], s[6:7], s[26:27]
	s_wait_loadcnt 0x0
	ds_store_b128 v74, v[0:3]
	s_wait_dscnt 0x0
	s_barrier_signal -1
	s_barrier_wait -1
	ds_load_2addr_b64 v[36:39], v58 offset1:24
	ds_load_b128 v[28:31], v60
	ds_load_b128 v[4:7], v60 offset:16
	ds_load_2addr_b64 v[32:35], v58 offset0:48 offset1:72
	ds_load_2addr_b64 v[24:27], v58 offset0:96 offset1:120
	;; [unrolled: 1-line block ×7, first 2 shown]
	s_wait_dscnt 0x0
	s_barrier_signal -1
	s_barrier_wait -1
	s_and_saveexec_b32 s15, s4
	s_cbranch_execz .LBB65_21
; %bb.20:                               ;   in Loop: Header=BB65_10 Depth=1
	v_lshl_add_u64 v[82:83], v[48:49], 2, s[26:27]
	v_mov_b32_e32 v51, v41
	s_delay_alu instid0(VALU_DEP_1)
	v_add_nc_u64_e32 v[82:83], v[82:83], v[50:51]
	global_load_b128 v[82:85], v[82:83], off offset:128
	s_wait_loadcnt 0x0
	ds_store_b128 v75, v[82:85]
.LBB65_21:                              ;   in Loop: Header=BB65_10 Depth=1
	s_or_b32 exec_lo, exec_lo, s15
	v_lshl_add_u64 v[82:83], v[46:47], 2, s[26:27]
	v_mul_f32_e32 v51, 0x3fb8aa3b, v79
	s_delay_alu instid0(VALU_DEP_2) | instskip(NEXT) | instid1(VALU_DEP_2)
	v_add_nc_u64_e32 v[82:83], v[82:83], v[40:41]
	v_fma_f32 v86, 0x3fb8aa3b, v79, -v51
	v_rndne_f32_e32 v87, v51
	s_delay_alu instid0(VALU_DEP_2) | instskip(SKIP_4) | instid1(VALU_DEP_3)
	v_fmac_f32_e32 v86, 0x32a5705f, v79
	global_load_b128 v[82:85], v[82:83], off
	v_sub_f32_e32 v51, v51, v87
	v_cvt_i32_f32_e32 v79, v87
	v_and_b32_e32 v87, 0xffff, v29
	v_dual_lshrrev_b32 v29, 16, v29 :: v_dual_add_f32 v51, v51, v86
	s_delay_alu instid0(VALU_DEP_1) | instskip(NEXT) | instid1(VALU_DEP_2)
	v_mul_u32_u24_e32 v29, 0x10001, v29
	v_exp_f32_e32 v51, v51
	v_nop
	s_delay_alu instid0(TRANS32_DEP_1) | instskip(SKIP_1) | instid1(VALU_DEP_2)
	v_ldexp_f32 v51, v51, v79
	v_and_b32_e32 v79, 0xffff, v28
	v_dual_cndmask_b32 v51, 0, v51 :: v_dual_lshrrev_b32 v28, 16, v28
	s_delay_alu instid0(VALU_DEP_2) | instskip(NEXT) | instid1(VALU_DEP_2)
	v_mul_u32_u24_e32 v79, 0x10001, v79
	v_mul_u32_u24_e32 v28, 0x10001, v28
	s_delay_alu instid0(VALU_DEP_3) | instskip(NEXT) | instid1(VALU_DEP_3)
	v_cndmask_b32_e64 v51, 0x7f800000, v51, s5
	v_pk_mul_f16 v36, v36, v79
	v_pk_mul_f16 v37, v37, v79
	s_delay_alu instid0(VALU_DEP_3) | instskip(SKIP_1) | instid1(VALU_DEP_2)
	v_cvt_f16_f32_e32 v86, v51
	v_fmac_f32_e32 v55, v78, v51
	v_and_b32_e32 v86, 0xffff, v86
	s_delay_alu instid0(VALU_DEP_1) | instskip(NEXT) | instid1(VALU_DEP_1)
	v_mul_u32_u24_e32 v86, 0x10001, v86
	v_pk_fma_f16 v36, v63, v86, v36
	v_pk_fma_f16 v37, v62, v86, v37
	v_mul_u32_u24_e32 v63, 0x10001, v87
	s_delay_alu instid0(VALU_DEP_3) | instskip(NEXT) | instid1(VALU_DEP_3)
	v_pk_fma_f16 v36, v38, v28, v36
	v_pk_fma_f16 v28, v39, v28, v37
	v_and_b32_e32 v38, 0xffff, v30
	v_lshrrev_b32_e32 v30, 16, v30
	s_delay_alu instid0(VALU_DEP_4) | instskip(NEXT) | instid1(VALU_DEP_4)
	v_pk_fma_f16 v32, v32, v63, v36
	v_pk_fma_f16 v28, v33, v63, v28
	s_delay_alu instid0(VALU_DEP_4)
	v_mul_u32_u24_e32 v36, 0x10001, v38
	v_and_b32_e32 v33, 0xffff, v31
	v_mul_u32_u24_e32 v30, 0x10001, v30
	v_pk_fma_f16 v32, v34, v29, v32
	v_pk_fma_f16 v28, v35, v29, v28
	v_lshrrev_b32_e32 v29, 16, v31
	v_mul_u32_u24_e32 v31, 0x10001, v33
	s_delay_alu instid0(VALU_DEP_4) | instskip(NEXT) | instid1(VALU_DEP_4)
	v_pk_fma_f16 v24, v24, v36, v32
	v_pk_fma_f16 v25, v25, v36, v28
	s_delay_alu instid0(VALU_DEP_4) | instskip(NEXT) | instid1(VALU_DEP_3)
	v_mul_u32_u24_e32 v28, 0x10001, v29
	v_pk_fma_f16 v24, v26, v30, v24
	s_delay_alu instid0(VALU_DEP_3) | instskip(SKIP_2) | instid1(VALU_DEP_4)
	v_pk_fma_f16 v25, v27, v30, v25
	v_and_b32_e32 v26, 0xffff, v4
	v_lshrrev_b32_e32 v4, 16, v4
	v_pk_fma_f16 v20, v20, v31, v24
	s_delay_alu instid0(VALU_DEP_4) | instskip(NEXT) | instid1(VALU_DEP_4)
	v_pk_fma_f16 v21, v21, v31, v25
	v_mul_u32_u24_e32 v24, 0x10001, v26
	s_delay_alu instid0(VALU_DEP_4) | instskip(NEXT) | instid1(VALU_DEP_4)
	v_mul_u32_u24_e32 v4, 0x10001, v4
	v_pk_fma_f16 v20, v22, v28, v20
	s_delay_alu instid0(VALU_DEP_4) | instskip(SKIP_2) | instid1(VALU_DEP_4)
	v_pk_fma_f16 v21, v23, v28, v21
	v_and_b32_e32 v22, 0xffff, v5
	v_lshrrev_b32_e32 v5, 16, v5
	v_pk_fma_f16 v16, v16, v24, v20
	s_delay_alu instid0(VALU_DEP_4) | instskip(NEXT) | instid1(VALU_DEP_4)
	v_pk_fma_f16 v17, v17, v24, v21
	v_mul_u32_u24_e32 v22, 0x10001, v22
	v_and_b32_e32 v20, 0xffff, v6
	v_lshrrev_b32_e32 v6, 16, v6
	v_pk_fma_f16 v16, v18, v4, v16
	v_pk_fma_f16 v4, v19, v4, v17
	v_mul_u32_u24_e32 v5, 0x10001, v5
	v_mul_u32_u24_e32 v20, 0x10001, v20
	s_delay_alu instid0(VALU_DEP_4) | instskip(NEXT) | instid1(VALU_DEP_4)
	v_pk_fma_f16 v12, v12, v22, v16
	v_pk_fma_f16 v4, v13, v22, v4
	v_and_b32_e32 v13, 0xffff, v7
	s_delay_alu instid0(VALU_DEP_3) | instskip(NEXT) | instid1(VALU_DEP_3)
	v_pk_fma_f16 v12, v14, v5, v12
	v_pk_fma_f16 v15, v15, v5, v4
	v_mul_u32_u24_e32 v14, 0x10001, v6
	s_delay_alu instid0(VALU_DEP_4) | instskip(NEXT) | instid1(VALU_DEP_4)
	v_mul_u32_u24_e32 v21, 0x10001, v13
	v_pk_fma_f16 v8, v8, v20, v12
	s_delay_alu instid0(VALU_DEP_4) | instskip(NEXT) | instid1(VALU_DEP_2)
	v_pk_fma_f16 v9, v9, v20, v15
	v_pk_fma_f16 v8, v10, v14, v8
	s_delay_alu instid0(VALU_DEP_2) | instskip(NEXT) | instid1(VALU_DEP_2)
	v_pk_fma_f16 v22, v11, v14, v9
	v_pk_fma_f16 v0, v0, v21, v8
	s_delay_alu instid0(VALU_DEP_2)
	v_pk_fma_f16 v1, v1, v21, v22
	s_wait_loadcnt 0x0
	ds_store_b128 v74, v[82:85]
	s_wait_dscnt 0x0
	s_barrier_signal -1
	s_barrier_wait -1
	ds_load_b128 v[16:19], v60 offset:32
	v_lshrrev_b32_e32 v12, 16, v7
	ds_load_2addr_b64 v[4:7], v58 offset1:24
	s_wait_dscnt 0x1
	v_and_b32_e32 v23, 0xffff, v16
	v_lshrrev_b32_e32 v16, 16, v16
	v_mul_u32_u24_e32 v20, 0x10001, v12
	ds_load_b128 v[8:11], v60 offset:48
	ds_load_2addr_b64 v[12:15], v58 offset0:48 offset1:72
	v_and_b32_e32 v24, 0xffff, v18
	v_mul_u32_u24_e32 v22, 0x10001, v23
	v_and_b32_e32 v23, 0xffff, v17
	v_pk_fma_f16 v21, v2, v20, v0
	v_pk_fma_f16 v20, v3, v20, v1
	ds_load_2addr_b64 v[0:3], v58 offset0:96 offset1:120
	v_mul_u32_u24_e32 v16, 0x10001, v16
	v_lshrrev_b32_e32 v17, 16, v17
	s_wait_dscnt 0x3
	v_pk_fma_f16 v4, v4, v22, v21
	v_pk_fma_f16 v5, v5, v22, v20
	v_mul_u32_u24_e32 v20, 0x10001, v23
	v_and_b32_e32 v28, 0xffff, v19
	s_delay_alu instid0(VALU_DEP_4) | instskip(NEXT) | instid1(VALU_DEP_4)
	v_pk_fma_f16 v21, v6, v16, v4
	v_pk_fma_f16 v16, v7, v16, v5
	ds_load_2addr_b64 v[4:7], v58 offset0:144 offset1:168
	s_wait_dscnt 0x2
	v_pk_fma_f16 v12, v12, v20, v21
	v_pk_fma_f16 v13, v13, v20, v16
	v_lshrrev_b32_e32 v16, 16, v18
	v_mul_u32_u24_e32 v17, 0x10001, v17
	v_mul_u32_u24_e32 v18, 0x10001, v24
	ds_load_2addr_b64 v[20:23], v58 offset0:192 offset1:216
	v_mul_u32_u24_e32 v16, 0x10001, v16
	v_pk_fma_f16 v24, v14, v17, v12
	v_pk_fma_f16 v17, v15, v17, v13
	ds_load_2addr_b64 v[12:15], v81 offset0:112 offset1:136
	s_wait_dscnt 0x3
	v_pk_fma_f16 v0, v0, v18, v24
	v_pk_fma_f16 v1, v1, v18, v17
	v_lshrrev_b32_e32 v17, 16, v19
	v_mul_u32_u24_e32 v18, 0x10001, v28
	v_and_b32_e32 v28, 0xffff, v8
	v_pk_fma_f16 v19, v2, v16, v0
	v_pk_fma_f16 v16, v3, v16, v1
	v_lshrrev_b32_e32 v8, 16, v8
	v_mul_u32_u24_e32 v17, 0x10001, v17
	ds_load_2addr_b64 v[24:27], v80 offset0:32 offset1:56
	s_wait_dscnt 0x3
	v_pk_fma_f16 v4, v4, v18, v19
	v_pk_fma_f16 v5, v5, v18, v16
	v_mul_u32_u24_e32 v16, 0x10001, v28
	ds_load_2addr_b64 v[0:3], v80 offset0:80 offset1:104
	s_wait_dscnt 0x0
	v_pk_fma_f16 v4, v6, v17, v4
	v_pk_fma_f16 v5, v7, v17, v5
	v_and_b32_e32 v6, 0xffff, v9
	v_mul_u32_u24_e32 v7, 0x10001, v8
	v_lshrrev_b32_e32 v8, 16, v9
	v_pk_fma_f16 v4, v20, v16, v4
	v_pk_fma_f16 v5, v21, v16, v5
	v_mul_u32_u24_e32 v6, 0x10001, v6
	s_barrier_signal -1
	s_barrier_wait -1
	v_pk_fma_f16 v4, v22, v7, v4
	v_pk_fma_f16 v5, v23, v7, v5
	v_and_b32_e32 v7, 0xffff, v10
	s_load_b32 s5, s[8:9], 0x4
	s_delay_alu instid0(VALU_DEP_3) | instskip(NEXT) | instid1(VALU_DEP_3)
	v_pk_fma_f16 v4, v12, v6, v4
	v_pk_fma_f16 v5, v13, v6, v5
	v_lshrrev_b32_e32 v6, 16, v10
	v_mul_u32_u24_e32 v8, 0x10001, v8
	v_mul_u32_u24_e32 v7, 0x10001, v7
	s_delay_alu instid0(VALU_DEP_3) | instskip(NEXT) | instid1(VALU_DEP_3)
	v_mul_u32_u24_e32 v6, 0x10001, v6
	v_pk_fma_f16 v4, v14, v8, v4
	v_pk_fma_f16 v5, v15, v8, v5
	v_and_b32_e32 v8, 0xffff, v11
	s_delay_alu instid0(VALU_DEP_3) | instskip(NEXT) | instid1(VALU_DEP_3)
	v_pk_fma_f16 v4, v24, v7, v4
	v_pk_fma_f16 v5, v25, v7, v5
	v_lshrrev_b32_e32 v7, 16, v11
	s_delay_alu instid0(VALU_DEP_4) | instskip(NEXT) | instid1(VALU_DEP_4)
	v_mul_u32_u24_e32 v8, 0x10001, v8
	v_pk_fma_f16 v4, v26, v6, v4
	s_delay_alu instid0(VALU_DEP_4) | instskip(NEXT) | instid1(VALU_DEP_4)
	v_pk_fma_f16 v5, v27, v6, v5
	v_mul_u32_u24_e32 v6, 0x10001, v7
	s_wait_kmcnt 0x0
	s_lshl_b32 s5, s5, 5
	v_pk_fma_f16 v0, v0, v8, v4
	v_pk_fma_f16 v1, v1, v8, v5
	s_add_co_i32 s14, s5, s14
	s_delay_alu instid0(SALU_CYCLE_1) | instskip(NEXT) | instid1(VALU_DEP_2)
	s_cmp_lt_i32 s14, s38
	v_pk_fma_f16 v63, v2, v6, v0
	s_delay_alu instid0(VALU_DEP_2)
	v_pk_fma_f16 v62, v3, v6, v1
	s_cbranch_scc0 .LBB65_24
; %bb.22:                               ;   in Loop: Header=BB65_10 Depth=1
	v_dual_mov_b32 v79, v68 :: v_dual_mov_b32 v78, v55
	s_branch .LBB65_10
.LBB65_23:
	v_dual_mov_b32 v62, 0 :: v_dual_mov_b32 v55, 0
	v_dual_mov_b32 v68, 0xfeffffff :: v_dual_mov_b32 v63, 0
.LBB65_24:
	s_cmp_gt_i32 s34, s14
	s_cbranch_scc1 .LBB65_27
; %bb.25:
	v_mbcnt_lo_u32_b32 v0, -1, 0
	v_mov_b32_e32 v52, 32
	s_delay_alu instid0(VALU_DEP_2)
	v_xor_b32_e32 v37, 16, v0
	v_xor_b32_e32 v48, 8, v0
	;; [unrolled: 1-line block ×5, first 2 shown]
	s_cbranch_execz .LBB65_28
; %bb.26:
	v_dual_mov_b32 v36, v68 :: v_dual_mov_b32 v59, v0
	s_branch .LBB65_42
.LBB65_27:
                                        ; implicit-def: $vgpr0
                                        ; implicit-def: $vgpr52
                                        ; implicit-def: $vgpr37
                                        ; implicit-def: $vgpr48
                                        ; implicit-def: $vgpr49
                                        ; implicit-def: $vgpr50
                                        ; implicit-def: $vgpr51
.LBB65_28:
	v_lshl_add_u32 v7, v61, 4, v70
	v_dual_lshlrev_b32 v12, 2, v56 :: v_dual_lshlrev_b32 v3, 20, v59
	s_ashr_i32 s15, s14, 31
	s_ashr_i32 s37, s36, 31
	s_delay_alu instid0(VALU_DEP_2) | instskip(NEXT) | instid1(VALU_DEP_2)
	v_mul_lo_u32 v0, s36, v7
	v_dual_mov_b32 v2, 0 :: v_dual_bitop2_b32 v1, 4, v12 bitop3:0x40
	s_mul_u64 s[4:5], s[14:15], s[36:37]
	v_mul_u32_u24_e32 v8, 0x70, v7
	s_lshl_b64 s[4:5], s[4:5], 2
	s_delay_alu instid0(VALU_DEP_2)
	v_lshlrev_b32_e32 v6, 2, v1
	s_sub_co_i32 s26, s34, s14
	s_add_nc_u64 s[8:9], s[24:25], s[4:5]
	v_add_nc_u64_e32 v[4:5], src_flat_scratch_base_lo, v[2:3]
	v_cmp_gt_u32_e64 s4, 32, v7
	v_ashrrev_i32_e32 v1, 31, v0
	v_add3_u32 v14, v8, v6, 64
	v_cmp_gt_i32_e64 s3, s26, v7
	s_delay_alu instid0(VALU_DEP_3)
	v_lshl_add_u64 v[8:9], v[0:1], 2, s[8:9]
	s_and_saveexec_b32 s5, s4
	s_cbranch_execz .LBB65_30
; %bb.29:
	v_mov_b32_e32 v0, 0
	s_delay_alu instid0(VALU_DEP_1) | instskip(NEXT) | instid1(VALU_DEP_1)
	v_mov_b32_e32 v7, v0
	v_add_nc_u64_e32 v[10:11], v[8:9], v[6:7]
	s_delay_alu instid0(VALU_DEP_1) | instskip(NEXT) | instid1(VALU_DEP_1)
	v_add_nc_u64_e32 v[10:11], 64, v[10:11]
	v_dual_cndmask_b32 v11, v5, v11, s3 :: v_dual_mov_b32 v1, v0
	v_mov_b32_e32 v2, v0
	s_delay_alu instid0(VALU_DEP_3)
	v_cndmask_b32_e64 v10, v4, v10, s3
	s_clause 0x1
	scratch_store_b32 off, v0, off
	scratch_store_b96 off, v[0:2], off offset:4
	flat_load_b128 v[16:19], v[10:11]
	s_wait_loadcnt_dscnt 0x0
	ds_store_b128 v14, v[16:19]
.LBB65_30:
	s_wait_xcnt 0x0
	s_or_b32 exec_lo, exec_lo, s5
	v_lshl_add_u32 v35, v61, 3, v69
	v_dual_mov_b32 v0, 0 :: v_dual_bitop2_b32 v13, 12, v12 bitop3:0x40
	s_delay_alu instid0(VALU_DEP_2) | instskip(SKIP_1) | instid1(VALU_DEP_3)
	v_mul_lo_u32 v10, s36, v35
	v_cmp_gt_i32_e32 vcc_lo, s26, v35
	v_dual_mov_b32 v39, v0 :: v_dual_mov_b32 v1, v0
	s_delay_alu instid0(VALU_DEP_4) | instskip(NEXT) | instid1(VALU_DEP_1)
	v_lshlrev_b32_e32 v38, 2, v13
	v_mad_u32_u24 v15, 0x70, v35, v38
	v_ashrrev_i32_e32 v11, 31, v10
	s_delay_alu instid0(VALU_DEP_1) | instskip(NEXT) | instid1(VALU_DEP_1)
	v_lshl_add_u64 v[10:11], v[10:11], 2, s[8:9]
	v_add_nc_u64_e32 v[10:11], v[10:11], v[38:39]
	s_delay_alu instid0(VALU_DEP_1) | instskip(NEXT) | instid1(VALU_DEP_2)
	v_dual_mov_b32 v2, v0 :: v_dual_cndmask_b32 v17, v5, v11
	v_cndmask_b32_e32 v16, v4, v10, vcc_lo
	s_clause 0x1
	scratch_store_b32 off, v0, off
	scratch_store_b96 off, v[0:2], off offset:4
	flat_load_b128 v[16:19], v[16:17]
	s_wait_loadcnt_dscnt 0x0
	ds_store_b128 v15, v[16:19]
	s_wait_storecnt_dscnt 0x0
	s_barrier_signal -1
	s_barrier_wait -1
	ds_load_b128 v[18:21], v67
	ds_load_b128 v[22:25], v66
	s_wait_xcnt 0x0
	v_mov_b32_e32 v16, v0
	s_wait_dscnt 0x0
	;;#ASMSTART
	v_dot2_f32_f16 v16, v18, v22, v16
	;;#ASMEND
	;;#ASMSTART
	v_dot2_f32_f16 v16, v19, v23, v16
	;;#ASMEND
	;;#ASMSTART
	v_dot2_f32_f16 v16, v20, v24, v16
	;;#ASMEND
	;;#ASMSTART
	v_dot2_f32_f16 v16, v21, v25, v16
	;;#ASMEND
	ds_load_b128 v[18:21], v67 offset:16
	ds_load_b128 v[22:25], v66 offset:16
	s_wait_dscnt 0x0
	;;#ASMSTART
	v_dot2_f32_f16 v16, v18, v22, v16
	;;#ASMEND
	;;#ASMSTART
	v_dot2_f32_f16 v16, v19, v23, v16
	;;#ASMEND
	;;#ASMSTART
	v_dot2_f32_f16 v16, v20, v24, v16
	;;#ASMEND
	;;#ASMSTART
	v_dot2_f32_f16 v16, v21, v25, v16
	;;#ASMEND
	ds_load_b128 v[18:21], v67 offset:32
	ds_load_b128 v[22:25], v66 offset:32
	s_wait_dscnt 0x0
	;;#ASMSTART
	v_dot2_f32_f16 v16, v18, v22, v16
	;;#ASMEND
	;;#ASMSTART
	v_dot2_f32_f16 v16, v19, v23, v16
	;;#ASMEND
	;;#ASMSTART
	v_dot2_f32_f16 v16, v20, v24, v16
	;;#ASMEND
	;;#ASMSTART
	v_dot2_f32_f16 v16, v21, v25, v16
	;;#ASMEND
	ds_load_b128 v[18:21], v67 offset:48
	ds_load_b128 v[22:25], v66 offset:48
	s_wait_dscnt 0x0
	;;#ASMSTART
	v_dot2_f32_f16 v16, v18, v22, v16
	;;#ASMEND
	;;#ASMSTART
	v_dot2_f32_f16 v16, v19, v23, v16
	;;#ASMEND
	;;#ASMSTART
	v_dot2_f32_f16 v16, v20, v24, v16
	;;#ASMEND
	;;#ASMSTART
	v_dot2_f32_f16 v16, v21, v25, v16
	;;#ASMEND
	ds_load_b128 v[18:21], v67 offset:64
	ds_load_b128 v[22:25], v66 offset:64
	s_wait_dscnt 0x0
	;;#ASMSTART
	v_dot2_f32_f16 v16, v18, v22, v16
	;;#ASMEND
	;;#ASMSTART
	v_dot2_f32_f16 v16, v19, v23, v16
	;;#ASMEND
	;;#ASMSTART
	v_dot2_f32_f16 v16, v20, v24, v16
	;;#ASMEND
	;;#ASMSTART
	v_dot2_f32_f16 v16, v21, v25, v16
	;;#ASMEND
	ds_load_b128 v[18:21], v67 offset:80
	ds_load_b128 v[22:25], v66 offset:80
	s_wait_dscnt 0x0
	;;#ASMSTART
	v_dot2_f32_f16 v16, v18, v22, v16
	;;#ASMEND
	;;#ASMSTART
	v_dot2_f32_f16 v16, v19, v23, v16
	;;#ASMEND
	;; [unrolled: 3-line block ×4, first 2 shown]
	s_barrier_signal -1
	s_barrier_wait -1
	s_and_saveexec_b32 s5, s4
	s_cbranch_execz .LBB65_32
; %bb.31:
	v_mov_b32_e32 v7, v0
	s_clause 0x1
	scratch_store_b32 off, v0, off
	scratch_store_b96 off, v[0:2], off offset:4
	v_add_nc_u64_e32 v[6:7], v[8:9], v[6:7]
	s_delay_alu instid0(VALU_DEP_1) | instskip(NEXT) | instid1(VALU_DEP_1)
	v_add_nc_u64_e32 v[6:7], 0xa0, v[6:7]
	v_dual_cndmask_b32 v7, v5, v7, s3 :: v_dual_cndmask_b32 v6, v4, v6, s3
	flat_load_b128 v[6:9], v[6:7]
	s_wait_loadcnt_dscnt 0x0
	ds_store_b128 v14, v[6:9]
.LBB65_32:
	s_wait_xcnt 0x0
	s_or_b32 exec_lo, exec_lo, s5
	v_add_nc_u64_e32 v[6:7], 0x60, v[10:11]
	s_clause 0x1
	scratch_store_b32 off, v0, off
	scratch_store_b96 off, v[0:2], off offset:4
	s_wait_xcnt 0x0
	v_mov_b32_e32 v0, v68
	s_mov_b32 s4, exec_lo
	v_dual_cndmask_b32 v5, v5, v7 :: v_dual_cndmask_b32 v4, v4, v6
	flat_load_b128 v[4:7], v[4:5]
	s_wait_loadcnt_dscnt 0x0
	ds_store_b128 v15, v[4:7]
	s_wait_storecnt_dscnt 0x0
	s_barrier_signal -1
	s_barrier_wait -1
	s_wait_xcnt 0x0
	ds_load_b128 v[4:7], v67
	ds_load_b128 v[8:11], v66 offset:96
	s_wait_dscnt 0x0
	;;#ASMSTART
	v_dot2_f32_f16 v16, v4, v8, v16
	;;#ASMEND
	;;#ASMSTART
	v_dot2_f32_f16 v16, v5, v9, v16
	;;#ASMEND
	;;#ASMSTART
	v_dot2_f32_f16 v16, v6, v10, v16
	;;#ASMEND
	;;#ASMSTART
	v_dot2_f32_f16 v16, v7, v11, v16
	;;#ASMEND
	ds_load_b128 v[4:7], v67 offset:16
	ds_load_b128 v[8:11], v66 offset:112
	s_wait_dscnt 0x0
	;;#ASMSTART
	v_dot2_f32_f16 v16, v4, v8, v16
	;;#ASMEND
	;;#ASMSTART
	v_dot2_f32_f16 v16, v5, v9, v16
	;;#ASMEND
	;;#ASMSTART
	v_dot2_f32_f16 v16, v6, v10, v16
	;;#ASMEND
	;;#ASMSTART
	v_dot2_f32_f16 v16, v7, v11, v16
	;;#ASMEND
	ds_load_b128 v[4:7], v67 offset:32
	;; [unrolled: 15-line block ×5, first 2 shown]
	ds_load_b128 v[8:11], v66 offset:176
	s_wait_dscnt 0x0
	;;#ASMSTART
	v_dot2_f32_f16 v16, v4, v8, v16
	;;#ASMEND
	;;#ASMSTART
	v_dot2_f32_f16 v16, v5, v9, v16
	;;#ASMEND
	;; [unrolled: 3-line block ×4, first 2 shown]
	v_cmpx_gt_i32_e64 s26, v56
	s_cbranch_execz .LBB65_37
; %bb.33:
	s_cmp_eq_u64 s[30:31], 0
	s_cbranch_scc1 .LBB65_35
; %bb.34:
	v_mul_hi_u32 v0, s20, v57
	s_delay_alu instid0(VALU_DEP_1) | instskip(NEXT) | instid1(VALU_DEP_1)
	v_add_nc_u32_e32 v0, v57, v0
	v_lshrrev_b32_e32 v0, s21, v0
	s_delay_alu instid0(VALU_DEP_1) | instskip(NEXT) | instid1(VALU_DEP_1)
	v_mul_lo_u32 v0, v0, s22
	v_sub_nc_u32_e32 v0, v57, v0
	s_delay_alu instid0(VALU_DEP_1) | instskip(NEXT) | instid1(VALU_DEP_1)
	v_mul_lo_u32 v0, v0, s35
	v_add3_u32 v0, v0, v56, s14
	global_load_u16 v0, v0, s[30:31] scale_offset
	s_wait_loadcnt 0x0
	v_cvt_f32_f16_e32 v0, v0
	s_delay_alu instid0(VALU_DEP_1)
	v_mul_f32_e32 v0, v64, v0
	s_branch .LBB65_36
.LBB65_35:
	v_mov_b32_e32 v0, 0
.LBB65_36:
	v_max_num_f32_e32 v1, v68, v68
	s_delay_alu instid0(VALU_DEP_2) | instskip(NEXT) | instid1(VALU_DEP_1)
	v_add_f32_e32 v16, v16, v0
	v_add_f32_e32 v0, 0x40051340, v16
	s_delay_alu instid0(VALU_DEP_1)
	v_max_num_f32_e32 v0, v1, v0
.LBB65_37:
	s_or_b32 exec_lo, exec_lo, s4
	v_xor_b32_e32 v37, 16, v59
	v_mul_lo_u32 v42, s10, v35
	v_mul_u32_u24_e32 v5, 0xc0, v35
	s_ashr_i32 s11, s10, 31
	s_delay_alu instid0(VALU_DEP_3)
	v_cmp_gt_i32_e64 s3, 32, v37
	s_mul_u64 s[4:5], s[14:15], s[10:11]
	s_barrier_signal -1
	s_lshl_b64 s[4:5], s[4:5], 2
	s_barrier_wait -1
	v_dual_cndmask_b32 v1, v59, v37, s3 :: v_dual_bitop2_b32 v48, 8, v59 bitop3:0x14
	s_add_nc_u64 s[4:5], s[6:7], s[4:5]
	s_delay_alu instid0(VALU_DEP_1) | instskip(NEXT) | instid1(VALU_DEP_2)
	v_dual_lshlrev_b32 v1, 2, v1 :: v_dual_bitop2_b32 v49, 4, v59 bitop3:0x14
	v_cmp_gt_i32_e64 s3, 32, v48
	v_xor_b32_e32 v50, 2, v59
	v_dual_mov_b32 v52, 32 :: v_dual_bitop2_b32 v51, 1, v59 bitop3:0x14
	ds_bpermute_b32 v1, v1, v0
	v_dual_max_num_f32 v0, v0, v0 :: v_dual_ashrrev_i32 v43, 31, v42
	s_wait_dscnt 0x0
	v_dual_max_num_f32 v1, v1, v1 :: v_dual_cndmask_b32 v2, v59, v48, s3
	v_cmp_gt_i32_e64 s3, 32, v49
	s_delay_alu instid0(VALU_DEP_2) | instskip(SKIP_4) | instid1(VALU_DEP_2)
	v_dual_max_num_f32 v0, v0, v1 :: v_dual_lshlrev_b32 v2, 2, v2
	ds_bpermute_b32 v1, v2, v0
	v_cndmask_b32_e64 v2, v59, v49, s3
	v_cmp_gt_i32_e64 s3, 32, v50
	s_wait_dscnt 0x0
	v_dual_max_num_f32 v1, v1, v1 :: v_dual_lshlrev_b32 v2, 2, v2
	s_delay_alu instid0(VALU_DEP_1) | instskip(SKIP_4) | instid1(VALU_DEP_2)
	v_max_num_f32_e32 v0, v0, v1
	ds_bpermute_b32 v1, v2, v0
	v_cndmask_b32_e64 v2, v59, v50, s3
	v_cmp_gt_i32_e64 s3, 32, v51
	s_wait_dscnt 0x0
	v_dual_max_num_f32 v1, v1, v1 :: v_dual_lshlrev_b32 v2, 2, v2
	s_delay_alu instid0(VALU_DEP_1) | instskip(SKIP_3) | instid1(VALU_DEP_1)
	v_max_num_f32_e32 v0, v0, v1
	ds_bpermute_b32 v1, v2, v0
	s_wait_dscnt 0x0
	v_dual_cndmask_b32 v2, v59, v51, s3 :: v_dual_max_num_f32 v1, v1, v1
	v_dual_lshlrev_b32 v2, 2, v2 :: v_dual_max_num_f32 v0, v0, v1
	ds_bpermute_b32 v1, v2, v0
	s_wait_dscnt 0x0
	v_max_num_f32_e32 v1, v1, v1
	s_delay_alu instid0(VALU_DEP_1) | instskip(NEXT) | instid1(VALU_DEP_1)
	v_max_num_f32_e32 v36, v0, v1
	v_sub_f32_e32 v0, v16, v36
	s_delay_alu instid0(VALU_DEP_1) | instskip(SKIP_1) | instid1(VALU_DEP_2)
	v_mul_f32_e32 v1, 0x3fb8aa3b, v0
	v_cmp_ngt_f32_e64 s3, 0xc2ce8ed0, v0
	v_fma_f32 v2, 0x3fb8aa3b, v0, -v1
	v_rndne_f32_e32 v4, v1
	s_delay_alu instid0(VALU_DEP_2) | instskip(NEXT) | instid1(VALU_DEP_2)
	v_fmac_f32_e32 v2, 0x32a5705f, v0
	v_sub_f32_e32 v1, v1, v4
	s_delay_alu instid0(VALU_DEP_1) | instskip(SKIP_2) | instid1(VALU_DEP_3)
	v_add_f32_e32 v1, v1, v2
	v_cvt_i32_f32_e32 v2, v4
	v_lshl_add_u32 v4, v56, 1, v60
	v_exp_f32_e32 v1, v1
	v_nop
	s_delay_alu instid0(TRANS32_DEP_1) | instskip(NEXT) | instid1(VALU_DEP_1)
	v_ldexp_f32 v1, v1, v2
	v_dual_mov_b32 v2, 0 :: v_dual_cndmask_b32 v1, 0, v1, s3
	v_cmp_nlt_f32_e64 s3, 0x42b17218, v0
	s_delay_alu instid0(VALU_DEP_2) | instskip(NEXT) | instid1(VALU_DEP_2)
	v_add_nc_u64_e32 v[40:41], src_flat_scratch_base_lo, v[2:3]
	v_cndmask_b32_e64 v0, 0x7f800000, v1, s3
	v_cmp_gt_u32_e64 s3, s26, v56
	v_lshl_or_b32 v1, v13, 2, v5
	s_delay_alu instid0(VALU_DEP_2) | instskip(SKIP_1) | instid1(VALU_DEP_3)
	v_cndmask_b32_e64 v53, 0, v0, s3
	v_cmp_gt_u32_e64 s3, 16, v35
	v_add_nc_u32_e32 v66, 0x80, v1
	s_delay_alu instid0(VALU_DEP_3)
	v_cvt_f16_f32_e32 v0, v53
	ds_store_b16 v4, v0
	s_and_saveexec_b32 s8, s3
	s_cbranch_execz .LBB65_39
; %bb.38:
	v_mov_b32_e32 v0, 0
	v_lshl_add_u64 v[2:3], v[42:43], 2, s[4:5]
	s_delay_alu instid0(VALU_DEP_2) | instskip(NEXT) | instid1(VALU_DEP_1)
	v_mov_b32_e32 v39, v0
	v_add_nc_u64_e32 v[2:3], v[2:3], v[38:39]
	s_delay_alu instid0(VALU_DEP_1) | instskip(NEXT) | instid1(VALU_DEP_1)
	v_add_nc_u64_e32 v[4:5], 0x80, v[2:3]
	v_dual_cndmask_b32 v5, v41, v5, vcc_lo :: v_dual_mov_b32 v1, v0
	v_mov_b32_e32 v2, v0
	s_delay_alu instid0(VALU_DEP_3)
	v_cndmask_b32_e32 v4, v40, v4, vcc_lo
	s_clause 0x1
	scratch_store_b32 off, v0, off
	scratch_store_b96 off, v[0:2], off offset:4
	flat_load_b128 v[0:3], v[4:5]
	s_wait_loadcnt_dscnt 0x0
	ds_store_b128 v66, v[0:3]
.LBB65_39:
	s_wait_xcnt 0x0
	s_or_b32 exec_lo, exec_lo, s8
	v_lshl_add_u32 v65, v61, 2, v65
	v_dual_mov_b32 v32, 0 :: v_dual_bitop2_b32 v0, 28, v12 bitop3:0x40
	v_sub_f32_e32 v4, v68, v36
	v_add_nc_u32_e32 v64, 0x400, v58
	s_delay_alu instid0(VALU_DEP_4) | instskip(NEXT) | instid1(VALU_DEP_4)
	v_mul_lo_u32 v44, s10, v65
	v_dual_mov_b32 v33, v32 :: v_dual_lshlrev_b32 v46, 2, v0
	v_cmp_gt_i32_e32 vcc_lo, s26, v65
	v_mul_f32_e32 v5, 0x3fb8aa3b, v4
	v_add_nc_u32_e32 v61, 0x800, v58
	s_delay_alu instid0(VALU_DEP_4) | instskip(SKIP_4) | instid1(VALU_DEP_2)
	v_mad_u32_u24 v67, 0xc0, v65, v46
	s_add_co_i32 s26, s26, -16
	v_mov_b32_e32 v47, v32
	v_rndne_f32_e32 v7, v5
	v_fma_f32 v6, 0x3fb8aa3b, v4, -v5
	v_dual_ashrrev_i32 v45, 31, v44 :: v_dual_sub_f32 v5, v5, v7
	s_delay_alu instid0(VALU_DEP_2) | instskip(NEXT) | instid1(VALU_DEP_2)
	v_fmac_f32_e32 v6, 0x32a5705f, v4
	v_lshl_add_u64 v[0:1], v[44:45], 2, s[4:5]
	s_or_b32 s4, s14, 16
	s_delay_alu instid0(SALU_CYCLE_1) | instskip(NEXT) | instid1(VALU_DEP_2)
	s_ashr_i32 s5, s4, 31
	v_add_f32_e32 v5, v5, v6
	s_delay_alu instid0(VALU_DEP_2)
	v_add_nc_u64_e32 v[0:1], v[0:1], v[46:47]
	v_mov_b32_e32 v34, v32
	v_cvt_i32_f32_e32 v6, v7
	s_mul_u64 s[4:5], s[4:5], s[10:11]
	v_exp_f32_e32 v5, v5
	s_lshl_b64 s[4:5], s[4:5], 2
	s_delay_alu instid0(VALU_DEP_3)
	v_dual_cndmask_b32 v1, v41, v1 :: v_dual_cndmask_b32 v0, v40, v0
	s_clause 0x1
	scratch_store_b32 off, v32, off
	scratch_store_b96 off, v[32:34], off offset:4
	v_cmp_ngt_f32_e32 vcc_lo, 0xc2ce8ed0, v4
	s_add_nc_u64 s[4:5], s[6:7], s[4:5]
	v_ldexp_f32 v5, v5, v6
	flat_load_b128 v[0:3], v[0:1]
	v_cndmask_b32_e32 v5, 0, v5, vcc_lo
	v_cmp_nlt_f32_e32 vcc_lo, 0x42b17218, v4
	s_wait_loadcnt_dscnt 0x0
	ds_store_b128 v67, v[0:3]
	s_wait_storecnt_dscnt 0x0
	s_barrier_signal -1
	s_barrier_wait -1
	ds_load_b128 v[72:75], v60
	ds_load_b128 v[76:79], v60 offset:16
	s_wait_dscnt 0x1
	v_dual_cndmask_b32 v54, 0x7f800000, v5 :: v_dual_lshrrev_b32 v39, 16, v72
	s_delay_alu instid0(VALU_DEP_1)
	v_cvt_f16_f32_e32 v4, v54
	v_dual_lshrrev_b32 v68, 16, v73 :: v_dual_lshrrev_b32 v69, 16, v74
	v_lshrrev_b32_e32 v71, 16, v75
	v_and_b32_e32 v72, 0xffff, v72
	s_wait_xcnt 0x0
	v_and_b32_e32 v0, 0xffff, v4
	v_and_b32_e32 v73, 0xffff, v73
	;; [unrolled: 1-line block ×4, first 2 shown]
	s_wait_dscnt 0x0
	v_dual_lshrrev_b32 v85, 16, v76 :: v_dual_lshrrev_b32 v86, 16, v77
	v_mul_u32_u24_e32 v70, 0x10001, v0
	ds_load_2addr_b64 v[28:31], v58 offset1:24
	ds_load_2addr_b64 v[24:27], v58 offset0:48 offset1:72
	ds_load_2addr_b64 v[20:23], v58 offset0:96 offset1:120
	ds_load_2addr_b64 v[16:19], v58 offset0:144 offset1:168
	ds_load_2addr_b64 v[12:15], v58 offset0:192 offset1:216
	ds_load_2addr_b64 v[8:11], v64 offset0:112 offset1:136
	ds_load_2addr_b64 v[4:7], v61 offset0:32 offset1:56
	ds_load_2addr_b64 v[0:3], v61 offset0:80 offset1:104
	v_dual_lshrrev_b32 v87, 16, v78 :: v_dual_lshrrev_b32 v88, 16, v79
	v_and_b32_e32 v76, 0xffff, v76
	v_and_b32_e32 v89, 0xffff, v77
	;; [unrolled: 1-line block ×4, first 2 shown]
	v_mul_u32_u24_e32 v84, 0x10001, v72
	v_mul_u32_u24_e32 v83, 0x10001, v39
	;; [unrolled: 1-line block ×16, first 2 shown]
	s_wait_dscnt 0x0
	s_barrier_signal -1
	s_barrier_wait -1
	s_and_saveexec_b32 s6, s3
	s_cbranch_execz .LBB65_41
; %bb.40:
	v_lshl_add_u64 v[42:43], v[42:43], 2, s[4:5]
	v_mov_b32_e32 v39, v32
	v_cmp_gt_i32_e32 vcc_lo, s26, v35
	s_clause 0x1
	scratch_store_b32 off, v32, off
	scratch_store_b96 off, v[32:34], off offset:4
	v_add_nc_u64_e32 v[38:39], v[42:43], v[38:39]
	s_delay_alu instid0(VALU_DEP_1) | instskip(NEXT) | instid1(VALU_DEP_1)
	v_add_nc_u64_e32 v[38:39], 0x80, v[38:39]
	v_dual_cndmask_b32 v39, v41, v39 :: v_dual_cndmask_b32 v38, v40, v38
	flat_load_b128 v[86:89], v[38:39]
	s_wait_loadcnt_dscnt 0x0
	ds_store_b128 v66, v[86:89]
.LBB65_41:
	s_wait_xcnt 0x0
	s_or_b32 exec_lo, exec_lo, s6
	v_lshl_add_u64 v[38:39], v[44:45], 2, s[4:5]
	v_cmp_gt_i32_e32 vcc_lo, s26, v65
	s_clause 0x1
	scratch_store_b32 off, v32, off
	scratch_store_b96 off, v[32:34], off offset:4
	v_pk_mul_f16 v28, v28, v84
	v_pk_mul_f16 v29, v29, v84
	v_add_nc_u64_e32 v[38:39], v[38:39], v[46:47]
	v_fmac_f32_e32 v53, v55, v54
	s_delay_alu instid0(VALU_DEP_4) | instskip(NEXT) | instid1(VALU_DEP_4)
	v_pk_fma_f16 v28, v63, v70, v28
	v_pk_fma_f16 v29, v62, v70, v29
	s_delay_alu instid0(VALU_DEP_3) | instskip(SKIP_1) | instid1(VALU_DEP_4)
	v_mov_b32_e32 v55, v53
	v_dual_cndmask_b32 v39, v41, v39 :: v_dual_cndmask_b32 v38, v40, v38
	v_pk_fma_f16 v28, v30, v83, v28
	s_delay_alu instid0(VALU_DEP_4) | instskip(SKIP_3) | instid1(VALU_DEP_2)
	v_pk_fma_f16 v29, v31, v83, v29
	flat_load_b128 v[32:35], v[38:39]
	v_pk_fma_f16 v24, v24, v82, v28
	v_pk_fma_f16 v25, v25, v82, v29
	v_pk_fma_f16 v24, v26, v81, v24
	s_delay_alu instid0(VALU_DEP_2) | instskip(NEXT) | instid1(VALU_DEP_2)
	v_pk_fma_f16 v25, v27, v81, v25
	v_pk_fma_f16 v20, v20, v80, v24
	s_delay_alu instid0(VALU_DEP_2) | instskip(NEXT) | instid1(VALU_DEP_2)
	v_pk_fma_f16 v21, v21, v80, v25
	v_pk_fma_f16 v20, v22, v79, v20
	;; [unrolled: 3-line block ×12, first 2 shown]
	s_delay_alu instid0(VALU_DEP_2)
	v_pk_fma_f16 v22, v3, v68, v1
	s_wait_loadcnt_dscnt 0x0
	ds_store_b128 v67, v[32:35]
	s_wait_storecnt_dscnt 0x0
	s_barrier_signal -1
	s_barrier_wait -1
	ds_load_b128 v[12:15], v60 offset:32
	ds_load_2addr_b64 v[8:11], v58 offset1:24
	ds_load_b128 v[4:7], v60 offset:48
	ds_load_2addr_b64 v[16:19], v58 offset0:48 offset1:72
	ds_load_2addr_b64 v[0:3], v58 offset0:96 offset1:120
	s_wait_dscnt 0x4
	v_and_b32_e32 v21, 0xffff, v12
	v_lshrrev_b32_e32 v12, 16, v12
	v_and_b32_e32 v23, 0xffff, v13
	v_lshrrev_b32_e32 v13, 16, v13
	s_delay_alu instid0(VALU_DEP_4) | instskip(NEXT) | instid1(VALU_DEP_4)
	v_mul_u32_u24_e32 v21, 0x10001, v21
	v_mul_u32_u24_e32 v12, 0x10001, v12
	s_delay_alu instid0(VALU_DEP_3) | instskip(SKIP_1) | instid1(VALU_DEP_3)
	v_mul_u32_u24_e32 v13, 0x10001, v13
	s_wait_dscnt 0x3
	v_pk_fma_f16 v8, v8, v21, v20
	v_pk_fma_f16 v9, v9, v21, v22
	v_mul_u32_u24_e32 v20, 0x10001, v23
	v_and_b32_e32 v22, 0xffff, v14
	v_lshrrev_b32_e32 v14, 16, v14
	v_pk_fma_f16 v21, v10, v12, v8
	v_pk_fma_f16 v12, v11, v12, v9
	ds_load_2addr_b64 v[8:11], v58 offset0:144 offset1:168
	s_wait_dscnt 0x2
	v_pk_fma_f16 v16, v16, v20, v21
	v_pk_fma_f16 v12, v17, v20, v12
	v_mul_u32_u24_e32 v20, 0x10001, v22
	s_delay_alu instid0(VALU_DEP_3) | instskip(NEXT) | instid1(VALU_DEP_3)
	v_pk_fma_f16 v21, v18, v13, v16
	v_pk_fma_f16 v12, v19, v13, v12
	ds_load_2addr_b64 v[16:19], v58 offset0:192 offset1:216
	v_and_b32_e32 v13, 0xffff, v15
	s_wait_dscnt 0x2
	v_pk_fma_f16 v0, v0, v20, v21
	v_pk_fma_f16 v1, v1, v20, v12
	v_lshrrev_b32_e32 v12, 16, v15
	v_mul_u32_u24_e32 v14, 0x10001, v14
	v_mul_u32_u24_e32 v13, 0x10001, v13
	v_and_b32_e32 v20, 0xffff, v4
	v_lshrrev_b32_e32 v4, 16, v4
	v_mul_u32_u24_e32 v12, 0x10001, v12
	v_pk_fma_f16 v15, v2, v14, v0
	v_pk_fma_f16 v14, v3, v14, v1
	ds_load_2addr_b64 v[0:3], v64 offset0:112 offset1:136
	s_wait_dscnt 0x2
	v_pk_fma_f16 v8, v8, v13, v15
	v_pk_fma_f16 v9, v9, v13, v14
	v_mul_u32_u24_e32 v13, 0x10001, v20
	v_and_b32_e32 v15, 0xffff, v5
	v_lshrrev_b32_e32 v5, 16, v5
	v_pk_fma_f16 v14, v10, v12, v8
	v_pk_fma_f16 v12, v11, v12, v9
	ds_load_2addr_b64 v[8:11], v61 offset0:32 offset1:56
	v_mul_u32_u24_e32 v4, 0x10001, v4
	v_mul_u32_u24_e32 v5, 0x10001, v5
	s_wait_dscnt 0x2
	v_pk_fma_f16 v14, v16, v13, v14
	v_pk_fma_f16 v12, v17, v13, v12
	v_mul_u32_u24_e32 v16, 0x10001, v15
	s_delay_alu instid0(VALU_DEP_3) | instskip(NEXT) | instid1(VALU_DEP_3)
	v_pk_fma_f16 v17, v18, v4, v14
	v_pk_fma_f16 v4, v19, v4, v12
	ds_load_2addr_b64 v[12:15], v61 offset0:80 offset1:104
	v_and_b32_e32 v18, 0xffff, v6
	s_wait_dscnt 0x0
	v_pk_fma_f16 v0, v0, v16, v17
	v_pk_fma_f16 v1, v1, v16, v4
	v_lshrrev_b32_e32 v4, 16, v6
	v_mul_u32_u24_e32 v6, 0x10001, v18
	s_barrier_signal -1
	v_pk_fma_f16 v0, v2, v5, v0
	v_pk_fma_f16 v1, v3, v5, v1
	v_and_b32_e32 v2, 0xffff, v7
	v_mul_u32_u24_e32 v3, 0x10001, v4
	v_lshrrev_b32_e32 v4, 16, v7
	v_pk_fma_f16 v0, v8, v6, v0
	v_pk_fma_f16 v1, v9, v6, v1
	v_mul_u32_u24_e32 v2, 0x10001, v2
	s_barrier_wait -1
	s_delay_alu instid0(VALU_DEP_3) | instskip(NEXT) | instid1(VALU_DEP_3)
	v_pk_fma_f16 v0, v10, v3, v0
	v_pk_fma_f16 v1, v11, v3, v1
	v_mul_u32_u24_e32 v3, 0x10001, v4
	s_delay_alu instid0(VALU_DEP_3) | instskip(NEXT) | instid1(VALU_DEP_3)
	v_pk_fma_f16 v0, v12, v2, v0
	v_pk_fma_f16 v1, v13, v2, v1
	s_delay_alu instid0(VALU_DEP_2) | instskip(NEXT) | instid1(VALU_DEP_2)
	v_pk_fma_f16 v63, v14, v3, v0
	v_pk_fma_f16 v62, v15, v3, v1
.LBB65_42:
	v_cmp_lt_i32_e32 vcc_lo, v37, v52
	s_cmp_eq_u64 s[12:13], 0
	s_cselect_b32 s3, -1, 0
	s_cmp_lg_u32 s29, 0
	v_cndmask_b32_e32 v0, v59, v37, vcc_lo
	v_cmp_lt_i32_e32 vcc_lo, v48, v52
	s_cselect_b32 s4, -1, 0
	s_delay_alu instid0(SALU_CYCLE_1) | instskip(SKIP_3) | instid1(VALU_DEP_3)
	s_or_b32 s3, s4, s3
	v_cndmask_b32_e32 v1, v59, v48, vcc_lo
	v_lshlrev_b32_e32 v0, 2, v0
	v_cmp_lt_i32_e32 vcc_lo, v49, v52
	v_lshlrev_b32_e32 v1, 2, v1
	ds_bpermute_b32 v0, v0, v55
	v_cndmask_b32_e32 v2, v59, v49, vcc_lo
	v_cmp_lt_i32_e32 vcc_lo, v50, v52
	s_wait_dscnt 0x0
	s_delay_alu instid0(VALU_DEP_2)
	v_dual_lshlrev_b32 v2, 2, v2 :: v_dual_add_f32 v0, v55, v0
	ds_bpermute_b32 v1, v1, v0
	s_wait_dscnt 0x0
	v_add_f32_e32 v0, v0, v1
	ds_bpermute_b32 v1, v2, v0
	v_cndmask_b32_e32 v2, v59, v50, vcc_lo
	v_cmp_lt_i32_e32 vcc_lo, v51, v52
	s_wait_dscnt 0x0
	s_delay_alu instid0(VALU_DEP_2) | instskip(SKIP_4) | instid1(VALU_DEP_1)
	v_dual_lshlrev_b32 v2, 2, v2 :: v_dual_add_f32 v0, v0, v1
	ds_bpermute_b32 v1, v2, v0
	v_cndmask_b32_e32 v2, v59, v51, vcc_lo
	s_and_b32 vcc_lo, exec_lo, s3
	s_wait_dscnt 0x0
	v_dual_add_f32 v0, v0, v1 :: v_dual_lshlrev_b32 v2, 2, v2
	ds_bpermute_b32 v1, v2, v0
	s_wait_dscnt 0x0
	v_add_f32_e32 v37, v0, v1
	s_cbranch_vccnz .LBB65_45
; %bb.43:
	v_mov_b32_e32 v0, s33
	global_load_b32 v1, v0, s[12:13] scale_offset
	s_wait_loadcnt 0x0
	v_dual_max_num_f32 v0, v36, v36 :: v_dual_max_num_f32 v2, v1, v1
	s_delay_alu instid0(VALU_DEP_1) | instskip(NEXT) | instid1(VALU_DEP_1)
	v_max_num_f32_e32 v0, v0, v2
	v_sub_f32_e32 v2, v36, v0
	s_delay_alu instid0(VALU_DEP_1) | instskip(NEXT) | instid1(VALU_DEP_1)
	v_mul_f32_e32 v3, 0x3fb8aa3b, v2
	v_fma_f32 v4, 0x3fb8aa3b, v2, -v3
	v_rndne_f32_e32 v5, v3
	s_delay_alu instid0(VALU_DEP_1) | instskip(NEXT) | instid1(VALU_DEP_3)
	v_dual_sub_f32 v3, v3, v5 :: v_dual_sub_f32 v1, v1, v0
	v_fmac_f32_e32 v4, 0x32a5705f, v2
	v_cvt_i32_f32_e32 v5, v5
	v_cmp_ngt_f32_e32 vcc_lo, 0xc2ce8ed0, v2
	s_delay_alu instid0(VALU_DEP_3) | instskip(NEXT) | instid1(VALU_DEP_1)
	v_dual_mul_f32 v6, 0x3fb8aa3b, v1 :: v_dual_add_f32 v3, v3, v4
	v_fma_f32 v7, 0x3fb8aa3b, v1, -v6
	s_delay_alu instid0(VALU_DEP_2) | instskip(SKIP_1) | instid1(VALU_DEP_2)
	v_exp_f32_e32 v3, v3
	v_rndne_f32_e32 v8, v6
	v_fmac_f32_e32 v7, 0x32a5705f, v1
	s_delay_alu instid0(TRANS32_DEP_1) | instskip(NEXT) | instid1(VALU_DEP_3)
	v_ldexp_f32 v3, v3, v5
	v_sub_f32_e32 v4, v6, v8
	v_cvt_i32_f32_e32 v5, v8
	s_delay_alu instid0(VALU_DEP_3) | instskip(SKIP_1) | instid1(VALU_DEP_2)
	v_cndmask_b32_e32 v3, 0, v3, vcc_lo
	v_cmp_nlt_f32_e32 vcc_lo, 0x42b17218, v2
	v_cndmask_b32_e32 v2, 0x7f800000, v3, vcc_lo
	v_add_f32_e32 v4, v4, v7
	v_cmp_ngt_f32_e32 vcc_lo, 0xc2ce8ed0, v1
	s_delay_alu instid0(VALU_DEP_2) | instskip(SKIP_1) | instid1(TRANS32_DEP_1)
	v_exp_f32_e32 v4, v4
	v_nop
	v_ldexp_f32 v3, v4, v5
	v_cvt_f16_f32_e32 v4, v2
	s_delay_alu instid0(VALU_DEP_2) | instskip(SKIP_1) | instid1(VALU_DEP_3)
	v_cndmask_b32_e32 v3, 0, v3, vcc_lo
	v_cmp_nlt_f32_e32 vcc_lo, 0x42b17218, v1
	v_and_b32_e32 v4, 0xffff, v4
	s_delay_alu instid0(VALU_DEP_3) | instskip(NEXT) | instid1(VALU_DEP_2)
	v_cndmask_b32_e32 v1, 0x7f800000, v3, vcc_lo
	v_mul_u32_u24_e32 v3, 0x10001, v4
	s_delay_alu instid0(VALU_DEP_2) | instskip(NEXT) | instid1(VALU_DEP_2)
	v_fmac_f32_e32 v1, v37, v2
	v_pk_mul_f16 v63, v63, v3
	v_pk_mul_f16 v62, v62, v3
	s_delay_alu instid0(VALU_DEP_3)
	v_mov_b64_e32 v[36:37], v[0:1]
	s_mov_b32 s3, exec_lo
	v_cmpx_gt_i32_e64 s22, v57
	s_cbranch_execnz .LBB65_46
.LBB65_44:
	s_sendmsg sendmsg(MSG_DEALLOC_VGPRS)
	s_endpgm
.LBB65_45:
	s_delay_alu instid0(VALU_DEP_1)
	v_mov_b32_e32 v1, v37
	s_mov_b32 s3, exec_lo
	s_wait_xcnt 0x0
	v_cmpx_gt_i32_e64 s22, v57
	s_cbranch_execz .LBB65_44
.LBB65_46:
	v_mad_u32 v0, s28, s22, v57
	s_load_b32 s0, s[0:1], 0xd4
	s_delay_alu instid0(VALU_DEP_1) | instskip(SKIP_2) | instid1(VALU_DEP_1)
	v_mad_u32 v0, v0, s23, s33
	s_wait_kmcnt 0x0
	s_cmp_lg_u32 s0, 1
	v_mad_u32 v0, s0, v0, s29
	s_cselect_b32 s0, -1, 0
	s_and_saveexec_b32 s1, s2
	s_cbranch_execz .LBB65_48
; %bb.47:
	v_div_scale_f32 v2, null, v1, v1, 1.0
	v_div_scale_f32 v5, vcc_lo, 1.0, v1, 1.0
	v_lshrrev_b32_e32 v7, 16, v62
	s_delay_alu instid0(VALU_DEP_3) | instskip(NEXT) | instid1(VALU_DEP_1)
	v_rcp_f32_e32 v3, v2
	v_cvt_f32_f16_e32 v7, v7
	s_delay_alu instid0(TRANS32_DEP_1) | instskip(NEXT) | instid1(VALU_DEP_1)
	v_fma_f32 v4, -v2, v3, 1.0
	v_fmac_f32_e32 v3, v4, v3
	s_delay_alu instid0(VALU_DEP_1) | instskip(NEXT) | instid1(VALU_DEP_1)
	v_mul_f32_e32 v4, v5, v3
	v_fma_f32 v6, -v2, v4, v5
	s_delay_alu instid0(VALU_DEP_1) | instskip(SKIP_1) | instid1(VALU_DEP_2)
	v_fmac_f32_e32 v4, v6, v3
	v_cvt_f32_f16_e32 v6, v62
	v_fma_f32 v2, -v2, v4, v5
	v_lshlrev_b32_e32 v5, 2, v56
	s_delay_alu instid0(VALU_DEP_2) | instskip(NEXT) | instid1(VALU_DEP_2)
	v_div_fmas_f32 v4, v2, v3, v4
	v_mad_u32 v2, 0x60, v0, v5
	v_dual_lshrrev_b32 v5, 16, v63 :: v_dual_mov_b32 v3, 0
	s_delay_alu instid0(VALU_DEP_3) | instskip(SKIP_1) | instid1(VALU_DEP_3)
	v_div_fixup_f32 v1, v4, v1, 1.0
	v_cvt_f32_f16_e32 v4, v63
	v_cvt_f32_f16_e32 v5, v5
	s_delay_alu instid0(VALU_DEP_3) | instskip(SKIP_1) | instid1(VALU_DEP_2)
	v_cndmask_b32_e64 v8, v1, 1.0, s0
	v_lshl_add_u64 v[10:11], v[2:3], 2, s[16:17]
	v_pk_mul_f32 v[2:3], v[8:9], v[4:5] op_sel_hi:[0,1]
	v_pk_mul_f32 v[4:5], v[8:9], v[6:7] op_sel_hi:[0,1]
	global_store_b128 v[10:11], v[2:5], off
.LBB65_48:
	s_wait_xcnt 0x0
	s_or_b32 exec_lo, exec_lo, s1
	v_cmp_eq_u32_e32 vcc_lo, 0, v56
	s_and_b32 s0, vcc_lo, s0
	s_delay_alu instid0(SALU_CYCLE_1)
	s_and_b32 exec_lo, exec_lo, s0
	s_cbranch_execz .LBB65_44
; %bb.49:
	global_store_b64 v0, v[36:37], s[18:19] scale_offset
	s_sendmsg sendmsg(MSG_DEALLOC_VGPRS)
	s_endpgm
	.section	.rodata,"a",@progbits
	.p2align	6, 0x0
	.amdhsa_kernel _ZL15flash_attn_tileILi96ELi96ELi4ELi1ELb0EEvPKcS1_S1_S1_S1_PKiPfP15HIP_vector_typeIfLj2EEffffjfiS5_IjLj3EEiiiiiiiiiiiliiliiiiil
		.amdhsa_group_segment_fixed_size 4736
		.amdhsa_private_segment_fixed_size 32
		.amdhsa_kernarg_size 464
		.amdhsa_user_sgpr_count 2
		.amdhsa_user_sgpr_dispatch_ptr 0
		.amdhsa_user_sgpr_queue_ptr 0
		.amdhsa_user_sgpr_kernarg_segment_ptr 1
		.amdhsa_user_sgpr_dispatch_id 0
		.amdhsa_user_sgpr_kernarg_preload_length 0
		.amdhsa_user_sgpr_kernarg_preload_offset 0
		.amdhsa_user_sgpr_private_segment_size 0
		.amdhsa_wavefront_size32 1
		.amdhsa_uses_dynamic_stack 0
		.amdhsa_enable_private_segment 1
		.amdhsa_system_sgpr_workgroup_id_x 1
		.amdhsa_system_sgpr_workgroup_id_y 1
		.amdhsa_system_sgpr_workgroup_id_z 1
		.amdhsa_system_sgpr_workgroup_info 0
		.amdhsa_system_vgpr_workitem_id 1
		.amdhsa_next_free_vgpr 92
		.amdhsa_next_free_sgpr 46
		.amdhsa_named_barrier_count 0
		.amdhsa_reserve_vcc 1
		.amdhsa_float_round_mode_32 0
		.amdhsa_float_round_mode_16_64 0
		.amdhsa_float_denorm_mode_32 3
		.amdhsa_float_denorm_mode_16_64 3
		.amdhsa_fp16_overflow 0
		.amdhsa_memory_ordered 1
		.amdhsa_forward_progress 1
		.amdhsa_inst_pref_size 80
		.amdhsa_round_robin_scheduling 0
		.amdhsa_exception_fp_ieee_invalid_op 0
		.amdhsa_exception_fp_denorm_src 0
		.amdhsa_exception_fp_ieee_div_zero 0
		.amdhsa_exception_fp_ieee_overflow 0
		.amdhsa_exception_fp_ieee_underflow 0
		.amdhsa_exception_fp_ieee_inexact 0
		.amdhsa_exception_int_div_zero 0
	.end_amdhsa_kernel
	.section	.text._ZL15flash_attn_tileILi96ELi96ELi4ELi1ELb0EEvPKcS1_S1_S1_S1_PKiPfP15HIP_vector_typeIfLj2EEffffjfiS5_IjLj3EEiiiiiiiiiiiliiliiiiil,"axG",@progbits,_ZL15flash_attn_tileILi96ELi96ELi4ELi1ELb0EEvPKcS1_S1_S1_S1_PKiPfP15HIP_vector_typeIfLj2EEffffjfiS5_IjLj3EEiiiiiiiiiiiliiliiiiil,comdat
.Lfunc_end65:
	.size	_ZL15flash_attn_tileILi96ELi96ELi4ELi1ELb0EEvPKcS1_S1_S1_S1_PKiPfP15HIP_vector_typeIfLj2EEffffjfiS5_IjLj3EEiiiiiiiiiiiliiliiiiil, .Lfunc_end65-_ZL15flash_attn_tileILi96ELi96ELi4ELi1ELb0EEvPKcS1_S1_S1_S1_PKiPfP15HIP_vector_typeIfLj2EEffffjfiS5_IjLj3EEiiiiiiiiiiiliiliiiiil
                                        ; -- End function
	.set _ZL15flash_attn_tileILi96ELi96ELi4ELi1ELb0EEvPKcS1_S1_S1_S1_PKiPfP15HIP_vector_typeIfLj2EEffffjfiS5_IjLj3EEiiiiiiiiiiiliiliiiiil.num_vgpr, 92
	.set _ZL15flash_attn_tileILi96ELi96ELi4ELi1ELb0EEvPKcS1_S1_S1_S1_PKiPfP15HIP_vector_typeIfLj2EEffffjfiS5_IjLj3EEiiiiiiiiiiiliiliiiiil.num_agpr, 0
	.set _ZL15flash_attn_tileILi96ELi96ELi4ELi1ELb0EEvPKcS1_S1_S1_S1_PKiPfP15HIP_vector_typeIfLj2EEffffjfiS5_IjLj3EEiiiiiiiiiiiliiliiiiil.numbered_sgpr, 46
	.set _ZL15flash_attn_tileILi96ELi96ELi4ELi1ELb0EEvPKcS1_S1_S1_S1_PKiPfP15HIP_vector_typeIfLj2EEffffjfiS5_IjLj3EEiiiiiiiiiiiliiliiiiil.num_named_barrier, 0
	.set _ZL15flash_attn_tileILi96ELi96ELi4ELi1ELb0EEvPKcS1_S1_S1_S1_PKiPfP15HIP_vector_typeIfLj2EEffffjfiS5_IjLj3EEiiiiiiiiiiiliiliiiiil.private_seg_size, 32
	.set _ZL15flash_attn_tileILi96ELi96ELi4ELi1ELb0EEvPKcS1_S1_S1_S1_PKiPfP15HIP_vector_typeIfLj2EEffffjfiS5_IjLj3EEiiiiiiiiiiiliiliiiiil.uses_vcc, 1
	.set _ZL15flash_attn_tileILi96ELi96ELi4ELi1ELb0EEvPKcS1_S1_S1_S1_PKiPfP15HIP_vector_typeIfLj2EEffffjfiS5_IjLj3EEiiiiiiiiiiiliiliiiiil.uses_flat_scratch, 1
	.set _ZL15flash_attn_tileILi96ELi96ELi4ELi1ELb0EEvPKcS1_S1_S1_S1_PKiPfP15HIP_vector_typeIfLj2EEffffjfiS5_IjLj3EEiiiiiiiiiiiliiliiiiil.has_dyn_sized_stack, 0
	.set _ZL15flash_attn_tileILi96ELi96ELi4ELi1ELb0EEvPKcS1_S1_S1_S1_PKiPfP15HIP_vector_typeIfLj2EEffffjfiS5_IjLj3EEiiiiiiiiiiiliiliiiiil.has_recursion, 0
	.set _ZL15flash_attn_tileILi96ELi96ELi4ELi1ELb0EEvPKcS1_S1_S1_S1_PKiPfP15HIP_vector_typeIfLj2EEffffjfiS5_IjLj3EEiiiiiiiiiiiliiliiiiil.has_indirect_call, 0
	.section	.AMDGPU.csdata,"",@progbits
; Kernel info:
; codeLenInByte = 10140
; TotalNumSgprs: 48
; NumVgprs: 92
; ScratchSize: 32
; MemoryBound: 0
; FloatMode: 240
; IeeeMode: 1
; LDSByteSize: 4736 bytes/workgroup (compile time only)
; SGPRBlocks: 0
; VGPRBlocks: 5
; NumSGPRsForWavesPerEU: 48
; NumVGPRsForWavesPerEU: 92
; NamedBarCnt: 0
; Occupancy: 10
; WaveLimiterHint : 1
; COMPUTE_PGM_RSRC2:SCRATCH_EN: 1
; COMPUTE_PGM_RSRC2:USER_SGPR: 2
; COMPUTE_PGM_RSRC2:TRAP_HANDLER: 0
; COMPUTE_PGM_RSRC2:TGID_X_EN: 1
; COMPUTE_PGM_RSRC2:TGID_Y_EN: 1
; COMPUTE_PGM_RSRC2:TGID_Z_EN: 1
; COMPUTE_PGM_RSRC2:TIDIG_COMP_CNT: 1
	.section	.text._ZL33flash_attn_stream_k_fixup_uniformILi96ELi4ELi1EEvPfPK15HIP_vector_typeIfLj2EEiiiiiiS1_IjLj3EES5_S5_,"axG",@progbits,_ZL33flash_attn_stream_k_fixup_uniformILi96ELi4ELi1EEvPfPK15HIP_vector_typeIfLj2EEiiiiiiS1_IjLj3EES5_S5_,comdat
	.globl	_ZL33flash_attn_stream_k_fixup_uniformILi96ELi4ELi1EEvPfPK15HIP_vector_typeIfLj2EEiiiiiiS1_IjLj3EES5_S5_ ; -- Begin function _ZL33flash_attn_stream_k_fixup_uniformILi96ELi4ELi1EEvPfPK15HIP_vector_typeIfLj2EEiiiiiiS1_IjLj3EES5_S5_
	.p2align	8
	.type	_ZL33flash_attn_stream_k_fixup_uniformILi96ELi4ELi1EEvPfPK15HIP_vector_typeIfLj2EEiiiiiiS1_IjLj3EES5_S5_,@function
_ZL33flash_attn_stream_k_fixup_uniformILi96ELi4ELi1EEvPfPK15HIP_vector_typeIfLj2EEiiiiiiS1_IjLj3EES5_S5_: ; @_ZL33flash_attn_stream_k_fixup_uniformILi96ELi4ELi1EEvPfPK15HIP_vector_typeIfLj2EEiiiiiiS1_IjLj3EES5_S5_
; %bb.0:
	s_load_b256 s[4:11], s[0:1], 0x1c
	s_bfe_u32 s2, ttmp6, 0x40014
	s_lshr_b32 s3, ttmp7, 16
	s_add_co_i32 s2, s2, 1
	s_bfe_u32 s13, ttmp6, 0x40010
	s_mul_i32 s2, s3, s2
	s_bfe_u32 s12, ttmp6, 0x40008
	s_and_b32 s14, ttmp7, 0xffff
	s_add_co_i32 s13, s13, 1
	s_bfe_u32 s15, ttmp6, 0x4000c
	s_add_co_i32 s2, s12, s2
	s_mul_i32 s12, s14, s13
	s_bfe_u32 s13, ttmp6, 0x40004
	s_add_co_i32 s15, s15, 1
	s_add_co_i32 s13, s13, s12
	s_and_b32 s12, ttmp6, 15
	s_mul_i32 s15, ttmp9, s15
	s_getreg_b32 s20, hwreg(HW_REG_IB_STS2, 6, 4)
	s_add_co_i32 s12, s12, s15
	s_load_b128 s[16:19], s[0:1], 0x3c
	s_cmp_eq_u32 s20, 0
	s_cselect_b32 s12, ttmp9, s12
	s_cselect_b32 s13, s14, s13
	s_wait_kmcnt 0x0
	s_mul_hi_u32 s7, s7, s12
	s_cselect_b32 s14, s3, s2
	s_add_co_i32 s2, s12, s7
	s_delay_alu instid0(SALU_CYCLE_1) | instskip(NEXT) | instid1(SALU_CYCLE_1)
	s_lshr_b32 s7, s2, s8
	s_mul_i32 s2, s7, s9
	s_delay_alu instid0(SALU_CYCLE_1) | instskip(NEXT) | instid1(SALU_CYCLE_1)
	s_sub_co_i32 s8, s12, s2
	s_mul_hi_u32 s2, s8, s10
	s_delay_alu instid0(SALU_CYCLE_1) | instskip(SKIP_2) | instid1(SALU_CYCLE_1)
	s_add_co_i32 s9, s8, s2
	s_load_b64 s[2:3], s[0:1], 0x10
	s_lshr_b32 s15, s9, s11
	s_mul_i32 s9, s15, s16
	s_delay_alu instid0(SALU_CYCLE_1) | instskip(NEXT) | instid1(SALU_CYCLE_1)
	s_sub_co_i32 s8, s8, s9
	s_mul_hi_u32 s9, s8, s17
	s_delay_alu instid0(SALU_CYCLE_1) | instskip(NEXT) | instid1(SALU_CYCLE_1)
	s_add_co_i32 s9, s8, s9
	s_lshr_b32 s17, s9, s18
	s_delay_alu instid0(SALU_CYCLE_1) | instskip(NEXT) | instid1(SALU_CYCLE_1)
	s_mul_i32 s9, s17, s19
	s_sub_co_i32 s16, s8, s9
	s_delay_alu instid0(SALU_CYCLE_1) | instskip(NEXT) | instid1(SALU_CYCLE_1)
	s_lshl_b32 s8, s16, 2
	s_add_co_i32 s8, s8, s13
	s_wait_kmcnt 0x0
	s_cmp_lt_i32 s8, s2
	s_cselect_b32 s8, -1, 0
	s_add_co_i32 s17, s17, s14
	s_delay_alu instid0(SALU_CYCLE_1) | instskip(SKIP_1) | instid1(SALU_CYCLE_1)
	s_cmp_lt_i32 s17, s5
	s_cselect_b32 s9, -1, 0
	s_and_b32 s8, s8, s9
	s_delay_alu instid0(SALU_CYCLE_1)
	s_and_not1_b32 vcc_lo, exec_lo, s8
	s_cbranch_vccnz .LBB66_6
; %bb.1:
	s_load_b128 s[8:11], s[0:1], 0x0
	s_wait_xcnt 0x0
	s_mul_i32 s0, s7, s2
	s_mul_i32 s15, s15, s5
	s_add_co_i32 s0, s0, s13
	s_add_co_i32 s1, s17, s15
	s_mul_i32 s0, s0, s3
	s_mul_i32 s2, s3, s16
	s_add_co_i32 s0, s1, s0
	s_mulk_i32 s2, 0x180
	s_mulk_i32 s0, 0x60
	s_mul_i32 s7, s6, s12
	v_add3_u32 v4, s0, s2, v0
	s_add_co_i32 s5, s7, s6
	s_add_co_i32 s13, s13, s14
	s_lshl_b32 s0, s5, 2
	s_add_co_i32 s2, s5, -2
	s_add_co_i32 s0, s13, s0
	v_ashrrev_i32_e32 v5, 31, v4
	s_add_co_i32 s0, s0, -4
	s_delay_alu instid0(SALU_CYCLE_1)
	s_ashr_i32 s1, s0, 31
	s_wait_kmcnt 0x0
	global_load_b32 v3, v4, s[8:9] scale_offset
	s_lshl_b64 s[0:1], s[0:1], 3
	s_cmp_lt_i32 s2, s7
	s_add_nc_u64 s[0:1], s[10:11], s[0:1]
	s_load_b32 s14, s[0:1], 0x4
	s_cbranch_scc1 .LBB66_4
; %bb.2:
	s_wait_xcnt 0x0
	s_load_b32 s0, s[0:1], 0x0
	s_add_co_i32 s12, s12, 1
	s_lshl_b32 s2, s4, 4
	s_wait_xcnt 0x0
	s_mul_i32 s1, s6, s12
	s_mul_i32 s6, s13, 0x60
	s_lshl_b32 s12, s1, 2
	s_mulk_i32 s1, 0x180
	s_ashr_i32 s3, s2, 31
	s_add_co_i32 s6, s6, s1
	s_add_co_i32 s12, s13, s12
	s_lshl_b32 s1, s4, 2
	v_add3_u32 v0, s6, v0, 0xfffffd00
	s_wait_kmcnt 0x0
	v_mov_b32_e32 v2, s14
	s_lshl_b64 s[2:3], s[2:3], 2
	s_add_co_i32 s4, s12, s1
	s_add_nc_u64 s[2:3], s[10:11], s[2:3]
	s_add_co_i32 s1, s5, -1
	s_add_co_i32 s4, s4, -8
.LBB66_3:                               ; =>This Inner Loop Header: Depth=1
	global_load_b32 v7, v0, s[2:3] scale_offset
	s_ashr_i32 s5, s4, 31
	v_max_num_f32_e64 v1, s0, s0
	s_lshl_b64 s[12:13], s[4:5], 3
	s_delay_alu instid0(SALU_CYCLE_1) | instskip(SKIP_1) | instid1(VALU_DEP_1)
	s_add_nc_u64 s[12:13], s[10:11], s[12:13]
	s_load_b64 s[12:13], s[12:13], 0x0
	v_readfirstlane_b32 s5, v1
	v_add_nc_u32_e32 v0, 0xfffffe80, v0
	s_wait_kmcnt 0x0
	v_max_num_f32_e64 v1, s12, s12
	s_delay_alu instid0(VALU_DEP_1) | instskip(SKIP_1) | instid1(SALU_CYCLE_3)
	v_readfirstlane_b32 s6, v1
	s_max_num_f32 s5, s5, s6
	s_sub_f32 s0, s0, s5
	s_sub_f32 s6, s12, s5
	s_delay_alu instid0(SALU_CYCLE_2) | instskip(NEXT) | instid1(SALU_CYCLE_2)
	s_mul_f32 s12, s0, 0x3fb8aa3b
	s_mul_f32 s14, s6, 0x3fb8aa3b
	s_delay_alu instid0(SALU_CYCLE_2)
	s_xor_b32 s15, s12, 0x80000000
	s_rndne_f32 s16, s12
	s_fmamk_f32 s15, s0, 0x3fb8aa3b, s15
	s_cmp_nlt_f32 s0, 0xc2ce8ed0
	s_rndne_f32 s17, s14
	s_sub_f32 s12, s12, s16
	s_fmamk_f32 s15, s0, 0x32a5705f, s15
	s_cselect_b32 vcc_lo, -1, 0
	s_cmp_ngt_f32 s0, 0x42b17218
	s_delay_alu instid0(SALU_CYCLE_1) | instskip(SKIP_2) | instid1(SALU_CYCLE_1)
	s_add_f32 s12, s12, s15
	s_cvt_i32_f32 s15, s16
	s_sub_f32 s16, s14, s17
	v_s_exp_f32 s12, s12
	v_nop
	s_delay_alu instid0(TRANS32_DEP_1) | instskip(SKIP_1) | instid1(VALU_DEP_1)
	v_ldexp_f32 v1, s12, s15
	s_cvt_i32_f32 s12, s17
	v_cndmask_b32_e32 v1, 0, v1, vcc_lo
	s_cselect_b32 vcc_lo, -1, 0
	s_cmp_ge_f32 s0, 0xc1a00000
	s_delay_alu instid0(VALU_DEP_1)
	v_cndmask_b32_e32 v1, 0x7f800000, v1, vcc_lo
	s_cselect_b32 vcc_lo, -1, 0
	s_xor_b32 s0, s14, 0x80000000
	s_cmp_nlt_f32 s6, 0xc2ce8ed0
	s_fmamk_f32 s0, s6, 0x3fb8aa3b, s0
	v_cndmask_b32_e32 v10, 0, v1, vcc_lo
	s_delay_alu instid0(SALU_CYCLE_2) | instskip(NEXT) | instid1(SALU_CYCLE_3)
	s_fmamk_f32 s0, s6, 0x32a5705f, s0
	s_add_f32 s0, s16, s0
	s_delay_alu instid0(SALU_CYCLE_3) | instskip(SKIP_1) | instid1(TRANS32_DEP_1)
	v_s_exp_f32 s0, s0
	v_nop
	v_ldexp_f32 v6, s0, s12
	s_cselect_b32 s0, -1, 0
	s_cmp_ngt_f32 s6, 0x42b17218
	s_delay_alu instid0(VALU_DEP_1) | instskip(SKIP_2) | instid1(VALU_DEP_1)
	v_cndmask_b32_e64 v6, 0, v6, s0
	s_cselect_b32 s0, -1, 0
	s_cmp_ge_f32 s6, 0xc1a00000
	v_cndmask_b32_e64 v8, 0x7f800000, v6, s0
	s_cselect_b32 s0, -1, 0
	v_mov_b32_e32 v6, s13
	s_add_co_i32 s1, s1, -1
	s_add_co_i32 s4, s4, -4
	v_cndmask_b32_e64 v8, 0, v8, s0
	s_cmp_le_i32 s1, s7
	s_mov_b32 s0, s5
	s_wait_loadcnt 0x0
	s_delay_alu instid0(VALU_DEP_1) | instskip(NEXT) | instid1(VALU_DEP_1)
	v_pk_mul_f32 v[6:7], v[6:7], v[8:9] op_sel_hi:[1,0]
	v_pk_fma_f32 v[2:3], v[2:3], v[10:11], v[6:7] op_sel_hi:[1,0,1]
	s_cbranch_scc0 .LBB66_3
	s_branch .LBB66_5
.LBB66_4:
	s_wait_kmcnt 0x0
	v_mov_b32_e32 v2, s14
.LBB66_5:
	v_lshl_add_u64 v[0:1], v[4:5], 2, s[8:9]
	s_wait_loadcnt 0x0
	s_delay_alu instid0(VALU_DEP_2) | instskip(NEXT) | instid1(VALU_DEP_1)
	v_div_scale_f32 v4, null, v2, v2, v3
	v_rcp_f32_e32 v5, v4
	v_nop
	s_delay_alu instid0(TRANS32_DEP_1) | instskip(NEXT) | instid1(VALU_DEP_1)
	v_fma_f32 v6, -v4, v5, 1.0
	v_fmac_f32_e32 v5, v6, v5
	v_div_scale_f32 v6, vcc_lo, v3, v2, v3
	s_delay_alu instid0(VALU_DEP_1) | instskip(NEXT) | instid1(VALU_DEP_1)
	v_mul_f32_e32 v7, v6, v5
	v_fma_f32 v8, -v4, v7, v6
	s_delay_alu instid0(VALU_DEP_1) | instskip(NEXT) | instid1(VALU_DEP_1)
	v_fmac_f32_e32 v7, v8, v5
	v_fma_f32 v4, -v4, v7, v6
	s_delay_alu instid0(VALU_DEP_1) | instskip(NEXT) | instid1(VALU_DEP_1)
	v_div_fmas_f32 v4, v4, v5, v7
	v_div_fixup_f32 v2, v4, v2, v3
	global_store_b32 v[0:1], v2, off
.LBB66_6:
	s_endpgm
	.section	.rodata,"a",@progbits
	.p2align	6, 0x0
	.amdhsa_kernel _ZL33flash_attn_stream_k_fixup_uniformILi96ELi4ELi1EEvPfPK15HIP_vector_typeIfLj2EEiiiiiiS1_IjLj3EES5_S5_
		.amdhsa_group_segment_fixed_size 0
		.amdhsa_private_segment_fixed_size 0
		.amdhsa_kernarg_size 76
		.amdhsa_user_sgpr_count 2
		.amdhsa_user_sgpr_dispatch_ptr 0
		.amdhsa_user_sgpr_queue_ptr 0
		.amdhsa_user_sgpr_kernarg_segment_ptr 1
		.amdhsa_user_sgpr_dispatch_id 0
		.amdhsa_user_sgpr_kernarg_preload_length 0
		.amdhsa_user_sgpr_kernarg_preload_offset 0
		.amdhsa_user_sgpr_private_segment_size 0
		.amdhsa_wavefront_size32 1
		.amdhsa_uses_dynamic_stack 0
		.amdhsa_enable_private_segment 0
		.amdhsa_system_sgpr_workgroup_id_x 1
		.amdhsa_system_sgpr_workgroup_id_y 1
		.amdhsa_system_sgpr_workgroup_id_z 1
		.amdhsa_system_sgpr_workgroup_info 0
		.amdhsa_system_vgpr_workitem_id 0
		.amdhsa_next_free_vgpr 12
		.amdhsa_next_free_sgpr 21
		.amdhsa_named_barrier_count 0
		.amdhsa_reserve_vcc 1
		.amdhsa_float_round_mode_32 0
		.amdhsa_float_round_mode_16_64 0
		.amdhsa_float_denorm_mode_32 3
		.amdhsa_float_denorm_mode_16_64 3
		.amdhsa_fp16_overflow 0
		.amdhsa_memory_ordered 1
		.amdhsa_forward_progress 1
		.amdhsa_inst_pref_size 9
		.amdhsa_round_robin_scheduling 0
		.amdhsa_exception_fp_ieee_invalid_op 0
		.amdhsa_exception_fp_denorm_src 0
		.amdhsa_exception_fp_ieee_div_zero 0
		.amdhsa_exception_fp_ieee_overflow 0
		.amdhsa_exception_fp_ieee_underflow 0
		.amdhsa_exception_fp_ieee_inexact 0
		.amdhsa_exception_int_div_zero 0
	.end_amdhsa_kernel
	.section	.text._ZL33flash_attn_stream_k_fixup_uniformILi96ELi4ELi1EEvPfPK15HIP_vector_typeIfLj2EEiiiiiiS1_IjLj3EES5_S5_,"axG",@progbits,_ZL33flash_attn_stream_k_fixup_uniformILi96ELi4ELi1EEvPfPK15HIP_vector_typeIfLj2EEiiiiiiS1_IjLj3EES5_S5_,comdat
.Lfunc_end66:
	.size	_ZL33flash_attn_stream_k_fixup_uniformILi96ELi4ELi1EEvPfPK15HIP_vector_typeIfLj2EEiiiiiiS1_IjLj3EES5_S5_, .Lfunc_end66-_ZL33flash_attn_stream_k_fixup_uniformILi96ELi4ELi1EEvPfPK15HIP_vector_typeIfLj2EEiiiiiiS1_IjLj3EES5_S5_
                                        ; -- End function
	.set _ZL33flash_attn_stream_k_fixup_uniformILi96ELi4ELi1EEvPfPK15HIP_vector_typeIfLj2EEiiiiiiS1_IjLj3EES5_S5_.num_vgpr, 12
	.set _ZL33flash_attn_stream_k_fixup_uniformILi96ELi4ELi1EEvPfPK15HIP_vector_typeIfLj2EEiiiiiiS1_IjLj3EES5_S5_.num_agpr, 0
	.set _ZL33flash_attn_stream_k_fixup_uniformILi96ELi4ELi1EEvPfPK15HIP_vector_typeIfLj2EEiiiiiiS1_IjLj3EES5_S5_.numbered_sgpr, 21
	.set _ZL33flash_attn_stream_k_fixup_uniformILi96ELi4ELi1EEvPfPK15HIP_vector_typeIfLj2EEiiiiiiS1_IjLj3EES5_S5_.num_named_barrier, 0
	.set _ZL33flash_attn_stream_k_fixup_uniformILi96ELi4ELi1EEvPfPK15HIP_vector_typeIfLj2EEiiiiiiS1_IjLj3EES5_S5_.private_seg_size, 0
	.set _ZL33flash_attn_stream_k_fixup_uniformILi96ELi4ELi1EEvPfPK15HIP_vector_typeIfLj2EEiiiiiiS1_IjLj3EES5_S5_.uses_vcc, 1
	.set _ZL33flash_attn_stream_k_fixup_uniformILi96ELi4ELi1EEvPfPK15HIP_vector_typeIfLj2EEiiiiiiS1_IjLj3EES5_S5_.uses_flat_scratch, 0
	.set _ZL33flash_attn_stream_k_fixup_uniformILi96ELi4ELi1EEvPfPK15HIP_vector_typeIfLj2EEiiiiiiS1_IjLj3EES5_S5_.has_dyn_sized_stack, 0
	.set _ZL33flash_attn_stream_k_fixup_uniformILi96ELi4ELi1EEvPfPK15HIP_vector_typeIfLj2EEiiiiiiS1_IjLj3EES5_S5_.has_recursion, 0
	.set _ZL33flash_attn_stream_k_fixup_uniformILi96ELi4ELi1EEvPfPK15HIP_vector_typeIfLj2EEiiiiiiS1_IjLj3EES5_S5_.has_indirect_call, 0
	.section	.AMDGPU.csdata,"",@progbits
; Kernel info:
; codeLenInByte = 1072
; TotalNumSgprs: 23
; NumVgprs: 12
; ScratchSize: 0
; MemoryBound: 0
; FloatMode: 240
; IeeeMode: 1
; LDSByteSize: 0 bytes/workgroup (compile time only)
; SGPRBlocks: 0
; VGPRBlocks: 0
; NumSGPRsForWavesPerEU: 23
; NumVGPRsForWavesPerEU: 12
; NamedBarCnt: 0
; Occupancy: 16
; WaveLimiterHint : 0
; COMPUTE_PGM_RSRC2:SCRATCH_EN: 0
; COMPUTE_PGM_RSRC2:USER_SGPR: 2
; COMPUTE_PGM_RSRC2:TRAP_HANDLER: 0
; COMPUTE_PGM_RSRC2:TGID_X_EN: 1
; COMPUTE_PGM_RSRC2:TGID_Y_EN: 1
; COMPUTE_PGM_RSRC2:TGID_Z_EN: 1
; COMPUTE_PGM_RSRC2:TIDIG_COMP_CNT: 0
	.section	.text._ZL33flash_attn_stream_k_fixup_generalILi96ELi4ELi1EEvPfPK15HIP_vector_typeIfLj2EEiiiiS1_IjLj3EES5_S5_S5_,"axG",@progbits,_ZL33flash_attn_stream_k_fixup_generalILi96ELi4ELi1EEvPfPK15HIP_vector_typeIfLj2EEiiiiS1_IjLj3EES5_S5_S5_,comdat
	.globl	_ZL33flash_attn_stream_k_fixup_generalILi96ELi4ELi1EEvPfPK15HIP_vector_typeIfLj2EEiiiiS1_IjLj3EES5_S5_S5_ ; -- Begin function _ZL33flash_attn_stream_k_fixup_generalILi96ELi4ELi1EEvPfPK15HIP_vector_typeIfLj2EEiiiiS1_IjLj3EES5_S5_S5_
	.p2align	8
	.type	_ZL33flash_attn_stream_k_fixup_generalILi96ELi4ELi1EEvPfPK15HIP_vector_typeIfLj2EEiiiiS1_IjLj3EES5_S5_S5_,@function
_ZL33flash_attn_stream_k_fixup_generalILi96ELi4ELi1EEvPfPK15HIP_vector_typeIfLj2EEiiiiS1_IjLj3EES5_S5_S5_: ; @_ZL33flash_attn_stream_k_fixup_generalILi96ELi4ELi1EEvPfPK15HIP_vector_typeIfLj2EEiiiiS1_IjLj3EES5_S5_S5_
; %bb.0:
	s_clause 0x1
	s_load_b128 s[4:7], s[0:1], 0x10
	s_load_b32 s16, s[0:1], 0x50
	s_bfe_u32 s2, ttmp6, 0x4000c
	s_and_b32 s3, ttmp6, 15
	s_add_co_i32 s2, s2, 1
	s_getreg_b32 s15, hwreg(HW_REG_IB_STS2, 6, 4)
	s_mul_i32 s2, ttmp9, s2
	s_mov_b32 s17, 0
	s_add_co_i32 s3, s3, s2
	s_cmp_eq_u32 s15, 0
	s_cselect_b32 s2, ttmp9, s3
	s_delay_alu instid0(SALU_CYCLE_1) | instskip(SKIP_3) | instid1(SALU_CYCLE_1)
	s_ashr_i32 s3, s2, 31
	s_wait_kmcnt 0x0
	s_ashr_i32 s19, s7, 31
	s_mov_b32 s18, s7
	s_mul_u64 s[8:9], s[18:19], s[2:3]
	s_delay_alu instid0(SALU_CYCLE_1) | instskip(NEXT) | instid1(SALU_CYCLE_1)
	s_and_b64 s[10:11], s[8:9], 0xffffffff00000000
	s_cmp_lg_u64 s[10:11], 0
	s_cbranch_scc0 .LBB67_21
; %bb.1:
	s_add_nc_u64 s[10:11], s[16:17], 0
	s_mov_b32 s23, s17
	s_xor_b64 s[10:11], s[10:11], 0
	s_mov_b32 s27, s17
	s_cvt_f32_u32 s3, s10
	s_cvt_f32_u32 s7, s11
	s_sub_nc_u64 s[20:21], 0, s[10:11]
	s_delay_alu instid0(SALU_CYCLE_2) | instskip(NEXT) | instid1(SALU_CYCLE_3)
	s_fmamk_f32 s3, s7, 0x4f800000, s3
	v_s_rcp_f32 s3, s3
	s_delay_alu instid0(TRANS32_DEP_1) | instskip(NEXT) | instid1(SALU_CYCLE_3)
	s_mul_f32 s3, s3, 0x5f7ffffc
	s_mul_f32 s7, s3, 0x2f800000
	s_delay_alu instid0(SALU_CYCLE_3) | instskip(NEXT) | instid1(SALU_CYCLE_3)
	s_trunc_f32 s7, s7
	s_fmamk_f32 s3, s7, 0xcf800000, s3
	s_cvt_u32_f32 s13, s7
	s_delay_alu instid0(SALU_CYCLE_2) | instskip(NEXT) | instid1(SALU_CYCLE_3)
	s_cvt_u32_f32 s12, s3
	s_mul_u64 s[24:25], s[20:21], s[12:13]
	s_delay_alu instid0(SALU_CYCLE_1)
	s_mul_hi_u32 s29, s12, s25
	s_mul_i32 s28, s12, s25
	s_mul_hi_u32 s22, s12, s24
	s_mul_i32 s7, s13, s24
	s_add_nc_u64 s[22:23], s[22:23], s[28:29]
	s_mul_hi_u32 s3, s13, s24
	s_mul_hi_u32 s14, s13, s25
	s_add_co_u32 s7, s22, s7
	s_add_co_ci_u32 s26, s23, s3
	s_mul_i32 s24, s13, s25
	s_add_co_ci_u32 s25, s14, 0
	s_delay_alu instid0(SALU_CYCLE_1) | instskip(SKIP_3) | instid1(SALU_CYCLE_1)
	s_add_nc_u64 s[22:23], s[26:27], s[24:25]
	s_mov_b32 s25, s17
	s_add_co_u32 s12, s12, s22
	s_cselect_b32 s3, -1, 0
	s_cmp_lg_u32 s3, 0
	s_add_co_ci_u32 s13, s13, s23
	s_mov_b32 s23, s17
	s_mul_u64 s[20:21], s[20:21], s[12:13]
	s_delay_alu instid0(SALU_CYCLE_1)
	s_mul_hi_u32 s27, s12, s21
	s_mul_i32 s26, s12, s21
	s_mul_hi_u32 s22, s12, s20
	s_mul_i32 s7, s13, s20
	s_add_nc_u64 s[22:23], s[22:23], s[26:27]
	s_mul_hi_u32 s3, s13, s20
	s_mul_hi_u32 s14, s13, s21
	s_add_co_u32 s7, s22, s7
	s_add_co_ci_u32 s24, s23, s3
	s_mul_i32 s20, s13, s21
	s_add_co_ci_u32 s21, s14, 0
	s_mov_b32 s23, s17
	s_add_nc_u64 s[20:21], s[24:25], s[20:21]
	s_delay_alu instid0(SALU_CYCLE_1) | instskip(SKIP_1) | instid1(SALU_CYCLE_1)
	s_add_co_u32 s3, s12, s20
	s_cselect_b32 s7, -1, 0
	s_cmp_lg_u32 s7, 0
	s_add_co_ci_u32 s7, s13, s21
	s_ashr_i32 s12, s9, 31
	s_delay_alu instid0(SALU_CYCLE_1) | instskip(NEXT) | instid1(SALU_CYCLE_1)
	s_mov_b32 s13, s12
	s_add_nc_u64 s[20:21], s[8:9], s[12:13]
	s_delay_alu instid0(SALU_CYCLE_1) | instskip(NEXT) | instid1(SALU_CYCLE_1)
	s_xor_b64 s[20:21], s[20:21], s[12:13]
	s_mul_hi_u32 s27, s20, s7
	s_mul_i32 s26, s20, s7
	s_mul_hi_u32 s22, s20, s3
	s_mul_hi_u32 s14, s21, s3
	s_mul_i32 s3, s21, s3
	s_add_nc_u64 s[22:23], s[22:23], s[26:27]
	s_mul_hi_u32 s9, s21, s7
	s_add_co_u32 s3, s22, s3
	s_add_co_ci_u32 s24, s23, s14
	s_mul_i32 s26, s21, s7
	s_add_co_ci_u32 s27, s9, 0
	s_delay_alu instid0(SALU_CYCLE_1) | instskip(NEXT) | instid1(SALU_CYCLE_1)
	s_add_nc_u64 s[22:23], s[24:25], s[26:27]
	s_and_b64 s[24:25], s[22:23], 0xffffffff00000000
	s_delay_alu instid0(SALU_CYCLE_1) | instskip(NEXT) | instid1(SALU_CYCLE_1)
	s_or_b32 s24, s24, s22
	s_mul_u64 s[22:23], s[10:11], s[24:25]
	s_add_nc_u64 s[26:27], s[24:25], 1
	s_sub_co_u32 s3, s20, s22
	s_cselect_b32 s7, -1, 0
	s_sub_co_i32 s9, s21, s23
	s_cmp_lg_u32 s7, 0
	s_add_nc_u64 s[28:29], s[24:25], 2
	s_sub_co_ci_u32 s9, s9, s11
	s_sub_co_u32 s14, s3, s10
	s_cselect_b32 s20, -1, 0
	s_delay_alu instid0(SALU_CYCLE_1) | instskip(SKIP_1) | instid1(SALU_CYCLE_1)
	s_cmp_lg_u32 s20, 0
	s_sub_co_ci_u32 s9, s9, 0
	s_cmp_ge_u32 s9, s11
	s_cselect_b32 s20, -1, 0
	s_cmp_ge_u32 s14, s10
	s_cselect_b32 s14, -1, 0
	s_cmp_eq_u32 s9, s11
	s_cselect_b32 s9, s14, s20
	s_delay_alu instid0(SALU_CYCLE_1) | instskip(SKIP_4) | instid1(SALU_CYCLE_1)
	s_cmp_lg_u32 s9, 0
	s_cselect_b32 s9, s28, s26
	s_cselect_b32 s14, s29, s27
	s_cmp_lg_u32 s7, 0
	s_sub_co_ci_u32 s7, s21, s23
	s_cmp_ge_u32 s7, s11
	s_cselect_b32 s20, -1, 0
	s_cmp_ge_u32 s3, s10
	s_cselect_b32 s3, -1, 0
	s_cmp_eq_u32 s7, s11
	s_cselect_b32 s3, s3, s20
	s_delay_alu instid0(SALU_CYCLE_1) | instskip(SKIP_4) | instid1(SALU_CYCLE_1)
	s_cmp_lg_u32 s3, 0
	s_mov_b32 s3, s17
	s_cselect_b32 s11, s14, s25
	s_cselect_b32 s10, s9, s24
	s_xor_b64 s[12:13], s[12:13], 0
	s_xor_b64 s[10:11], s[10:11], s[12:13]
	s_delay_alu instid0(SALU_CYCLE_1)
	s_sub_nc_u64 s[20:21], s[10:11], s[12:13]
	s_and_not1_b32 vcc_lo, exec_lo, s3
	s_cbranch_vccnz .LBB67_3
.LBB67_2:
	v_cvt_f32_u32_e32 v1, s16
	s_sub_co_i32 s7, 0, s16
	s_mov_b32 s21, 0
	s_delay_alu instid0(VALU_DEP_1) | instskip(SKIP_1) | instid1(TRANS32_DEP_1)
	v_rcp_iflag_f32_e32 v1, v1
	v_nop
	v_mul_f32_e32 v1, 0x4f7ffffe, v1
	s_delay_alu instid0(VALU_DEP_1) | instskip(NEXT) | instid1(VALU_DEP_1)
	v_cvt_u32_f32_e32 v1, v1
	v_readfirstlane_b32 s3, v1
	s_mul_i32 s7, s7, s3
	s_delay_alu instid0(SALU_CYCLE_1) | instskip(NEXT) | instid1(SALU_CYCLE_1)
	s_mul_hi_u32 s7, s3, s7
	s_add_co_i32 s3, s3, s7
	s_delay_alu instid0(SALU_CYCLE_1) | instskip(NEXT) | instid1(SALU_CYCLE_1)
	s_mul_hi_u32 s3, s8, s3
	s_mul_i32 s7, s3, s16
	s_delay_alu instid0(SALU_CYCLE_1)
	s_sub_co_i32 s7, s8, s7
	s_add_co_i32 s8, s3, 1
	s_sub_co_i32 s9, s7, s16
	s_cmp_ge_u32 s7, s16
	s_cselect_b32 s3, s8, s3
	s_cselect_b32 s7, s9, s7
	s_add_co_i32 s8, s3, 1
	s_cmp_ge_u32 s7, s16
	s_cselect_b32 s20, s8, s3
.LBB67_3:
	s_add_co_i32 s8, s2, 1
	s_delay_alu instid0(SALU_CYCLE_1) | instskip(NEXT) | instid1(SALU_CYCLE_1)
	s_ashr_i32 s9, s8, 31
	s_mul_u64 s[8:9], s[18:19], s[8:9]
	s_delay_alu instid0(SALU_CYCLE_1) | instskip(NEXT) | instid1(SALU_CYCLE_1)
	s_and_b64 s[10:11], s[8:9], 0xffffffff00000000
	s_cmp_lg_u64 s[10:11], 0
	s_cbranch_scc0 .LBB67_22
; %bb.4:
	s_add_nc_u64 s[10:11], s[16:17], 0
	s_delay_alu instid0(SALU_CYCLE_1) | instskip(SKIP_4) | instid1(SALU_CYCLE_2)
	s_xor_b64 s[12:13], s[10:11], 0
	s_mov_b32 s11, 0
	s_cvt_f32_u32 s3, s12
	s_cvt_f32_u32 s7, s13
	s_sub_nc_u64 s[24:25], 0, s[12:13]
	s_fmamk_f32 s3, s7, 0x4f800000, s3
	s_delay_alu instid0(SALU_CYCLE_3) | instskip(NEXT) | instid1(TRANS32_DEP_1)
	v_s_rcp_f32 s3, s3
	s_mul_f32 s3, s3, 0x5f7ffffc
	s_delay_alu instid0(SALU_CYCLE_3) | instskip(NEXT) | instid1(SALU_CYCLE_3)
	s_mul_f32 s7, s3, 0x2f800000
	s_trunc_f32 s7, s7
	s_delay_alu instid0(SALU_CYCLE_3) | instskip(SKIP_1) | instid1(SALU_CYCLE_2)
	s_fmamk_f32 s3, s7, 0xcf800000, s3
	s_cvt_u32_f32 s23, s7
	s_cvt_u32_f32 s22, s3
	s_delay_alu instid0(SALU_CYCLE_3) | instskip(NEXT) | instid1(SALU_CYCLE_1)
	s_mul_u64 s[26:27], s[24:25], s[22:23]
	s_mul_hi_u32 s29, s22, s27
	s_mul_i32 s28, s22, s27
	s_mul_hi_u32 s10, s22, s26
	s_mul_i32 s7, s23, s26
	s_add_nc_u64 s[28:29], s[10:11], s[28:29]
	s_mul_hi_u32 s3, s23, s26
	s_mul_hi_u32 s14, s23, s27
	s_add_co_u32 s7, s28, s7
	s_add_co_ci_u32 s10, s29, s3
	s_mul_i32 s26, s23, s27
	s_add_co_ci_u32 s27, s14, 0
	s_delay_alu instid0(SALU_CYCLE_1) | instskip(NEXT) | instid1(SALU_CYCLE_1)
	s_add_nc_u64 s[26:27], s[10:11], s[26:27]
	s_add_co_u32 s22, s22, s26
	s_cselect_b32 s3, -1, 0
	s_delay_alu instid0(SALU_CYCLE_1) | instskip(SKIP_1) | instid1(SALU_CYCLE_1)
	s_cmp_lg_u32 s3, 0
	s_add_co_ci_u32 s23, s23, s27
	s_mul_u64 s[24:25], s[24:25], s[22:23]
	s_delay_alu instid0(SALU_CYCLE_1)
	s_mul_hi_u32 s27, s22, s25
	s_mul_i32 s26, s22, s25
	s_mul_hi_u32 s10, s22, s24
	s_mul_i32 s7, s23, s24
	s_add_nc_u64 s[26:27], s[10:11], s[26:27]
	s_mul_hi_u32 s3, s23, s24
	s_mul_hi_u32 s14, s23, s25
	s_add_co_u32 s7, s26, s7
	s_add_co_ci_u32 s10, s27, s3
	s_mul_i32 s24, s23, s25
	s_add_co_ci_u32 s25, s14, 0
	s_delay_alu instid0(SALU_CYCLE_1) | instskip(NEXT) | instid1(SALU_CYCLE_1)
	s_add_nc_u64 s[24:25], s[10:11], s[24:25]
	s_add_co_u32 s3, s22, s24
	s_cselect_b32 s7, -1, 0
	s_delay_alu instid0(SALU_CYCLE_1) | instskip(SKIP_2) | instid1(SALU_CYCLE_1)
	s_cmp_lg_u32 s7, 0
	s_add_co_ci_u32 s7, s23, s25
	s_ashr_i32 s22, s9, 31
	s_mov_b32 s23, s22
	s_delay_alu instid0(SALU_CYCLE_1) | instskip(NEXT) | instid1(SALU_CYCLE_1)
	s_add_nc_u64 s[24:25], s[8:9], s[22:23]
	s_xor_b64 s[24:25], s[24:25], s[22:23]
	s_delay_alu instid0(SALU_CYCLE_1)
	s_mul_hi_u32 s27, s24, s7
	s_mul_i32 s26, s24, s7
	s_mul_hi_u32 s10, s24, s3
	s_mul_hi_u32 s14, s25, s3
	s_mul_i32 s3, s25, s3
	s_add_nc_u64 s[26:27], s[10:11], s[26:27]
	s_mul_hi_u32 s9, s25, s7
	s_add_co_u32 s3, s26, s3
	s_add_co_ci_u32 s10, s27, s14
	s_mul_i32 s28, s25, s7
	s_add_co_ci_u32 s29, s9, 0
	s_delay_alu instid0(SALU_CYCLE_1) | instskip(NEXT) | instid1(SALU_CYCLE_1)
	s_add_nc_u64 s[26:27], s[10:11], s[28:29]
	s_and_b64 s[28:29], s[26:27], 0xffffffff00000000
	s_delay_alu instid0(SALU_CYCLE_1) | instskip(NEXT) | instid1(SALU_CYCLE_1)
	s_or_b32 s28, s28, s26
	s_mul_u64 s[26:27], s[12:13], s[28:29]
	s_add_nc_u64 s[30:31], s[28:29], 1
	s_sub_co_u32 s3, s24, s26
	s_cselect_b32 s7, -1, 0
	s_sub_co_i32 s9, s25, s27
	s_cmp_lg_u32 s7, 0
	s_add_nc_u64 s[34:35], s[28:29], 2
	s_sub_co_ci_u32 s9, s9, s13
	s_sub_co_u32 s10, s3, s12
	s_cselect_b32 s14, -1, 0
	s_delay_alu instid0(SALU_CYCLE_1) | instskip(SKIP_1) | instid1(SALU_CYCLE_1)
	s_cmp_lg_u32 s14, 0
	s_sub_co_ci_u32 s9, s9, 0
	s_cmp_ge_u32 s9, s13
	s_cselect_b32 s14, -1, 0
	s_cmp_ge_u32 s10, s12
	s_cselect_b32 s10, -1, 0
	s_cmp_eq_u32 s9, s13
	s_cselect_b32 s9, s10, s14
	s_delay_alu instid0(SALU_CYCLE_1) | instskip(SKIP_4) | instid1(SALU_CYCLE_1)
	s_cmp_lg_u32 s9, 0
	s_cselect_b32 s9, s34, s30
	s_cselect_b32 s10, s35, s31
	s_cmp_lg_u32 s7, 0
	s_sub_co_ci_u32 s7, s25, s27
	s_cmp_ge_u32 s7, s13
	s_cselect_b32 s14, -1, 0
	s_cmp_ge_u32 s3, s12
	s_cselect_b32 s3, -1, 0
	s_cmp_eq_u32 s7, s13
	s_cselect_b32 s3, s3, s14
	s_delay_alu instid0(SALU_CYCLE_1) | instskip(SKIP_3) | instid1(SALU_CYCLE_1)
	s_cmp_lg_u32 s3, 0
	s_cselect_b32 s13, s10, s29
	s_cselect_b32 s12, s9, s28
	s_xor_b64 s[22:23], s[22:23], 0
	s_xor_b64 s[12:13], s[12:13], s[22:23]
	s_delay_alu instid0(SALU_CYCLE_1)
	s_sub_nc_u64 s[24:25], s[12:13], s[22:23]
	s_load_b96 s[12:14], s[0:1], 0x44
	s_cbranch_execnz .LBB67_6
.LBB67_5:
	v_cvt_f32_u32_e32 v1, s16
	s_sub_co_i32 s7, 0, s16
	s_delay_alu instid0(VALU_DEP_1) | instskip(SKIP_1) | instid1(TRANS32_DEP_1)
	v_rcp_iflag_f32_e32 v1, v1
	v_nop
	v_mul_f32_e32 v1, 0x4f7ffffe, v1
	s_delay_alu instid0(VALU_DEP_1) | instskip(NEXT) | instid1(VALU_DEP_1)
	v_cvt_u32_f32_e32 v1, v1
	v_readfirstlane_b32 s3, v1
	s_mul_i32 s7, s7, s3
	s_delay_alu instid0(SALU_CYCLE_1) | instskip(NEXT) | instid1(SALU_CYCLE_1)
	s_mul_hi_u32 s7, s3, s7
	s_add_co_i32 s3, s3, s7
	s_delay_alu instid0(SALU_CYCLE_1) | instskip(NEXT) | instid1(SALU_CYCLE_1)
	s_mul_hi_u32 s3, s8, s3
	s_mul_i32 s7, s3, s16
	s_delay_alu instid0(SALU_CYCLE_1)
	s_sub_co_i32 s7, s8, s7
	s_add_co_i32 s8, s3, 1
	s_sub_co_i32 s9, s7, s16
	s_cmp_ge_u32 s7, s16
	s_cselect_b32 s3, s8, s3
	s_cselect_b32 s7, s9, s7
	s_add_co_i32 s8, s3, 1
	s_cmp_ge_u32 s7, s16
	s_cselect_b32 s24, s8, s3
.LBB67_6:
	s_delay_alu instid0(SALU_CYCLE_1)
	s_cmp_eq_u32 s20, s24
	s_mov_b64 s[8:9], 0xffffffff
	s_cselect_b32 s3, -1, 0
	s_and_b64 s[8:9], s[20:21], s[8:9]
	s_mov_b32 s23, 0
	s_wait_kmcnt 0x0
	s_mov_b32 s22, s12
	s_mov_b32 s25, s23
	s_mul_u64 s[10:11], s[8:9], s[22:23]
	s_delay_alu instid0(SALU_CYCLE_1) | instskip(SKIP_2) | instid1(SALU_CYCLE_1)
	s_add_co_i32 s7, s11, s20
	s_mul_u64 s[10:11], s[24:25], s[22:23]
	s_lshr_b32 s12, s7, s13
	s_mul_i32 s7, s12, s14
	s_delay_alu instid0(SALU_CYCLE_1) | instskip(SKIP_2) | instid1(SALU_CYCLE_1)
	s_cmp_eq_u32 s7, s20
	s_cselect_b32 s7, -1, 0
	s_add_co_i32 s10, s11, s24
	s_lshr_b32 s10, s10, s13
	s_delay_alu instid0(SALU_CYCLE_1)
	s_cmp_eq_u32 s12, s10
	s_mul_i32 s10, s10, s14
	s_cselect_b32 s11, -1, 0
	s_cmp_lg_u32 s10, s24
	s_cselect_b32 s10, -1, 0
	s_or_b32 s3, s3, s7
	s_and_b32 s10, s11, s10
	s_delay_alu instid0(SALU_CYCLE_1) | instskip(NEXT) | instid1(SALU_CYCLE_1)
	s_or_b32 s3, s3, s10
	s_and_b32 vcc_lo, exec_lo, s3
	s_cbranch_vccnz .LBB67_24
; %bb.7:
	s_load_b256 s[24:31], s[0:1], 0x20
	s_bfe_u32 s7, ttmp6, 0x40014
	s_bfe_u32 s33, ttmp6, 0x40010
	s_lshr_b32 s3, ttmp7, 16
	s_add_co_i32 s7, s7, 1
	s_and_b32 s21, ttmp7, 0xffff
	s_add_co_i32 s33, s33, 1
	s_bfe_u32 s10, ttmp6, 0x40008
	s_mul_i32 s7, s3, s7
	s_bfe_u32 s34, ttmp6, 0x40004
	s_mul_i32 s33, s21, s33
	s_mov_b32 s11, s23
	s_add_co_i32 s7, s10, s7
	s_add_co_i32 s34, s34, s33
	s_cmp_eq_u32 s15, 0
	s_cselect_b32 s15, s21, s34
	s_cselect_b32 s3, s3, s7
	s_wait_kmcnt 0x0
	s_mov_b32 s10, s24
	s_delay_alu instid0(SALU_CYCLE_1) | instskip(SKIP_2) | instid1(SALU_CYCLE_1)
	s_mul_u64 s[8:9], s[8:9], s[10:11]
	s_load_b32 s8, s[0:1], 0x40
	s_add_co_i32 s7, s9, s20
	s_lshr_b32 s7, s7, s25
	s_delay_alu instid0(SALU_CYCLE_1) | instskip(NEXT) | instid1(SALU_CYCLE_1)
	s_mul_i32 s9, s7, s26
	s_sub_co_i32 s9, s20, s9
	s_delay_alu instid0(SALU_CYCLE_1) | instskip(NEXT) | instid1(SALU_CYCLE_1)
	s_mul_hi_u32 s10, s9, s27
	s_add_co_i32 s10, s9, s10
	s_delay_alu instid0(SALU_CYCLE_1) | instskip(NEXT) | instid1(SALU_CYCLE_1)
	s_lshr_b32 s21, s10, s28
	s_mul_i32 s10, s21, s29
	s_delay_alu instid0(SALU_CYCLE_1) | instskip(NEXT) | instid1(SALU_CYCLE_1)
	s_sub_co_i32 s10, s9, s10
	s_mul_hi_u32 s9, s10, s30
	s_delay_alu instid0(SALU_CYCLE_1) | instskip(NEXT) | instid1(SALU_CYCLE_1)
	s_add_co_i32 s9, s10, s9
	s_lshr_b32 s25, s9, s31
	s_mov_b32 s9, s23
	s_wait_kmcnt 0x0
	s_mul_i32 s8, s25, s8
	s_delay_alu instid0(SALU_CYCLE_1) | instskip(NEXT) | instid1(SALU_CYCLE_1)
	s_sub_co_i32 s8, s10, s8
	s_mul_u64 s[10:11], s[8:9], s[22:23]
	s_delay_alu instid0(SALU_CYCLE_1) | instskip(NEXT) | instid1(SALU_CYCLE_1)
	s_add_co_i32 s8, s8, s11
	s_lshr_b32 s24, s8, s13
	s_delay_alu instid0(SALU_CYCLE_1) | instskip(NEXT) | instid1(SALU_CYCLE_1)
	s_lshl_b32 s8, s24, 2
	s_add_co_i32 s8, s8, s15
	s_delay_alu instid0(SALU_CYCLE_1) | instskip(SKIP_2) | instid1(SALU_CYCLE_1)
	s_cmp_lt_i32 s8, s4
	s_cselect_b32 s8, -1, 0
	s_add_co_i32 s25, s25, s3
	s_cmp_lt_i32 s25, s6
	s_cselect_b32 s9, -1, 0
	s_delay_alu instid0(SALU_CYCLE_1) | instskip(NEXT) | instid1(SALU_CYCLE_1)
	s_and_b32 s8, s8, s9
	s_and_not1_b32 vcc_lo, exec_lo, s8
	s_cbranch_vccnz .LBB67_24
; %bb.8:
	s_load_b128 s[8:11], s[0:1], 0x0
	s_wait_xcnt 0x0
	s_mul_i32 s0, s7, s4
	s_mul_i32 s21, s21, s6
	s_add_co_i32 s0, s0, s15
	s_add_co_i32 s1, s25, s21
	s_mul_i32 s0, s0, s5
	s_mul_i32 s4, s5, s24
	s_add_co_i32 s0, s1, s0
	s_mulk_i32 s4, 0x180
	s_mulk_i32 s0, 0x60
	s_add_co_i32 s15, s15, s3
	v_add3_u32 v2, s4, s0, v0
	s_add_nc_u64 s[0:1], s[16:17], 0
	v_cvt_f32_u32_e32 v4, s16
	s_xor_b64 s[6:7], s[0:1], 0
	s_lshl_b32 s0, s2, 2
	s_cvt_f32_u32 s3, s6
	s_cvt_f32_u32 s4, s7
	s_add_co_i32 s0, s0, s15
	v_rcp_iflag_f32_e32 v4, v4
	s_wait_kmcnt 0x0
	global_load_b32 v1, v2, s[8:9] scale_offset
	s_fmamk_f32 s3, s4, 0x4f800000, s3
	s_ashr_i32 s1, s0, 31
	s_lshl_b32 s24, s16, 4
	s_lshl_b64 s[0:1], s[0:1], 3
	v_s_rcp_f32 s3, s3
	s_add_nc_u64 s[0:1], s[10:11], s[0:1]
	s_mov_b32 s25, 0
	s_load_b64 s[28:29], s[0:1], 0x0
	v_mad_u32 v6, 0x60, s15, v0
	v_dual_mul_f32 v4, 0x4f7ffffe, v4 :: v_dual_ashrrev_i32 v3, 31, v2
	s_wait_xcnt 0x0
	s_lshl_b64 s[0:1], s[24:25], 2
	s_mul_f32 s3, s3, 0x5f7ffffc
	s_add_nc_u64 s[26:27], s[10:11], s[0:1]
	v_lshl_add_u64 v[2:3], v[2:3], 2, s[8:9]
	v_cvt_u32_f32_e32 v7, v4
	s_mul_f32 s4, s3, 0x2f800000
	s_mov_b64 s[8:9], 0xffffffff
	s_add_co_i32 s36, s2, -1
	s_sub_nc_u64 s[34:35], 0, s[6:7]
	s_trunc_f32 s4, s4
	s_delay_alu instid0(SALU_CYCLE_3)
	s_fmamk_f32 s0, s4, 0xcf800000, s3
	s_cvt_u32_f32 s31, s4
	s_wait_kmcnt 0x0
	v_mov_b32_e32 v0, s29
	s_cvt_u32_f32 s30, s0
.LBB67_9:                               ; =>This Inner Loop Header: Depth=1
	s_ashr_i32 s37, s36, 31
                                        ; implicit-def: $sgpr40_sgpr41
	s_delay_alu instid0(SALU_CYCLE_1) | instskip(NEXT) | instid1(SALU_CYCLE_1)
	s_mul_u64 s[0:1], s[36:37], s[18:19]
	s_and_b64 s[2:3], s[0:1], 0xffffffff00000000
	s_delay_alu instid0(SALU_CYCLE_1)
	s_cmp_lg_u64 s[2:3], 0
	s_mov_b32 s2, -1
	s_cbranch_scc0 .LBB67_11
; %bb.10:                               ;   in Loop: Header=BB67_9 Depth=1
	s_mul_u64 s[2:3], s[34:35], s[30:31]
	s_delay_alu instid0(SALU_CYCLE_1)
	s_mul_hi_u32 s5, s30, s3
	s_mul_i32 s4, s30, s3
	s_mul_hi_u32 s24, s30, s2
	s_mul_hi_u32 s17, s31, s2
	s_add_nc_u64 s[4:5], s[24:25], s[4:5]
	s_mul_i32 s2, s31, s2
	s_mul_hi_u32 s21, s31, s3
	s_add_co_u32 s2, s4, s2
	s_add_co_ci_u32 s24, s5, s17
	s_add_co_ci_u32 s5, s21, 0
	s_mul_i32 s4, s31, s3
	s_delay_alu instid0(SALU_CYCLE_1) | instskip(NEXT) | instid1(SALU_CYCLE_1)
	s_add_nc_u64 s[2:3], s[24:25], s[4:5]
	s_add_co_u32 s2, s30, s2
	s_cselect_b32 s4, -1, 0
	s_delay_alu instid0(SALU_CYCLE_1) | instskip(SKIP_1) | instid1(SALU_CYCLE_1)
	s_cmp_lg_u32 s4, 0
	s_add_co_ci_u32 s3, s31, s3
	s_mul_u64 s[4:5], s[34:35], s[2:3]
	s_delay_alu instid0(SALU_CYCLE_1)
	s_mul_hi_u32 s39, s2, s5
	s_mul_i32 s38, s2, s5
	s_mul_hi_u32 s24, s2, s4
	s_mul_hi_u32 s17, s3, s4
	s_mul_i32 s4, s3, s4
	s_add_nc_u64 s[38:39], s[24:25], s[38:39]
	s_mul_hi_u32 s21, s3, s5
	s_add_co_u32 s4, s38, s4
	s_add_co_ci_u32 s24, s39, s17
	s_mul_i32 s4, s3, s5
	s_add_co_ci_u32 s5, s21, 0
	s_delay_alu instid0(SALU_CYCLE_1) | instskip(NEXT) | instid1(SALU_CYCLE_1)
	s_add_nc_u64 s[4:5], s[24:25], s[4:5]
	s_add_co_u32 s17, s2, s4
	s_cselect_b32 s2, -1, 0
	s_delay_alu instid0(SALU_CYCLE_1) | instskip(SKIP_2) | instid1(SALU_CYCLE_1)
	s_cmp_lg_u32 s2, 0
	s_add_co_ci_u32 s21, s3, s5
	s_ashr_i32 s2, s1, 31
	s_mov_b32 s3, s2
	s_delay_alu instid0(SALU_CYCLE_1) | instskip(NEXT) | instid1(SALU_CYCLE_1)
	s_add_nc_u64 s[4:5], s[0:1], s[2:3]
	s_xor_b64 s[4:5], s[4:5], s[2:3]
	s_delay_alu instid0(SALU_CYCLE_1)
	s_mul_hi_u32 s39, s4, s21
	s_mul_i32 s38, s4, s21
	s_mul_hi_u32 s24, s4, s17
	s_mul_hi_u32 s29, s5, s17
	s_mul_i32 s17, s5, s17
	s_add_nc_u64 s[38:39], s[24:25], s[38:39]
	s_mul_hi_u32 s1, s5, s21
	s_add_co_u32 s17, s38, s17
	s_add_co_ci_u32 s24, s39, s29
	s_mul_i32 s40, s5, s21
	s_add_co_ci_u32 s41, s1, 0
	s_delay_alu instid0(SALU_CYCLE_1) | instskip(NEXT) | instid1(SALU_CYCLE_1)
	s_add_nc_u64 s[38:39], s[24:25], s[40:41]
	s_and_b64 s[40:41], s[38:39], 0xffffffff00000000
	s_delay_alu instid0(SALU_CYCLE_1) | instskip(NEXT) | instid1(SALU_CYCLE_1)
	s_or_b32 s40, s40, s38
	s_mul_u64 s[38:39], s[6:7], s[40:41]
	s_add_nc_u64 s[42:43], s[40:41], 1
	s_sub_co_u32 s1, s4, s38
	s_cselect_b32 s4, -1, 0
	s_sub_co_i32 s17, s5, s39
	s_cmp_lg_u32 s4, 0
	s_add_nc_u64 s[44:45], s[40:41], 2
	s_sub_co_ci_u32 s17, s17, s7
	s_sub_co_u32 s21, s1, s6
	s_cselect_b32 s24, -1, 0
	s_delay_alu instid0(SALU_CYCLE_1) | instskip(SKIP_1) | instid1(SALU_CYCLE_1)
	s_cmp_lg_u32 s24, 0
	s_sub_co_ci_u32 s17, s17, 0
	s_cmp_ge_u32 s17, s7
	s_cselect_b32 s24, -1, 0
	s_cmp_ge_u32 s21, s6
	s_cselect_b32 s21, -1, 0
	s_cmp_eq_u32 s17, s7
	s_cselect_b32 s17, s21, s24
	s_delay_alu instid0(SALU_CYCLE_1) | instskip(SKIP_4) | instid1(SALU_CYCLE_1)
	s_cmp_lg_u32 s17, 0
	s_cselect_b32 s17, s44, s42
	s_cselect_b32 s21, s45, s43
	s_cmp_lg_u32 s4, 0
	s_sub_co_ci_u32 s4, s5, s39
	s_cmp_ge_u32 s4, s7
	s_cselect_b32 s5, -1, 0
	s_cmp_ge_u32 s1, s6
	s_cselect_b32 s1, -1, 0
	s_cmp_eq_u32 s4, s7
	s_cselect_b32 s1, s1, s5
	s_delay_alu instid0(SALU_CYCLE_1) | instskip(SKIP_3) | instid1(SALU_CYCLE_1)
	s_cmp_lg_u32 s1, 0
	s_cselect_b32 s5, s21, s41
	s_cselect_b32 s4, s17, s40
	s_xor_b64 s[2:3], s[2:3], 0
	s_xor_b64 s[4:5], s[4:5], s[2:3]
	s_delay_alu instid0(SALU_CYCLE_1)
	s_sub_nc_u64 s[40:41], s[4:5], s[2:3]
	s_mov_b32 s2, 0
.LBB67_11:                              ;   in Loop: Header=BB67_9 Depth=1
	s_delay_alu instid0(SALU_CYCLE_1)
	s_and_not1_b32 vcc_lo, exec_lo, s2
	s_cbranch_vccnz .LBB67_13
; %bb.12:                               ;   in Loop: Header=BB67_9 Depth=1
	v_readfirstlane_b32 s1, v7
	s_sub_co_i32 s2, 0, s16
	s_delay_alu instid0(SALU_CYCLE_1) | instskip(NEXT) | instid1(SALU_CYCLE_1)
	s_mul_i32 s2, s2, s1
	s_mul_hi_u32 s2, s1, s2
	s_delay_alu instid0(SALU_CYCLE_1) | instskip(NEXT) | instid1(SALU_CYCLE_1)
	s_add_co_i32 s1, s1, s2
	s_mul_hi_u32 s1, s0, s1
	s_delay_alu instid0(SALU_CYCLE_1) | instskip(NEXT) | instid1(SALU_CYCLE_1)
	s_mul_i32 s2, s1, s16
	s_sub_co_i32 s0, s0, s2
	s_add_co_i32 s2, s1, 1
	s_sub_co_i32 s3, s0, s16
	s_cmp_ge_u32 s0, s16
	s_cselect_b32 s1, s2, s1
	s_cselect_b32 s0, s3, s0
	s_add_co_i32 s2, s1, 1
	s_cmp_ge_u32 s0, s16
	s_cselect_b32 s24, s2, s1
	s_delay_alu instid0(SALU_CYCLE_1)
	s_mov_b64 s[40:41], s[24:25]
.LBB67_13:                              ;   in Loop: Header=BB67_9 Depth=1
	s_delay_alu instid0(SALU_CYCLE_1)
	s_cmp_lg_u32 s20, s40
	s_mov_b32 s0, -1
                                        ; implicit-def: $vgpr4_vgpr5
                                        ; implicit-def: $sgpr24
                                        ; implicit-def: $sgpr17
                                        ; implicit-def: $sgpr21
                                        ; implicit-def: $sgpr29
	s_cbranch_scc0 .LBB67_18
; %bb.14:                               ;   in Loop: Header=BB67_9 Depth=1
	s_add_co_i32 s0, s36, s16
	v_max_num_f32_e64 v4, s28, s28
	s_lshl_b32 s0, s0, 2
	s_mov_b32 s29, s20
	s_add_co_i32 s0, s0, s15
	s_load_b64 s[38:39], s[10:11], s0 offset:0x0 scale_offset
	s_wait_xcnt 0x0
	v_readfirstlane_b32 s0, v4
	s_wait_kmcnt 0x0
	v_max_num_f32_e64 v5, s38, s38
	s_delay_alu instid0(VALU_DEP_1) | instskip(SKIP_1) | instid1(SALU_CYCLE_3)
	v_readfirstlane_b32 s1, v5
	s_max_num_f32 s17, s0, s1
	s_sub_f32 s33, s28, s17
	s_sub_f32 s37, s38, s17
	s_delay_alu instid0(SALU_CYCLE_2)
	s_cmp_nlt_f32 s33, 0xc2ce8ed0
	s_cselect_b32 s1, -1, 0
	s_cmp_ngt_f32 s33, 0x42b17218
	s_cselect_b32 s2, -1, 0
	s_cmp_ge_f32 s33, 0xc1a00000
	s_cselect_b32 s0, -1, 0
	s_cmp_nlt_f32 s37, 0xc2ce8ed0
	s_cselect_b32 s3, -1, 0
	s_cmp_ngt_f32 s37, 0x42b17218
	s_cselect_b32 s4, -1, 0
	s_cmp_ge_f32 s37, 0xc1a00000
	s_cselect_b32 s5, -1, 0
	s_and_b64 s[42:43], s[40:41], s[8:9]
	s_delay_alu instid0(SALU_CYCLE_1) | instskip(NEXT) | instid1(SALU_CYCLE_1)
	s_mul_u64 s[42:43], s[42:43], s[22:23]
	s_add_co_i32 s21, s43, s40
	s_delay_alu instid0(SALU_CYCLE_1) | instskip(NEXT) | instid1(SALU_CYCLE_1)
	s_lshr_b32 s21, s21, s13
	s_mul_i32 s24, s21, s14
	s_delay_alu instid0(SALU_CYCLE_1) | instskip(SKIP_3) | instid1(SALU_CYCLE_1)
	s_cmp_eq_u32 s24, s40
	s_cselect_b32 s24, -1, 0
	s_cmp_lt_u32 s21, s12
	s_cselect_b32 s21, -1, 0
	s_or_b32 s21, s21, s24
	s_mov_b32 s24, -1
	s_and_b32 vcc_lo, exec_lo, s21
	s_mov_b32 s21, s36
	s_cbranch_vccnz .LBB67_16
; %bb.15:                               ;   in Loop: Header=BB67_9 Depth=1
	s_add_co_i32 s21, s36, -1
	s_mov_b32 s24, 0
	s_mov_b32 s29, s40
.LBB67_16:                              ;   in Loop: Header=BB67_9 Depth=1
	v_mad_u32 v4, 0x180, s36, v6
	s_mul_f32 s40, s33, 0x3fb8aa3b
	s_mul_f32 s38, s37, 0x3fb8aa3b
	s_delay_alu instid0(SALU_CYCLE_2)
	s_xor_b32 s42, s40, 0x80000000
	s_rndne_f32 s44, s40
	s_fmamk_f32 s42, s33, 0x3fb8aa3b, s42
	s_xor_b32 s41, s38, 0x80000000
	s_rndne_f32 s43, s38
	s_sub_f32 s40, s40, s44
	global_load_b32 v5, v4, s[26:27] scale_offset
	s_fmamk_f32 s33, s33, 0x32a5705f, s42
	s_fmamk_f32 s41, s37, 0x3fb8aa3b, s41
	s_sub_f32 s38, s38, s43
	s_delay_alu instid0(SALU_CYCLE_1) | instskip(NEXT) | instid1(SALU_CYCLE_1)
	s_add_f32 s33, s40, s33
	s_fmamk_f32 s37, s37, 0x32a5705f, s41
	s_cvt_i32_f32 s40, s44
	s_delay_alu instid0(SALU_CYCLE_1) | instskip(NEXT) | instid1(SALU_CYCLE_1)
	v_s_exp_f32 s33, s33
	s_add_f32 s37, s38, s37
	s_cvt_i32_f32 s38, s43
	s_delay_alu instid0(SALU_CYCLE_2) | instskip(NEXT) | instid1(TRANS32_DEP_2)
	v_s_exp_f32 s37, s37
	v_ldexp_f32 v8, s33, s40
	s_wait_xcnt 0x0
	s_delay_alu instid0(TRANS32_DEP_1) | instskip(NEXT) | instid1(VALU_DEP_2)
	v_ldexp_f32 v4, s37, s38
	v_cndmask_b32_e64 v8, 0, v8, s1
	s_delay_alu instid0(VALU_DEP_1) | instskip(NEXT) | instid1(VALU_DEP_1)
	v_cndmask_b32_e64 v9, 0x7f800000, v8, s2
	v_dual_cndmask_b32 v4, 0, v4, s3 :: v_dual_cndmask_b32 v10, 0, v9, s0
	s_delay_alu instid0(VALU_DEP_1) | instskip(NEXT) | instid1(VALU_DEP_1)
	v_cndmask_b32_e64 v4, 0x7f800000, v4, s4
	v_dual_cndmask_b32 v8, 0, v4, s5 :: v_dual_mov_b32 v4, s39
	s_wait_loadcnt 0x0
	s_delay_alu instid0(VALU_DEP_1) | instskip(NEXT) | instid1(VALU_DEP_1)
	v_pk_mul_f32 v[4:5], v[4:5], v[8:9] op_sel_hi:[1,0]
	v_pk_fma_f32 v[4:5], v[0:1], v[10:11], v[4:5] op_sel_hi:[1,0,1]
	s_cbranch_execz .LBB67_19
.LBB67_17:                              ;   in Loop: Header=BB67_9 Depth=1
	s_and_not1_b32 vcc_lo, exec_lo, s24
	s_cbranch_vccnz .LBB67_20
	s_branch .LBB67_23
.LBB67_18:                              ;   in Loop: Header=BB67_9 Depth=1
	s_and_not1_b32 vcc_lo, exec_lo, s0
	s_cbranch_vccnz .LBB67_17
.LBB67_19:                              ;   in Loop: Header=BB67_9 Depth=1
	s_wait_loadcnt 0x0
	v_mov_b64_e32 v[4:5], v[0:1]
	s_add_co_i32 s21, s36, -1
	s_mov_b32 s29, s20
	s_mov_b32 s17, s28
	s_cbranch_execz .LBB67_23
.LBB67_20:                              ;   in Loop: Header=BB67_9 Depth=1
	s_wait_loadcnt 0x0
	s_delay_alu instid0(VALU_DEP_1)
	v_mov_b64_e32 v[0:1], v[4:5]
	s_mov_b32 s20, s29
	s_mov_b32 s36, s21
	;; [unrolled: 1-line block ×3, first 2 shown]
	s_branch .LBB67_9
.LBB67_21:
                                        ; implicit-def: $sgpr20_sgpr21
	s_branch .LBB67_2
.LBB67_22:
                                        ; implicit-def: $sgpr24_sgpr25
	s_load_b96 s[12:14], s[0:1], 0x44
	s_branch .LBB67_5
.LBB67_23:
	s_delay_alu instid0(VALU_DEP_1) | instskip(SKIP_1) | instid1(VALU_DEP_1)
	v_div_scale_f32 v0, null, v4, v4, v5
	s_wait_loadcnt 0x0
	v_rcp_f32_e32 v1, v0
	v_nop
	s_delay_alu instid0(TRANS32_DEP_1) | instskip(NEXT) | instid1(VALU_DEP_1)
	v_fma_f32 v6, -v0, v1, 1.0
	v_fmac_f32_e32 v1, v6, v1
	v_div_scale_f32 v6, vcc_lo, v5, v4, v5
	s_delay_alu instid0(VALU_DEP_1) | instskip(NEXT) | instid1(VALU_DEP_1)
	v_mul_f32_e32 v7, v6, v1
	v_fma_f32 v8, -v0, v7, v6
	s_delay_alu instid0(VALU_DEP_1) | instskip(NEXT) | instid1(VALU_DEP_1)
	v_fmac_f32_e32 v7, v8, v1
	v_fma_f32 v0, -v0, v7, v6
	s_delay_alu instid0(VALU_DEP_1) | instskip(NEXT) | instid1(VALU_DEP_1)
	v_div_fmas_f32 v0, v0, v1, v7
	v_div_fixup_f32 v0, v0, v4, v5
	global_store_b32 v[2:3], v0, off
.LBB67_24:
	s_endpgm
	.section	.rodata,"a",@progbits
	.p2align	6, 0x0
	.amdhsa_kernel _ZL33flash_attn_stream_k_fixup_generalILi96ELi4ELi1EEvPfPK15HIP_vector_typeIfLj2EEiiiiS1_IjLj3EES5_S5_S5_
		.amdhsa_group_segment_fixed_size 0
		.amdhsa_private_segment_fixed_size 0
		.amdhsa_kernarg_size 336
		.amdhsa_user_sgpr_count 2
		.amdhsa_user_sgpr_dispatch_ptr 0
		.amdhsa_user_sgpr_queue_ptr 0
		.amdhsa_user_sgpr_kernarg_segment_ptr 1
		.amdhsa_user_sgpr_dispatch_id 0
		.amdhsa_user_sgpr_kernarg_preload_length 0
		.amdhsa_user_sgpr_kernarg_preload_offset 0
		.amdhsa_user_sgpr_private_segment_size 0
		.amdhsa_wavefront_size32 1
		.amdhsa_uses_dynamic_stack 0
		.amdhsa_enable_private_segment 0
		.amdhsa_system_sgpr_workgroup_id_x 1
		.amdhsa_system_sgpr_workgroup_id_y 1
		.amdhsa_system_sgpr_workgroup_id_z 1
		.amdhsa_system_sgpr_workgroup_info 0
		.amdhsa_system_vgpr_workitem_id 0
		.amdhsa_next_free_vgpr 12
		.amdhsa_next_free_sgpr 46
		.amdhsa_named_barrier_count 0
		.amdhsa_reserve_vcc 1
		.amdhsa_float_round_mode_32 0
		.amdhsa_float_round_mode_16_64 0
		.amdhsa_float_denorm_mode_32 3
		.amdhsa_float_denorm_mode_16_64 3
		.amdhsa_fp16_overflow 0
		.amdhsa_memory_ordered 1
		.amdhsa_forward_progress 1
		.amdhsa_inst_pref_size 27
		.amdhsa_round_robin_scheduling 0
		.amdhsa_exception_fp_ieee_invalid_op 0
		.amdhsa_exception_fp_denorm_src 0
		.amdhsa_exception_fp_ieee_div_zero 0
		.amdhsa_exception_fp_ieee_overflow 0
		.amdhsa_exception_fp_ieee_underflow 0
		.amdhsa_exception_fp_ieee_inexact 0
		.amdhsa_exception_int_div_zero 0
	.end_amdhsa_kernel
	.section	.text._ZL33flash_attn_stream_k_fixup_generalILi96ELi4ELi1EEvPfPK15HIP_vector_typeIfLj2EEiiiiS1_IjLj3EES5_S5_S5_,"axG",@progbits,_ZL33flash_attn_stream_k_fixup_generalILi96ELi4ELi1EEvPfPK15HIP_vector_typeIfLj2EEiiiiS1_IjLj3EES5_S5_S5_,comdat
.Lfunc_end67:
	.size	_ZL33flash_attn_stream_k_fixup_generalILi96ELi4ELi1EEvPfPK15HIP_vector_typeIfLj2EEiiiiS1_IjLj3EES5_S5_S5_, .Lfunc_end67-_ZL33flash_attn_stream_k_fixup_generalILi96ELi4ELi1EEvPfPK15HIP_vector_typeIfLj2EEiiiiS1_IjLj3EES5_S5_S5_
                                        ; -- End function
	.set _ZL33flash_attn_stream_k_fixup_generalILi96ELi4ELi1EEvPfPK15HIP_vector_typeIfLj2EEiiiiS1_IjLj3EES5_S5_S5_.num_vgpr, 12
	.set _ZL33flash_attn_stream_k_fixup_generalILi96ELi4ELi1EEvPfPK15HIP_vector_typeIfLj2EEiiiiS1_IjLj3EES5_S5_S5_.num_agpr, 0
	.set _ZL33flash_attn_stream_k_fixup_generalILi96ELi4ELi1EEvPfPK15HIP_vector_typeIfLj2EEiiiiS1_IjLj3EES5_S5_S5_.numbered_sgpr, 46
	.set _ZL33flash_attn_stream_k_fixup_generalILi96ELi4ELi1EEvPfPK15HIP_vector_typeIfLj2EEiiiiS1_IjLj3EES5_S5_S5_.num_named_barrier, 0
	.set _ZL33flash_attn_stream_k_fixup_generalILi96ELi4ELi1EEvPfPK15HIP_vector_typeIfLj2EEiiiiS1_IjLj3EES5_S5_S5_.private_seg_size, 0
	.set _ZL33flash_attn_stream_k_fixup_generalILi96ELi4ELi1EEvPfPK15HIP_vector_typeIfLj2EEiiiiS1_IjLj3EES5_S5_S5_.uses_vcc, 1
	.set _ZL33flash_attn_stream_k_fixup_generalILi96ELi4ELi1EEvPfPK15HIP_vector_typeIfLj2EEiiiiS1_IjLj3EES5_S5_S5_.uses_flat_scratch, 0
	.set _ZL33flash_attn_stream_k_fixup_generalILi96ELi4ELi1EEvPfPK15HIP_vector_typeIfLj2EEiiiiS1_IjLj3EES5_S5_S5_.has_dyn_sized_stack, 0
	.set _ZL33flash_attn_stream_k_fixup_generalILi96ELi4ELi1EEvPfPK15HIP_vector_typeIfLj2EEiiiiS1_IjLj3EES5_S5_S5_.has_recursion, 0
	.set _ZL33flash_attn_stream_k_fixup_generalILi96ELi4ELi1EEvPfPK15HIP_vector_typeIfLj2EEiiiiS1_IjLj3EES5_S5_S5_.has_indirect_call, 0
	.section	.AMDGPU.csdata,"",@progbits
; Kernel info:
; codeLenInByte = 3344
; TotalNumSgprs: 48
; NumVgprs: 12
; ScratchSize: 0
; MemoryBound: 0
; FloatMode: 240
; IeeeMode: 1
; LDSByteSize: 0 bytes/workgroup (compile time only)
; SGPRBlocks: 0
; VGPRBlocks: 0
; NumSGPRsForWavesPerEU: 48
; NumVGPRsForWavesPerEU: 12
; NamedBarCnt: 0
; Occupancy: 16
; WaveLimiterHint : 0
; COMPUTE_PGM_RSRC2:SCRATCH_EN: 0
; COMPUTE_PGM_RSRC2:USER_SGPR: 2
; COMPUTE_PGM_RSRC2:TRAP_HANDLER: 0
; COMPUTE_PGM_RSRC2:TGID_X_EN: 1
; COMPUTE_PGM_RSRC2:TGID_Y_EN: 1
; COMPUTE_PGM_RSRC2:TGID_Z_EN: 1
; COMPUTE_PGM_RSRC2:TIDIG_COMP_CNT: 0
	.section	.text._ZL15flash_attn_tileILi96ELi96ELi2ELi1ELb0EEvPKcS1_S1_S1_S1_PKiPfP15HIP_vector_typeIfLj2EEffffjfiS5_IjLj3EEiiiiiiiiiiiliiliiiiil,"axG",@progbits,_ZL15flash_attn_tileILi96ELi96ELi2ELi1ELb0EEvPKcS1_S1_S1_S1_PKiPfP15HIP_vector_typeIfLj2EEffffjfiS5_IjLj3EEiiiiiiiiiiiliiliiiiil,comdat
	.globl	_ZL15flash_attn_tileILi96ELi96ELi2ELi1ELb0EEvPKcS1_S1_S1_S1_PKiPfP15HIP_vector_typeIfLj2EEffffjfiS5_IjLj3EEiiiiiiiiiiiliiliiiiil ; -- Begin function _ZL15flash_attn_tileILi96ELi96ELi2ELi1ELb0EEvPKcS1_S1_S1_S1_PKiPfP15HIP_vector_typeIfLj2EEffffjfiS5_IjLj3EEiiiiiiiiiiiliiliiiiil
	.p2align	8
	.type	_ZL15flash_attn_tileILi96ELi96ELi2ELi1ELb0EEvPKcS1_S1_S1_S1_PKiPfP15HIP_vector_typeIfLj2EEffffjfiS5_IjLj3EEiiiiiiiiiiiliiliiiiil,@function
_ZL15flash_attn_tileILi96ELi96ELi2ELi1ELb0EEvPKcS1_S1_S1_S1_PKiPfP15HIP_vector_typeIfLj2EEffffjfiS5_IjLj3EEiiiiiiiiiiiliiliiiiil: ; @_ZL15flash_attn_tileILi96ELi96ELi2ELi1ELb0EEvPKcS1_S1_S1_S1_PKiPfP15HIP_vector_typeIfLj2EEffffjfiS5_IjLj3EEiiiiiiiiiiiliiliiiiil
; %bb.0:
	s_clause 0x1
	s_load_b128 s[20:23], s[0:1], 0x5c
	s_load_b64 s[34:35], s[0:1], 0x80
	s_bfe_u32 s4, ttmp6, 0x40014
	s_lshr_b32 s3, ttmp7, 16
	s_add_co_i32 s4, s4, 1
	s_bfe_u32 s5, ttmp6, 0x40008
	s_mul_i32 s4, s3, s4
	s_getreg_b32 s38, hwreg(HW_REG_IB_STS2, 6, 4)
	s_add_co_i32 s5, s5, s4
	s_mov_b32 s37, 0
	s_mov_b64 s[30:31], 0
	s_wait_kmcnt 0x0
	s_cvt_f32_u32 s2, s23
	s_sub_co_i32 s6, 0, s23
	s_delay_alu instid0(SALU_CYCLE_2) | instskip(SKIP_1) | instid1(TRANS32_DEP_1)
	v_rcp_iflag_f32_e32 v1, s2
	v_nop
	v_readfirstlane_b32 s2, v1
	s_mul_f32 s2, s2, 0x4f7ffffe
	s_delay_alu instid0(SALU_CYCLE_3) | instskip(NEXT) | instid1(SALU_CYCLE_3)
	s_cvt_u32_f32 s2, s2
	s_mul_i32 s6, s6, s2
	s_delay_alu instid0(SALU_CYCLE_1) | instskip(NEXT) | instid1(SALU_CYCLE_1)
	s_mul_hi_u32 s6, s2, s6
	s_add_co_i32 s2, s2, s6
	s_cmp_eq_u32 s38, 0
	s_cselect_b32 s3, s3, s5
	s_delay_alu instid0(SALU_CYCLE_1) | instskip(NEXT) | instid1(SALU_CYCLE_1)
	s_mul_hi_u32 s2, s3, s2
	s_mul_i32 s4, s2, s23
	s_add_co_i32 s5, s2, 1
	s_sub_co_i32 s4, s3, s4
	s_delay_alu instid0(SALU_CYCLE_1)
	s_sub_co_i32 s6, s4, s23
	s_cmp_ge_u32 s4, s23
	s_cselect_b32 s2, s5, s2
	s_cselect_b32 s4, s6, s4
	s_add_co_i32 s5, s2, 1
	s_cmp_ge_u32 s4, s23
	s_cselect_b32 s28, s5, s2
	s_abs_i32 s2, s35
	s_abs_i32 s7, s23
	s_cvt_f32_u32 s4, s2
	s_sub_co_i32 s5, 0, s2
	s_xor_b32 s6, s23, s35
	s_delay_alu instid0(SALU_CYCLE_1) | instskip(SKIP_2) | instid1(TRANS32_DEP_1)
	v_rcp_iflag_f32_e32 v1, s4
	s_ashr_i32 s6, s6, 31
	v_nop
	v_readfirstlane_b32 s4, v1
	s_mul_f32 s4, s4, 0x4f7ffffe
	s_delay_alu instid0(SALU_CYCLE_3) | instskip(NEXT) | instid1(SALU_CYCLE_3)
	s_cvt_u32_f32 s4, s4
	s_mul_i32 s5, s5, s4
	s_delay_alu instid0(SALU_CYCLE_1) | instskip(NEXT) | instid1(SALU_CYCLE_1)
	s_mul_hi_u32 s5, s4, s5
	s_add_co_i32 s4, s4, s5
	s_mul_i32 s5, s28, s23
	s_mul_hi_u32 s4, s7, s4
	s_sub_co_i32 s33, s3, s5
	s_mul_i32 s8, s4, s2
	s_add_co_i32 s5, s4, 1
	s_sub_co_i32 s3, s7, s8
	s_delay_alu instid0(SALU_CYCLE_1)
	s_sub_co_i32 s7, s3, s2
	s_cmp_ge_u32 s3, s2
	s_cselect_b32 s4, s5, s4
	s_cselect_b32 s3, s7, s3
	s_add_co_i32 s5, s4, 1
	s_cmp_ge_u32 s3, s2
	s_cselect_b32 s2, s5, s4
	s_delay_alu instid0(SALU_CYCLE_1) | instskip(NEXT) | instid1(SALU_CYCLE_1)
	s_xor_b32 s2, s2, s6
	s_sub_co_i32 s29, s2, s6
	s_delay_alu instid0(SALU_CYCLE_1) | instskip(NEXT) | instid1(SALU_CYCLE_1)
	s_abs_i32 s39, s29
	s_cvt_f32_u32 s2, s39
	s_delay_alu instid0(SALU_CYCLE_3) | instskip(SKIP_4) | instid1(TRANS32_DEP_1)
	v_rcp_iflag_f32_e32 v1, s2
	s_clause 0x1
	s_load_b512 s[4:19], s[0:1], 0x0
	s_load_b64 s[2:3], s[0:1], 0xb8
	v_nop
	v_readfirstlane_b32 s24, v1
	s_mul_f32 s24, s24, 0x4f7ffffe
	s_delay_alu instid0(SALU_CYCLE_3) | instskip(SKIP_4) | instid1(SALU_CYCLE_1)
	s_cvt_u32_f32 s35, s24
	s_sub_co_i32 s24, 0, s39
	s_wait_kmcnt 0x0
	s_cmp_eq_u64 s[10:11], 0
	s_mul_i32 s24, s24, s35
	s_mul_hi_u32 s40, s35, s24
	s_cbranch_scc1 .LBB68_2
; %bb.1:
	s_abs_i32 s2, s2
	s_abs_i32 s26, s28
	s_cvt_f32_u32 s24, s2
	s_sub_co_i32 s25, 0, s2
	s_delay_alu instid0(SALU_CYCLE_2) | instskip(SKIP_1) | instid1(TRANS32_DEP_1)
	v_rcp_iflag_f32_e32 v1, s24
	v_nop
	v_readfirstlane_b32 s24, v1
	s_mul_f32 s24, s24, 0x4f7ffffe
	s_delay_alu instid0(SALU_CYCLE_3) | instskip(NEXT) | instid1(SALU_CYCLE_3)
	s_cvt_u32_f32 s24, s24
	s_mul_i32 s25, s25, s24
	s_delay_alu instid0(SALU_CYCLE_1) | instskip(NEXT) | instid1(SALU_CYCLE_1)
	s_mul_hi_u32 s25, s24, s25
	s_add_co_i32 s24, s24, s25
	s_delay_alu instid0(SALU_CYCLE_1) | instskip(SKIP_2) | instid1(SALU_CYCLE_1)
	s_mul_hi_u32 s27, s26, s24
	s_load_b64 s[24:25], s[0:1], 0xc8
	s_mul_i32 s27, s27, s2
	s_sub_co_i32 s26, s26, s27
	s_ashr_i32 s27, s28, 31
	s_sub_co_i32 s30, s26, s2
	s_cmp_ge_u32 s26, s2
	s_cselect_b32 s26, s30, s26
	s_delay_alu instid0(SALU_CYCLE_1) | instskip(SKIP_2) | instid1(SALU_CYCLE_1)
	s_sub_co_i32 s30, s26, s2
	s_cmp_ge_u32 s26, s2
	s_cselect_b32 s2, s30, s26
	s_xor_b32 s2, s2, s27
	s_delay_alu instid0(SALU_CYCLE_1) | instskip(NEXT) | instid1(SALU_CYCLE_1)
	s_sub_co_i32 s26, s2, s27
	s_ashr_i32 s27, s26, 31
	s_wait_kmcnt 0x0
	s_mul_u64 s[24:25], s[24:25], s[26:27]
	s_delay_alu instid0(SALU_CYCLE_1)
	s_add_nc_u64 s[30:31], s[10:11], s[24:25]
.LBB68_2:
	s_clause 0x1
	s_load_b128 s[24:27], s[0:1], 0x40
	s_load_b32 s2, s[0:1], 0x50
	s_abs_i32 s36, s33
	s_add_co_i32 s10, s35, s40
	v_mov_b32_e32 v29, 1.0
	s_wait_kmcnt 0x0
	s_cmp_le_f32 s25, 0
	s_cbranch_scc1 .LBB68_4
; %bb.3:
	v_sub_co_u32 v1, s2, s33, s2
	s_and_b32 s35, s2, exec_lo
	s_cselect_b32 s26, s26, s27
	s_add_co_i32 s27, s33, 1
	v_readfirstlane_b32 s11, v1
	s_lshl_b32 s11, s11, 1
	s_delay_alu instid0(SALU_CYCLE_1) | instskip(SKIP_4) | instid1(SALU_CYCLE_3)
	s_or_b32 s11, s11, 1
	s_and_b32 s2, s2, exec_lo
	s_cselect_b32 s2, s27, s11
	s_cmp_neq_f32 s26, 1.0
	s_cvt_f32_i32 s2, s2
	s_cselect_b32 s11, s2, 1.0
	s_delay_alu instid0(SALU_CYCLE_1) | instskip(SKIP_1) | instid1(SALU_CYCLE_1)
	s_cmp_neq_f32 s11, 0
	s_cselect_b32 s2, s26, 1.0
	v_cvt_f64_f32_e64 v[2:3], |s2|
	s_delay_alu instid0(VALU_DEP_1) | instskip(SKIP_1) | instid1(VALU_DEP_1)
	v_frexp_exp_i32_f64_e32 v1, v[2:3]
	v_frexp_mant_f32_e64 v2, |s2|
	v_readfirstlane_b32 s26, v2
	s_cmp_lt_f32 s26, 0x3f2aaaab
	s_cselect_b32 vcc_lo, -1, 0
	s_delay_alu instid0(SALU_CYCLE_1) | instskip(SKIP_1) | instid1(SALU_CYCLE_1)
	s_and_b32 s27, vcc_lo, exec_lo
	s_cselect_b32 s27, 2.0, 1.0
	s_mul_f32 s26, s26, s27
	s_delay_alu instid0(SALU_CYCLE_3) | instskip(SKIP_1) | instid1(SALU_CYCLE_2)
	s_add_f32 s27, s26, 1.0
	s_add_f32 s40, s26, -1.0
	v_s_rcp_f32 s35, s27
	s_add_f32 s43, s27, -1.0
	v_subrev_co_ci_u32_e64 v1, null, 0, v1, vcc_lo
	s_delay_alu instid0(SALU_CYCLE_2) | instskip(NEXT) | instid1(TRANS32_DEP_1)
	s_sub_f32 s26, s26, s43
	s_mul_f32 s41, s40, s35
	v_cvt_f32_i32_e32 v1, v1
	s_delay_alu instid0(SALU_CYCLE_2) | instskip(NEXT) | instid1(SALU_CYCLE_3)
	s_mul_f32 s42, s27, s41
	v_dual_mov_b32 v3, s40 :: v_dual_mov_b32 v4, s42
	s_xor_b32 s44, s42, 0x80000000
	s_delay_alu instid0(SALU_CYCLE_1) | instskip(NEXT) | instid1(SALU_CYCLE_3)
	s_fmac_f32 s44, s41, s27
	s_fmac_f32 s44, s41, s26
	s_delay_alu instid0(SALU_CYCLE_3) | instskip(SKIP_2) | instid1(SALU_CYCLE_1)
	s_add_f32 s26, s42, s44
	v_mov_b32_e32 v6, s44
	s_mov_b32 s42, 0x3e76c4e1
	s_sub_f32 s27, s40, s26
	v_dual_mov_b32 v2, s26 :: v_dual_mov_b32 v7, s26
	s_delay_alu instid0(SALU_CYCLE_2) | instskip(NEXT) | instid1(VALU_DEP_1)
	v_mov_b32_e32 v5, s27
	v_pk_add_f32 v[2:3], v[2:3], v[4:5] neg_lo:[0,1] neg_hi:[0,1]
	s_delay_alu instid0(VALU_DEP_1) | instskip(NEXT) | instid1(VALU_DEP_1)
	v_pk_add_f32 v[2:3], v[2:3], v[6:7] neg_lo:[0,1] neg_hi:[0,1]
	v_readfirstlane_b32 s26, v3
	s_delay_alu instid0(VALU_DEP_2) | instskip(SKIP_1) | instid1(SALU_CYCLE_3)
	v_readfirstlane_b32 s40, v2
	s_add_f32 s26, s40, s26
	s_add_f32 s26, s27, s26
	s_delay_alu instid0(SALU_CYCLE_3) | instskip(NEXT) | instid1(SALU_CYCLE_3)
	s_mul_f32 s27, s35, s26
	s_add_f32 s26, s41, s27
	s_delay_alu instid0(SALU_CYCLE_3) | instskip(SKIP_1) | instid1(SALU_CYCLE_2)
	s_sub_f32 s35, s26, s41
	s_mul_f32 s41, s26, s26
	s_sub_f32 s35, s27, s35
	s_delay_alu instid0(SALU_CYCLE_2) | instskip(NEXT) | instid1(SALU_CYCLE_1)
	s_xor_b32 s27, s41, 0x80000000
	s_fmac_f32 s27, s26, s26
	s_delay_alu instid0(SALU_CYCLE_1) | instskip(NEXT) | instid1(SALU_CYCLE_3)
	s_add_f32 s40, s35, s35
	s_fmac_f32 s27, s26, s40
	s_delay_alu instid0(SALU_CYCLE_3) | instskip(NEXT) | instid1(SALU_CYCLE_3)
	s_add_f32 s40, s41, s27
	s_fmaak_f32 s42, s40, s42, 0x3e91f4c4
	s_sub_f32 s41, s40, s41
	s_delay_alu instid0(SALU_CYCLE_2) | instskip(NEXT) | instid1(SALU_CYCLE_2)
	s_fmaak_f32 s42, s40, s42, 0x3ecccdef
	s_sub_f32 s45, s27, s41
	s_delay_alu instid0(SALU_CYCLE_2) | instskip(NEXT) | instid1(SALU_CYCLE_3)
	s_mul_f32 s43, s40, s42
	s_xor_b32 s44, s43, 0x80000000
	s_delay_alu instid0(SALU_CYCLE_1) | instskip(NEXT) | instid1(SALU_CYCLE_3)
	s_fmac_f32 s44, s40, s42
	s_fmac_f32 s44, s45, s42
	s_delay_alu instid0(SALU_CYCLE_3) | instskip(NEXT) | instid1(SALU_CYCLE_3)
	s_add_f32 s41, s43, s44
	s_sub_f32 s27, s41, s43
	s_add_f32 s42, s41, 0x3f2aaaaa
	s_delay_alu instid0(SALU_CYCLE_2) | instskip(NEXT) | instid1(SALU_CYCLE_2)
	s_sub_f32 s27, s44, s27
	s_add_f32 s43, s42, 0xbf2aaaaa
	s_delay_alu instid0(SALU_CYCLE_2) | instskip(NEXT) | instid1(SALU_CYCLE_2)
	s_add_f32 s27, s27, 0x31739010
	s_sub_f32 s41, s41, s43
	s_delay_alu instid0(SALU_CYCLE_2) | instskip(NEXT) | instid1(SALU_CYCLE_2)
	v_mov_b64_e32 v[2:3], s[26:27]
	v_mov_b64_e32 v[4:5], s[40:41]
	s_delay_alu instid0(VALU_DEP_1) | instskip(SKIP_2) | instid1(VALU_DEP_3)
	v_pk_mul_f32 v[6:7], v[2:3], v[4:5]
	v_pk_add_f32 v[2:3], v[2:3], v[4:5]
	v_mov_b32_e32 v9, s42
	v_xor_b32_e32 v8, 0x80000000, v6
	s_delay_alu instid0(VALU_DEP_3) | instskip(NEXT) | instid1(VALU_DEP_2)
	v_mov_b32_e32 v7, v3
	v_fmac_f32_e64 v8, s40, s26
	s_delay_alu instid0(VALU_DEP_1) | instskip(NEXT) | instid1(VALU_DEP_1)
	v_fmac_f32_e64 v8, s40, s35
	v_fmac_f32_e64 v8, s45, s26
	s_delay_alu instid0(VALU_DEP_1) | instskip(NEXT) | instid1(VALU_DEP_1)
	v_pk_add_f32 v[4:5], v[6:7], v[8:9]
	v_dual_mov_b32 v2, v5 :: v_dual_sub_f32 v7, s42, v5
	v_mul_f32_e32 v12, 0x3f317218, v1
	s_delay_alu instid0(VALU_DEP_2) | instskip(NEXT) | instid1(VALU_DEP_3)
	v_pk_mul_f32 v[10:11], v[4:5], v[2:3]
	v_add_f32_e32 v3, v3, v7
	s_delay_alu instid0(VALU_DEP_3) | instskip(NEXT) | instid1(VALU_DEP_3)
	v_xor_b32_e32 v7, 0x80000000, v12
	v_xor_b32_e32 v2, 0x80000000, v10
	s_delay_alu instid0(VALU_DEP_2) | instskip(NEXT) | instid1(VALU_DEP_2)
	v_dual_sub_f32 v6, v4, v6 :: v_dual_fmac_f32 v7, 0x3f317218, v1
	v_fmac_f32_e32 v2, v4, v5
	s_delay_alu instid0(VALU_DEP_2) | instskip(NEXT) | instid1(VALU_DEP_2)
	v_sub_f32_e32 v6, v8, v6
	v_fmac_f32_e32 v2, v4, v3
	s_delay_alu instid0(VALU_DEP_1) | instskip(SKIP_3) | instid1(VALU_DEP_2)
	v_fmac_f32_e32 v2, v6, v5
	v_fmamk_f32 v4, v1, 0xb102e308, v7
	v_ldexp_f32 v5, s26, 1
	v_ldexp_f32 v1, s35, 1
	v_dual_add_f32 v13, v10, v2 :: v_dual_mov_b32 v11, v5
	s_delay_alu instid0(VALU_DEP_1) | instskip(SKIP_1) | instid1(VALU_DEP_2)
	v_pk_add_f32 v[6:7], v[12:13], v[4:5]
	v_dual_mov_b32 v8, v13 :: v_dual_mov_b32 v3, v13
	v_dual_mov_b32 v9, v7 :: v_dual_mov_b32 v5, v6
	v_mov_b32_e32 v14, v7
	s_delay_alu instid0(VALU_DEP_2) | instskip(NEXT) | instid1(VALU_DEP_1)
	v_pk_add_f32 v[8:9], v[8:9], v[10:11] neg_lo:[0,1] neg_hi:[0,1]
	v_pk_add_f32 v[2:3], v[2:3], v[8:9] neg_lo:[0,1] neg_hi:[0,1]
	s_delay_alu instid0(VALU_DEP_1) | instskip(NEXT) | instid1(VALU_DEP_1)
	v_add_f32_e32 v1, v1, v2
	v_add_f32_e32 v13, v1, v3
	s_delay_alu instid0(VALU_DEP_1) | instskip(SKIP_1) | instid1(VALU_DEP_2)
	v_pk_add_f32 v[2:3], v[6:7], v[12:13]
	v_pk_add_f32 v[8:9], v[6:7], v[12:13] neg_lo:[0,1] neg_hi:[0,1]
	v_mov_b32_e32 v9, v3
	s_delay_alu instid0(VALU_DEP_1) | instskip(SKIP_2) | instid1(VALU_DEP_3)
	v_pk_add_f32 v[10:11], v[4:5], v[8:9]
	v_pk_add_f32 v[4:5], v[4:5], v[8:9] neg_lo:[0,1] neg_hi:[0,1]
	v_dual_mov_b32 v16, v3 :: v_dual_mov_b32 v5, v6
	v_dual_mov_b32 v12, v11 :: v_dual_mov_b32 v17, v11
	s_delay_alu instid0(VALU_DEP_3) | instskip(NEXT) | instid1(VALU_DEP_2)
	v_readfirstlane_b32 s26, v4
	v_pk_add_f32 v[8:9], v[12:13], v[6:7] neg_lo:[0,1] neg_hi:[0,1]
	s_delay_alu instid0(VALU_DEP_2) | instskip(NEXT) | instid1(VALU_DEP_2)
	v_dual_mov_b32 v4, v13 :: v_dual_mov_b32 v10, s26
	v_dual_mov_b32 v15, v8 :: v_dual_mov_b32 v1, v8
	s_delay_alu instid0(VALU_DEP_1) | instskip(NEXT) | instid1(VALU_DEP_2)
	v_pk_add_f32 v[6:7], v[16:17], v[14:15] neg_lo:[0,1] neg_hi:[0,1]
	v_pk_add_f32 v[2:3], v[2:3], v[0:1] neg_lo:[0,1] neg_hi:[0,1]
	v_mov_b32_e32 v2, s26
	s_delay_alu instid0(VALU_DEP_3) | instskip(NEXT) | instid1(VALU_DEP_1)
	v_pk_add_f32 v[4:5], v[4:5], v[6:7] neg_lo:[0,1] neg_hi:[0,1]
	v_pk_add_f32 v[2:3], v[2:3], v[4:5]
	s_delay_alu instid0(VALU_DEP_1) | instskip(NEXT) | instid1(VALU_DEP_2)
	v_readfirstlane_b32 s27, v2
	v_mov_b32_e32 v6, v3
	s_delay_alu instid0(VALU_DEP_1) | instskip(NEXT) | instid1(VALU_DEP_3)
	v_pk_add_f32 v[6:7], v[2:3], v[6:7]
	v_mov_b32_e32 v2, s27
	s_delay_alu instid0(VALU_DEP_2) | instskip(SKIP_1) | instid1(VALU_DEP_2)
	v_pk_add_f32 v[8:9], v[12:13], v[6:7]
	v_mov_b32_e32 v5, v6
	v_readfirstlane_b32 s35, v8
	s_delay_alu instid0(VALU_DEP_1) | instskip(NEXT) | instid1(VALU_DEP_1)
	v_mov_b32_e32 v3, s35
	v_pk_add_f32 v[2:3], v[2:3], v[10:11] neg_lo:[0,1] neg_hi:[0,1]
	s_delay_alu instid0(VALU_DEP_1) | instskip(NEXT) | instid1(VALU_DEP_2)
	v_readfirstlane_b32 s40, v2
	v_pk_add_f32 v[2:3], v[4:5], v[2:3] neg_lo:[0,1] neg_hi:[0,1]
	s_sub_f32 s27, s27, s40
	s_delay_alu instid0(VALU_DEP_1) | instskip(NEXT) | instid1(SALU_CYCLE_2)
	v_readfirstlane_b32 s40, v2
	s_sub_f32 s26, s26, s27
	v_readfirstlane_b32 s27, v3
	s_delay_alu instid0(SALU_CYCLE_2) | instskip(NEXT) | instid1(SALU_CYCLE_3)
	s_add_f32 s26, s40, s26
	s_add_f32 s26, s26, s27
	s_delay_alu instid0(SALU_CYCLE_3) | instskip(NEXT) | instid1(SALU_CYCLE_3)
	s_add_f32 s27, s35, s26
	s_mul_f32 s40, s11, s27
	s_sub_f32 s35, s27, s35
	s_delay_alu instid0(SALU_CYCLE_2) | instskip(NEXT) | instid1(SALU_CYCLE_2)
	s_xor_b32 s41, s40, 0x80000000
	s_sub_f32 s26, s26, s35
	s_fmac_f32 s41, s11, s27
	s_delay_alu instid0(SALU_CYCLE_3) | instskip(SKIP_1) | instid1(SALU_CYCLE_2)
	s_fmac_f32 s41, s11, s26
	v_cmp_class_f32_e64 s26, s40, 0x204
	s_add_f32 s27, s40, s41
	s_and_b32 s26, s26, exec_lo
	s_delay_alu instid0(SALU_CYCLE_2) | instskip(SKIP_1) | instid1(SALU_CYCLE_1)
	s_sub_f32 s26, s27, s40
	s_cselect_b32 s27, s40, s27
	s_and_b32 s35, s27, 0x7fffffff
	s_delay_alu instid0(SALU_CYCLE_1) | instskip(SKIP_1) | instid1(SALU_CYCLE_2)
	s_sub_f32 s26, s41, s26
	s_cmp_neq_f32 s35, 0x7f800000
	s_cselect_b32 s26, s26, 0
	s_cmp_eq_f32 s27, 0x42b17218
	s_cselect_b32 s35, 0x37000000, 0
	s_delay_alu instid0(SALU_CYCLE_1) | instskip(SKIP_1) | instid1(SALU_CYCLE_2)
	s_sub_f32 s27, s27, s35
	s_add_f32 s26, s35, s26
	s_mul_f32 s40, s27, 0x3fb8aa3b
	s_delay_alu instid0(SALU_CYCLE_3) | instskip(SKIP_3) | instid1(SALU_CYCLE_1)
	s_xor_b32 s41, s40, 0x80000000
	s_rndne_f32 s42, s40
	s_fmamk_f32 s41, s27, 0x3fb8aa3b, s41
	s_cmp_nlt_f32 s27, 0xc2ce8ed0
	s_sub_f32 s40, s40, s42
	s_delay_alu instid0(SALU_CYCLE_1)
	s_fmamk_f32 s41, s27, 0x32a5705f, s41
	s_cselect_b32 vcc_lo, -1, 0
	s_cmp_ngt_f32 s27, 0x42b17218
	s_trunc_f32 s27, s11
	s_add_f32 s40, s40, s41
	s_cvt_i32_f32 s41, s42
	s_delay_alu instid0(SALU_CYCLE_2)
	v_s_exp_f32 s40, s40
	v_nop
	s_delay_alu instid0(TRANS32_DEP_1) | instid1(SALU_CYCLE_1)
	v_ldexp_f32 v1, s40, s41
	s_mul_f32 s40, s11, 0.5
	s_delay_alu instid0(VALU_DEP_1) | instskip(SKIP_3) | instid1(VALU_DEP_1)
	v_cndmask_b32_e32 v1, 0, v1, vcc_lo
	s_cselect_b32 vcc_lo, -1, 0
	s_cmp_eq_f32 s27, s11
	s_trunc_f32 s41, s40
	v_cndmask_b32_e32 v1, 0x7f800000, v1, vcc_lo
	s_cselect_b32 s42, -1, 0
	s_delay_alu instid0(SALU_CYCLE_1) | instskip(NEXT) | instid1(VALU_DEP_1)
	s_cmp_neq_f32 s41, s40
	v_fma_f32 v2, s26, v1, v1
	v_cmp_class_f32_e64 vcc_lo, v1, 0x204
	s_cselect_b32 s35, -1, 0
	s_delay_alu instid0(SALU_CYCLE_1)
	s_and_b32 s26, s42, s35
	v_cndmask_b32_e32 v1, v2, v1, vcc_lo
	s_and_b32 s35, s26, exec_lo
	s_cselect_b32 s35, s2, 1.0
	s_cmp_eq_f32 s27, s11
	v_cmp_class_f32_e64 s27, s2, 0x204
	v_bfi_b32 v1, 0x7fffffff, v1, s35
	s_cselect_b32 vcc_lo, -1, 0
	s_cmp_lt_f32 s2, 0
	s_delay_alu instid0(VALU_DEP_1) | instskip(SKIP_2) | instid1(VALU_DEP_1)
	v_cndmask_b32_e32 v2, 0x7fc00000, v1, vcc_lo
	s_cselect_b32 vcc_lo, -1, 0
	s_cmp_eq_f32 s2, 0
	v_cndmask_b32_e32 v1, v1, v2, vcc_lo
	s_cselect_b32 s35, -1, 0
	s_delay_alu instid0(SALU_CYCLE_1) | instskip(SKIP_2) | instid1(SALU_CYCLE_1)
	s_or_b32 vcc_lo, s35, s27
	s_cmp_lt_f32 s11, 0
	s_cselect_b32 s11, -1, 0
	s_xor_b32 s11, s11, s35
	s_delay_alu instid0(SALU_CYCLE_1)
	s_and_b32 s11, s11, exec_lo
	s_cselect_b32 s11, 0, 0x7f800000
	s_and_b32 s26, s26, exec_lo
	s_cselect_b32 s26, s2, 0
	s_cmp_o_f32 s2, s2
	v_mov_b32_e32 v2, s26
	s_delay_alu instid0(VALU_DEP_1) | instskip(NEXT) | instid1(VALU_DEP_1)
	v_bfi_b32 v2, 0x7fffffff, s11, v2
	v_cndmask_b32_e32 v1, v1, v2, vcc_lo
	s_cselect_b32 vcc_lo, -1, 0
	s_delay_alu instid0(VALU_DEP_1)
	v_cndmask_b32_e32 v29, 0x7fc00000, v1, vcc_lo
.LBB68_4:
	s_bfe_u32 s2, ttmp6, 0x4000c
	s_and_b32 s11, ttmp6, 15
	s_add_co_i32 s2, s2, 1
	v_bfe_u32 v25, v0, 10, 10
	s_mul_i32 s2, ttmp9, s2
	v_and_b32_e32 v22, 0x3ff, v0
	s_add_co_i32 s11, s11, s2
	s_cmp_eq_u32 s38, 0
	s_movk_i32 s27, 0xc0
	s_cselect_b32 s26, ttmp9, s11
	v_cmp_gt_u32_e64 s2, 24, v22
	s_lshl_b32 s11, s26, 1
	v_mad_u32_u24 v30, v25, s27, 0xe80
	v_dual_lshlrev_b32 v1, 3, v22 :: v_dual_add_nc_u32 v23, s11, v25
	v_lshlrev_b32_e32 v2, 4, v22
	s_mov_b32 s11, s37
	s_and_saveexec_b32 s27, s2
	s_cbranch_execz .LBB68_6
; %bb.5:
	v_mul_hi_u32 v0, s20, v23
	s_load_b96 s[40:42], s[0:1], 0x70
	v_mov_b32_e32 v5, 0
	s_delay_alu instid0(VALU_DEP_1) | instskip(NEXT) | instid1(VALU_DEP_1)
	v_dual_mov_b32 v3, v5 :: v_dual_add_nc_u32 v0, v23, v0
	v_lshrrev_b32_e32 v0, s21, v0
	s_wait_kmcnt 0x0
	s_mul_i32 s44, s33, s41
	s_delay_alu instid0(VALU_DEP_1) | instskip(SKIP_3) | instid1(VALU_DEP_1)
	v_mul_lo_u32 v0, v0, s22
	s_ashr_i32 s41, s40, 31
	s_ashr_i32 s45, s44, 31
	s_lshr_b64 s[40:41], s[40:41], 2
	v_sub_nc_u32_e32 v4, v23, v0
	s_delay_alu instid0(VALU_DEP_1) | instskip(SKIP_1) | instid1(SALU_CYCLE_1)
	v_mul_u64_e32 v[6:7], s[40:41], v[4:5]
	s_mul_i32 s40, s28, s42
	s_ashr_i32 s41, s40, 31
	s_delay_alu instid0(SALU_CYCLE_1) | instskip(NEXT) | instid1(SALU_CYCLE_1)
	s_add_nc_u64 s[4:5], s[4:5], s[40:41]
	s_add_nc_u64 s[4:5], s[4:5], s[44:45]
	s_delay_alu instid0(VALU_DEP_1) | instid1(SALU_CYCLE_1)
	v_lshl_add_u64 v[4:5], v[6:7], 2, s[4:5]
	s_delay_alu instid0(VALU_DEP_1) | instskip(SKIP_3) | instid1(VALU_DEP_1)
	v_add_nc_u64_e32 v[4:5], v[4:5], v[2:3]
	global_load_b128 v[4:7], v[4:5], off
	s_wait_loadcnt 0x0
	v_fma_mixlo_f16 v0, s24, v4, 0
	v_and_b32_e32 v0, 0xffff, v0
	v_mov_b32_e32 v4, v7
	s_delay_alu instid0(VALU_DEP_1) | instskip(NEXT) | instid1(VALU_DEP_1)
	v_pk_mul_f32 v[4:5], s[24:25], v[4:5] op_sel_hi:[0,1]
	v_cvt_pk_f16_f32 v3, v4, v5
	v_fma_mixlo_f16 v4, s24, v6, 0
	v_add_nc_u32_e32 v6, v30, v1
	s_delay_alu instid0(VALU_DEP_3) | instskip(NEXT) | instid1(VALU_DEP_3)
	v_and_b32_e32 v5, 0xffff0000, v3
	v_and_b32_e32 v4, 0xffff, v4
	s_delay_alu instid0(VALU_DEP_2) | instskip(NEXT) | instid1(VALU_DEP_1)
	v_dual_lshlrev_b32 v3, 16, v3 :: v_dual_bitop2_b32 v0, v5, v0 bitop3:0x54
	v_or3_b32 v5, v3, v4, 0
	s_delay_alu instid0(VALU_DEP_2)
	v_or3_b32 v4, 0, 0, v0
	ds_store_b64 v6, v[4:5]
.LBB68_6:
	s_or_b32 exec_lo, exec_lo, s27
	s_ashr_i32 s40, s33, 31
	s_ashr_i32 s41, s29, 31
	s_mul_u64 s[4:5], s[36:37], s[10:11]
	s_cmp_eq_u64 s[14:15], 0
	s_wait_dscnt 0x0
	s_barrier_signal -1
	s_barrier_wait -1
	s_cbranch_scc1 .LBB68_8
; %bb.7:
	s_load_b32 s4, s[0:1], 0xd0
	s_wait_kmcnt 0x0
	s_mul_i32 s4, s4, s28
	s_delay_alu instid0(SALU_CYCLE_1)
	s_add_co_i32 s4, s4, s26
	s_load_b32 s34, s[14:15], s4 offset:0x0 scale_offset
.LBB68_8:
	s_clause 0x1
	s_load_b64 s[10:11], s[0:1], 0x8c
	s_load_b128 s[24:27], s[0:1], 0x98
	s_wait_xcnt 0x0
	s_load_b64 s[14:15], s[0:1], 0xa8
	s_mul_i32 s4, s5, s39
	s_ashr_i32 s35, s3, 1
	s_xor_b32 s3, s40, s41
	s_sub_co_i32 s41, s36, s4
	s_ashr_i32 s29, s28, 31
	s_add_co_i32 s40, s5, 1
	s_sub_co_i32 s42, s41, s39
	v_dual_lshrrev_b32 v33, 1, v22 :: v_dual_lshrrev_b32 v3, 2, v22
	v_mul_u32_u24_e32 v31, 0x70, v22
	v_lshrrev_b32_e32 v28, 3, v22
	v_mbcnt_lo_u32_b32 v24, -1, 0
	s_wait_kmcnt 0x0
	s_ashr_i32 s4, s10, 2
	s_ashr_i32 s10, s26, 2
	s_cmp_ge_u32 s41, s39
	s_mul_u64 s[36:37], s[14:15], s[28:29]
	s_cselect_b32 s5, s40, s5
	s_cselect_b32 s14, s42, s41
	s_add_co_i32 s15, s5, 1
	s_cmp_ge_u32 s14, s39
	s_mul_u64 s[24:25], s[24:25], s[28:29]
	s_cselect_b32 s5, s15, s5
	s_bfe_u32 s14, ttmp6, 0x40010
	s_xor_b32 s5, s5, s3
	s_and_b32 s26, ttmp7, 0xffff
	s_add_co_i32 s14, s14, 1
	s_sub_co_i32 s3, s5, s3
	s_bfe_u32 s15, ttmp6, 0x40004
	s_mul_i32 s5, s26, s14
	s_mul_i32 s14, s3, s11
	;; [unrolled: 1-line block ×3, first 2 shown]
	s_add_co_i32 s3, s15, s5
	s_ashr_i32 s15, s14, 31
	s_ashr_i32 s41, s40, 31
	s_cmp_eq_u32 s38, 0
	s_add_nc_u64 s[6:7], s[6:7], s[24:25]
	s_cselect_b32 s26, s26, s3
	s_add_nc_u64 s[24:25], s[6:7], s[14:15]
	s_sub_co_i32 s3, s34, 32
	s_lshl_b32 s14, s26, 5
	s_add_nc_u64 s[6:7], s[8:9], s[36:37]
	s_cmp_ge_i32 s14, s3
	s_add_nc_u64 s[6:7], s[6:7], s[40:41]
	s_cbranch_scc1 .LBB68_14
; %bb.9:
	v_mul_hi_u32 v4, s20, v23
	v_dual_lshlrev_b32 v7, 2, v22 :: v_dual_mov_b32 v5, 0
	v_lshl_add_u32 v10, v25, 2, v28
	v_lshl_add_u32 v9, v25, 3, v3
	;; [unrolled: 1-line block ×3, first 2 shown]
	s_delay_alu instid0(VALU_DEP_4)
	v_and_b32_e32 v0, 4, v7
	v_lshl_add_u32 v34, v25, 6, 0x1000
	v_mul_lo_u32 v16, s10, v10
	v_mul_lo_u32 v14, s10, v9
	;; [unrolled: 1-line block ×3, first 2 shown]
	v_dual_add_nc_u32 v12, v23, v4 :: v_dual_bitop2_b32 v4, 12, v7 bitop3:0x40
	v_dual_lshlrev_b32 v7, 2, v0 :: v_dual_bitop2_b32 v18, 28, v7 bitop3:0x40
	v_mul_u32_u24_e32 v11, 0x70, v6
	s_delay_alu instid0(VALU_DEP_3) | instskip(SKIP_1) | instid1(VALU_DEP_4)
	v_lshrrev_b32_e32 v12, s21, v12
	v_mul_u32_u24_e32 v13, 0xc0, v9
	v_dual_lshlrev_b32 v15, 2, v4 :: v_dual_lshlrev_b32 v17, 2, v18
	v_lshl_add_u32 v20, s10, 3, v16
	s_delay_alu instid0(VALU_DEP_4)
	v_mul_lo_u32 v12, v12, s22
	v_mul_lo_u32 v6, s4, v6
	v_add3_u32 v36, v11, v7, 64
	v_mad_u32_u24 v37, 0x70, v9, v15
	v_or_b32_e32 v11, v13, v15
	v_mad_u32_u24 v38, 0xc0, v10, v17
	v_dual_ashrrev_i32 v17, 31, v16 :: v_dual_lshlrev_b32 v18, 2, v18
	v_dual_mov_b32 v44, v5 :: v_dual_ashrrev_i32 v21, 31, v20
	v_lshl_add_u32 v10, s4, 4, v8
	v_dual_sub_nc_u32 v12, v23, v12 :: v_dual_ashrrev_i32 v15, 31, v14
	s_delay_alu instid0(VALU_DEP_4) | instskip(NEXT) | instid1(VALU_DEP_4)
	v_lshlrev_b64_e32 v[16:17], 2, v[16:17]
	v_lshlrev_b64_e32 v[20:21], 2, v[20:21]
	s_ashr_i32 s5, s4, 31
	s_delay_alu instid0(VALU_DEP_3)
	v_mad_u32 v41, v12, s35, v22
	v_lshlrev_b64_e32 v[14:15], 2, v[14:15]
	v_lshl_add_u32 v35, v22, 1, v34
	v_dual_ashrrev_i32 v7, 31, v6 :: v_dual_ashrrev_i32 v9, 31, v8
	v_dual_mov_b32 v26, v5 :: v_dual_add_nc_u32 v39, 0x700, v37
	v_dual_mov_b32 v13, v5 :: v_dual_add_nc_u32 v40, 0x80, v11
	v_ashrrev_i32_e32 v11, 31, v10
	v_dual_mov_b32 v27, v5 :: v_dual_add_nc_u32 v42, 0x600, v38
	v_dual_mov_b32 v45, 0xfeffffff :: v_dual_lshlrev_b32 v12, 2, v0
	v_lshlrev_b32_e32 v4, 2, v4
	v_mbcnt_lo_u32_b32 v43, -1, 0
	s_cmp_lg_u64 s[30:31], 0
	s_add_nc_u64 s[8:9], s[0:1], 0xd0
	s_cselect_b32 s27, -1, 0
	s_ashr_i32 s11, s10, 31
.LBB68_10:                              ; =>This Inner Loop Header: Depth=1
	s_ashr_i32 s15, s14, 31
	v_dual_mov_b32 v0, 0 :: v_dual_mov_b32 v32, 0
	s_mul_u64 s[36:37], s[14:15], s[4:5]
	s_and_not1_b32 vcc_lo, exec_lo, s27
	s_lshl_b64 s[36:37], s[36:37], 2
	s_delay_alu instid0(SALU_CYCLE_1) | instskip(NEXT) | instid1(SALU_CYCLE_1)
	s_add_nc_u64 s[36:37], s[24:25], s[36:37]
	v_lshl_add_u64 v[46:47], v[6:7], 2, s[36:37]
	v_lshl_add_u64 v[48:49], v[8:9], 2, s[36:37]
	;; [unrolled: 1-line block ×3, first 2 shown]
	s_delay_alu instid0(VALU_DEP_3) | instskip(NEXT) | instid1(VALU_DEP_3)
	v_add_nc_u64_e32 v[58:59], v[46:47], v[12:13]
	v_add_nc_u64_e32 v[60:61], v[48:49], v[4:5]
	s_delay_alu instid0(VALU_DEP_3)
	v_add_nc_u64_e32 v[62:63], v[50:51], v[4:5]
	s_clause 0x2
	global_load_b128 v[46:49], v[58:59], off offset:64
	global_load_b128 v[50:53], v[60:61], off
	global_load_b128 v[54:57], v[62:63], off
	s_wait_loadcnt 0x2
	ds_store_b128 v36, v[46:49]
	s_wait_loadcnt 0x1
	ds_store_b128 v37, v[50:53]
	;; [unrolled: 2-line block ×3, first 2 shown]
	s_wait_dscnt 0x0
	s_barrier_signal -1
	s_barrier_wait -1
	ds_load_b128 v[46:49], v31
	ds_load_b128 v[50:53], v30
	s_wait_dscnt 0x0
	;;#ASMSTART
	v_dot2_f32_f16 v0, v46, v50, v0
	;;#ASMEND
	;;#ASMSTART
	v_dot2_f32_f16 v0, v47, v51, v0
	;;#ASMEND
	;;#ASMSTART
	v_dot2_f32_f16 v0, v48, v52, v0
	;;#ASMEND
	;;#ASMSTART
	v_dot2_f32_f16 v0, v49, v53, v0
	;;#ASMEND
	ds_load_b128 v[46:49], v31 offset:16
	ds_load_b128 v[50:53], v30 offset:16
	s_wait_dscnt 0x0
	;;#ASMSTART
	v_dot2_f32_f16 v0, v46, v50, v0
	;;#ASMEND
	;;#ASMSTART
	v_dot2_f32_f16 v0, v47, v51, v0
	;;#ASMEND
	;;#ASMSTART
	v_dot2_f32_f16 v0, v48, v52, v0
	;;#ASMEND
	;;#ASMSTART
	v_dot2_f32_f16 v0, v49, v53, v0
	;;#ASMEND
	ds_load_b128 v[46:49], v31 offset:32
	ds_load_b128 v[50:53], v30 offset:32
	;; [unrolled: 15-line block ×5, first 2 shown]
	s_wait_dscnt 0x0
	;;#ASMSTART
	v_dot2_f32_f16 v0, v46, v50, v0
	;;#ASMEND
	;;#ASMSTART
	v_dot2_f32_f16 v0, v47, v51, v0
	;;#ASMEND
	;; [unrolled: 3-line block ×4, first 2 shown]
	s_barrier_signal -1
	s_barrier_wait -1
	s_clause 0x2
	global_load_b128 v[46:49], v[58:59], off offset:160
	global_load_b128 v[50:53], v[60:61], off offset:96
	;; [unrolled: 1-line block ×3, first 2 shown]
	s_wait_loadcnt 0x2
	ds_store_b128 v36, v[46:49]
	s_wait_loadcnt 0x1
	ds_store_b128 v37, v[50:53]
	;; [unrolled: 2-line block ×3, first 2 shown]
	s_wait_dscnt 0x0
	s_barrier_signal -1
	s_barrier_wait -1
	ds_load_b128 v[46:49], v31
	ds_load_b128 v[50:53], v30 offset:96
	s_wait_dscnt 0x0
	;;#ASMSTART
	v_dot2_f32_f16 v0, v46, v50, v0
	;;#ASMEND
	;;#ASMSTART
	v_dot2_f32_f16 v0, v47, v51, v0
	;;#ASMEND
	;;#ASMSTART
	v_dot2_f32_f16 v0, v48, v52, v0
	;;#ASMEND
	;;#ASMSTART
	v_dot2_f32_f16 v0, v49, v53, v0
	;;#ASMEND
	ds_load_b128 v[46:49], v31 offset:16
	ds_load_b128 v[50:53], v30 offset:112
	s_wait_dscnt 0x0
	;;#ASMSTART
	v_dot2_f32_f16 v0, v46, v50, v0
	;;#ASMEND
	;;#ASMSTART
	v_dot2_f32_f16 v0, v47, v51, v0
	;;#ASMEND
	;;#ASMSTART
	v_dot2_f32_f16 v0, v48, v52, v0
	;;#ASMEND
	;;#ASMSTART
	v_dot2_f32_f16 v0, v49, v53, v0
	;;#ASMEND
	ds_load_b128 v[46:49], v31 offset:32
	;; [unrolled: 15-line block ×5, first 2 shown]
	ds_load_b128 v[50:53], v30 offset:176
	s_wait_dscnt 0x0
	;;#ASMSTART
	v_dot2_f32_f16 v0, v46, v50, v0
	;;#ASMEND
	;;#ASMSTART
	v_dot2_f32_f16 v0, v47, v51, v0
	;;#ASMEND
	;; [unrolled: 3-line block ×4, first 2 shown]
	s_cbranch_vccnz .LBB68_12
; %bb.11:                               ;   in Loop: Header=BB68_10 Depth=1
	v_add_nc_u32_e32 v19, s14, v41
	global_load_u16 v19, v19, s[30:31] scale_offset
	s_wait_loadcnt 0x0
	v_cvt_f32_f16_e32 v19, v19
	s_delay_alu instid0(VALU_DEP_1)
	v_mul_f32_e32 v32, v29, v19
.LBB68_12:                              ;   in Loop: Header=BB68_10 Depth=1
	s_mul_u64 s[36:37], s[14:15], s[10:11]
	s_delay_alu instid0(VALU_DEP_1) | instskip(SKIP_1) | instid1(SALU_CYCLE_1)
	v_dual_mov_b32 v19, v5 :: v_dual_add_f32 v32, v0, v32
	s_lshl_b64 s[36:37], s[36:37], 2
	s_add_nc_u64 s[36:37], s[6:7], s[36:37]
	s_barrier_signal -1
	v_add_nc_u64_e32 v[46:47], s[36:37], v[14:15]
	v_add_nc_u64_e32 v[48:49], s[36:37], v[16:17]
	;; [unrolled: 1-line block ×3, first 2 shown]
	s_barrier_wait -1
	v_xor_b32_e32 v0, 16, v43
	s_or_b32 s36, s14, 16
	s_delay_alu instid0(VALU_DEP_4) | instskip(NEXT) | instid1(VALU_DEP_4)
	v_add_nc_u64_e32 v[58:59], v[46:47], v[4:5]
	v_add_nc_u64_e32 v[60:61], v[48:49], v[18:19]
	s_delay_alu instid0(VALU_DEP_4)
	v_add_nc_u64_e32 v[62:63], v[50:51], v[18:19]
	s_ashr_i32 s37, s36, 31
	v_add_nc_u32_e32 v104, 0x400, v1
	s_mul_u64 s[36:37], s[36:37], s[10:11]
	s_clause 0x2
	global_load_b128 v[46:49], v[58:59], off offset:128
	global_load_b128 v[50:53], v[60:61], off
	global_load_b128 v[54:57], v[62:63], off
	s_wait_xcnt 0x2
	v_max_num_f32_e32 v58, v45, v45
	v_cmp_gt_i32_e32 vcc_lo, 32, v0
	v_add_f32_e32 v59, 0x40051340, v32
	s_lshl_b64 s[36:37], s[36:37], 2
	v_add_nc_u32_e32 v105, 0x800, v1
	s_add_nc_u64 s[36:37], s[6:7], s[36:37]
	s_delay_alu instid0(VALU_DEP_2) | instskip(SKIP_3) | instid1(VALU_DEP_3)
	v_dual_cndmask_b32 v0, v43, v0, vcc_lo :: v_dual_max_num_f32 v58, v58, v59
	v_xor_b32_e32 v59, 8, v43
	s_wait_xcnt 0x0
	v_add_nc_u64_e32 v[62:63], s[36:37], v[20:21]
	v_lshlrev_b32_e32 v0, 2, v0
	s_delay_alu instid0(VALU_DEP_3) | instskip(SKIP_4) | instid1(VALU_DEP_1)
	v_cmp_gt_i32_e32 vcc_lo, 32, v59
	ds_bpermute_b32 v0, v0, v58
	v_add_nc_u64_e32 v[102:103], v[62:63], v[18:19]
	s_wait_dscnt 0x0
	v_dual_cndmask_b32 v59, v43, v59 :: v_dual_max_num_f32 v0, v0, v0
	v_dual_max_num_f32 v0, v58, v0 :: v_dual_lshlrev_b32 v59, 2, v59
	ds_bpermute_b32 v58, v59, v0
	s_wait_dscnt 0x0
	v_dual_max_num_f32 v58, v58, v58 :: v_dual_bitop2_b32 v59, 4, v43 bitop3:0x14
	s_delay_alu instid0(VALU_DEP_1) | instskip(NEXT) | instid1(VALU_DEP_2)
	v_max_num_f32_e32 v0, v0, v58
	v_cmp_gt_i32_e32 vcc_lo, 32, v59
	v_cndmask_b32_e32 v59, v43, v59, vcc_lo
	s_delay_alu instid0(VALU_DEP_1) | instskip(SKIP_2) | instid1(VALU_DEP_1)
	v_lshlrev_b32_e32 v59, 2, v59
	ds_bpermute_b32 v58, v59, v0
	v_xor_b32_e32 v59, 2, v43
	v_cmp_gt_i32_e32 vcc_lo, 32, v59
	s_wait_dscnt 0x0
	v_max_num_f32_e32 v58, v58, v58
	s_delay_alu instid0(VALU_DEP_1) | instskip(NEXT) | instid1(VALU_DEP_1)
	v_dual_max_num_f32 v0, v0, v58 :: v_dual_cndmask_b32 v59, v43, v59
	v_lshlrev_b32_e32 v59, 2, v59
	ds_bpermute_b32 v58, v59, v0
	s_wait_dscnt 0x0
	v_max_num_f32_e32 v58, v58, v58
	s_delay_alu instid0(VALU_DEP_1) | instskip(NEXT) | instid1(VALU_DEP_1)
	v_dual_max_num_f32 v0, v0, v58 :: v_dual_bitop2_b32 v59, 1, v43 bitop3:0x14
	v_cmp_gt_i32_e32 vcc_lo, 32, v59
	v_cndmask_b32_e32 v59, v43, v59, vcc_lo
	s_delay_alu instid0(VALU_DEP_1) | instskip(SKIP_3) | instid1(VALU_DEP_1)
	v_lshlrev_b32_e32 v59, 2, v59
	ds_bpermute_b32 v58, v59, v0
	s_wait_dscnt 0x0
	v_max_num_f32_e32 v58, v58, v58
	v_max_num_f32_e32 v0, v0, v58
	s_delay_alu instid0(VALU_DEP_1) | instskip(NEXT) | instid1(VALU_DEP_1)
	v_sub_f32_e32 v32, v32, v0
	v_mul_f32_e32 v58, 0x3fb8aa3b, v32
	v_cmp_ngt_f32_e32 vcc_lo, 0xc2ce8ed0, v32
	s_delay_alu instid0(VALU_DEP_2) | instskip(SKIP_1) | instid1(VALU_DEP_2)
	v_fma_f32 v59, 0x3fb8aa3b, v32, -v58
	v_rndne_f32_e32 v60, v58
	v_fmac_f32_e32 v59, 0x32a5705f, v32
	s_delay_alu instid0(VALU_DEP_2) | instskip(NEXT) | instid1(VALU_DEP_1)
	v_sub_f32_e32 v58, v58, v60
	v_add_f32_e32 v58, v58, v59
	v_cvt_i32_f32_e32 v59, v60
	s_delay_alu instid0(VALU_DEP_2) | instskip(SKIP_1) | instid1(TRANS32_DEP_1)
	v_exp_f32_e32 v58, v58
	v_nop
	v_ldexp_f32 v58, v58, v59
	s_delay_alu instid0(VALU_DEP_1) | instskip(SKIP_2) | instid1(VALU_DEP_3)
	v_cndmask_b32_e32 v60, 0, v58, vcc_lo
	v_cmp_nlt_f32_e32 vcc_lo, 0x42b17218, v32
	v_add_nc_u64_e32 v[58:59], s[36:37], v[14:15]
	v_cndmask_b32_e32 v32, 0x7f800000, v60, vcc_lo
	v_add_nc_u64_e32 v[60:61], s[36:37], v[16:17]
	s_delay_alu instid0(VALU_DEP_3) | instskip(NEXT) | instid1(VALU_DEP_3)
	v_add_nc_u64_e32 v[98:99], v[58:59], v[4:5]
	v_cvt_f16_f32_e32 v64, v32
	ds_store_b16 v35, v64
	s_wait_loadcnt 0x2
	ds_store_b128 v40, v[46:49]
	s_wait_loadcnt 0x1
	ds_store_b128 v38, v[50:53]
	;; [unrolled: 2-line block ×3, first 2 shown]
	v_add_nc_u64_e32 v[100:101], v[60:61], v[18:19]
	s_wait_dscnt 0x0
	s_barrier_signal -1
	s_barrier_wait -1
	ds_load_2addr_b64 v[46:49], v1 offset1:24
	ds_load_2addr_b64 v[50:53], v1 offset0:48 offset1:72
	ds_load_b128 v[54:57], v34
	ds_load_b128 v[58:61], v34 offset:16
	ds_load_2addr_b64 v[62:65], v1 offset0:96 offset1:120
	ds_load_2addr_b64 v[66:69], v1 offset0:144 offset1:168
	;; [unrolled: 1-line block ×6, first 2 shown]
	s_wait_dscnt 0x0
	s_barrier_signal -1
	s_barrier_wait -1
	s_clause 0x2
	global_load_b128 v[86:89], v[98:99], off offset:128
	global_load_b128 v[90:93], v[100:101], off
	global_load_b128 v[94:97], v[102:103], off
	v_sub_f32_e32 v19, v45, v0
	s_wait_loadcnt 0x2
	ds_store_b128 v40, v[86:89]
	s_wait_loadcnt 0x1
	ds_store_b128 v38, v[90:93]
	;; [unrolled: 2-line block ×3, first 2 shown]
	v_mul_f32_e32 v45, 0x3fb8aa3b, v19
	v_cmp_ngt_f32_e32 vcc_lo, 0xc2ce8ed0, v19
	s_wait_dscnt 0x0
	s_barrier_signal -1
	s_barrier_wait -1
	v_fma_f32 v98, 0x3fb8aa3b, v19, -v45
	v_rndne_f32_e32 v99, v45
	s_delay_alu instid0(VALU_DEP_2) | instskip(NEXT) | instid1(VALU_DEP_2)
	v_fmac_f32_e32 v98, 0x32a5705f, v19
	v_sub_f32_e32 v45, v45, v99
	s_delay_alu instid0(VALU_DEP_1) | instskip(SKIP_2) | instid1(VALU_DEP_3)
	v_add_f32_e32 v45, v45, v98
	v_cvt_i32_f32_e32 v98, v99
	v_and_b32_e32 v99, 0xffff, v55
	v_exp_f32_e32 v45, v45
	v_nop
	s_delay_alu instid0(TRANS32_DEP_1) | instskip(SKIP_1) | instid1(VALU_DEP_2)
	v_ldexp_f32 v45, v45, v98
	v_and_b32_e32 v98, 0xffff, v54
	v_dual_cndmask_b32 v45, 0, v45 :: v_dual_lshrrev_b32 v54, 16, v54
	v_cmp_nlt_f32_e32 vcc_lo, 0x42b17218, v19
	s_delay_alu instid0(VALU_DEP_3) | instskip(NEXT) | instid1(VALU_DEP_3)
	v_mul_u32_u24_e32 v98, 0x10001, v98
	v_mul_u32_u24_e32 v54, 0x10001, v54
	s_delay_alu instid0(VALU_DEP_4) | instskip(NEXT) | instid1(VALU_DEP_3)
	v_cndmask_b32_e32 v19, 0x7f800000, v45, vcc_lo
	v_pk_mul_f16 v46, v46, v98
	v_pk_mul_f16 v47, v47, v98
	s_delay_alu instid0(VALU_DEP_3) | instskip(NEXT) | instid1(VALU_DEP_1)
	v_cvt_f16_f32_e32 v45, v19
	v_and_b32_e32 v45, 0xffff, v45
	s_delay_alu instid0(VALU_DEP_1) | instskip(NEXT) | instid1(VALU_DEP_1)
	v_mul_u32_u24_e32 v45, 0x10001, v45
	v_pk_fma_f16 v27, v27, v45, v46
	v_pk_fma_f16 v26, v26, v45, v47
	v_lshrrev_b32_e32 v46, 16, v55
	v_mul_u32_u24_e32 v55, 0x10001, v99
	v_and_b32_e32 v45, 0xffff, v56
	v_pk_fma_f16 v27, v48, v54, v27
	v_pk_fma_f16 v26, v49, v54, v26
	v_mul_u32_u24_e32 v46, 0x10001, v46
	v_lshrrev_b32_e32 v47, 16, v56
	v_mul_u32_u24_e32 v45, 0x10001, v45
	v_pk_fma_f16 v27, v50, v55, v27
	v_pk_fma_f16 v26, v51, v55, v26
	v_and_b32_e32 v48, 0xffff, v57
	v_and_b32_e32 v49, 0xffff, v60
	v_lshrrev_b32_e32 v55, 16, v61
	v_pk_fma_f16 v27, v52, v46, v27
	v_pk_fma_f16 v26, v53, v46, v26
	v_lshrrev_b32_e32 v46, 16, v57
	v_mul_u32_u24_e32 v47, 0x10001, v47
	v_mul_u32_u24_e32 v48, 0x10001, v48
	v_pk_fma_f16 v27, v62, v45, v27
	v_pk_fma_f16 v26, v63, v45, v26
	v_and_b32_e32 v45, 0xffff, v58
	v_mul_u32_u24_e32 v46, 0x10001, v46
	v_mul_u32_u24_e32 v54, 0x10001, v49
	v_pk_fma_f16 v27, v64, v47, v27
	v_pk_fma_f16 v26, v65, v47, v26
	v_lshrrev_b32_e32 v47, 16, v58
	v_mul_u32_u24_e32 v45, 0x10001, v45
	v_mul_u32_u24_e32 v63, 0x10001, v55
	v_pk_fma_f16 v27, v66, v48, v27
	v_pk_fma_f16 v26, v67, v48, v26
	v_and_b32_e32 v48, 0xffff, v59
	v_fmac_f32_e32 v32, v44, v19
	s_delay_alu instid0(VALU_DEP_4) | instskip(NEXT) | instid1(VALU_DEP_4)
	v_pk_fma_f16 v27, v68, v46, v27
	v_pk_fma_f16 v26, v69, v46, v26
	v_lshrrev_b32_e32 v46, 16, v59
	v_mul_u32_u24_e32 v47, 0x10001, v47
	v_mul_u32_u24_e32 v50, 0x10001, v48
	v_pk_fma_f16 v27, v70, v45, v27
	v_pk_fma_f16 v26, v71, v45, v26
	v_mul_u32_u24_e32 v51, 0x10001, v46
	v_lshrrev_b32_e32 v45, 16, v60
	s_delay_alu instid0(VALU_DEP_4) | instskip(NEXT) | instid1(VALU_DEP_4)
	v_pk_fma_f16 v27, v72, v47, v27
	v_pk_fma_f16 v26, v73, v47, v26
	ds_load_b128 v[46:49], v34 offset:32
	v_mul_u32_u24_e32 v45, 0x10001, v45
	v_pk_fma_f16 v27, v74, v50, v27
	v_pk_fma_f16 v26, v75, v50, v26
	v_and_b32_e32 v50, 0xffff, v61
	s_delay_alu instid0(VALU_DEP_3) | instskip(NEXT) | instid1(VALU_DEP_3)
	v_pk_fma_f16 v27, v76, v51, v27
	v_pk_fma_f16 v26, v77, v51, v26
	s_delay_alu instid0(VALU_DEP_3)
	v_mul_u32_u24_e32 v62, 0x10001, v50
	ds_load_2addr_b64 v[50:53], v1 offset1:24
	v_pk_fma_f16 v27, v78, v54, v27
	v_pk_fma_f16 v26, v79, v54, v26
	ds_load_2addr_b64 v[54:57], v1 offset0:48 offset1:72
	ds_load_b128 v[58:61], v34 offset:48
	ds_load_2addr_b64 v[70:73], v105 offset0:32 offset1:56
	v_pk_fma_f16 v27, v80, v45, v27
	v_pk_fma_f16 v26, v81, v45, v26
	s_wait_dscnt 0x4
	v_and_b32_e32 v45, 0xffff, v46
	v_lshrrev_b32_e32 v46, 16, v46
	v_and_b32_e32 v66, 0xffff, v47
	v_pk_fma_f16 v27, v82, v62, v27
	v_pk_fma_f16 v26, v83, v62, v26
	v_mul_u32_u24_e32 v45, 0x10001, v45
	s_delay_alu instid0(VALU_DEP_3) | instskip(NEXT) | instid1(VALU_DEP_3)
	v_pk_fma_f16 v27, v84, v63, v27
	v_pk_fma_f16 v26, v85, v63, v26
	ds_load_2addr_b64 v[62:65], v1 offset0:96 offset1:120
	s_wait_dscnt 0x4
	v_pk_fma_f16 v27, v50, v45, v27
	v_pk_fma_f16 v26, v51, v45, v26
	v_lshrrev_b32_e32 v45, 16, v47
	v_mul_u32_u24_e32 v46, 0x10001, v46
	v_mul_u32_u24_e32 v47, 0x10001, v66
	ds_load_2addr_b64 v[66:69], v1 offset0:192 offset1:216
	v_mul_u32_u24_e32 v45, 0x10001, v45
	v_pk_fma_f16 v27, v52, v46, v27
	v_pk_fma_f16 v26, v53, v46, v26
	ds_load_2addr_b64 v[50:53], v1 offset0:144 offset1:168
	v_and_b32_e32 v46, 0xffff, v48
	s_wait_dscnt 0x5
	v_pk_fma_f16 v27, v54, v47, v27
	v_pk_fma_f16 v26, v55, v47, v26
	v_lshrrev_b32_e32 v47, 16, v48
	v_mul_u32_u24_e32 v46, 0x10001, v46
	s_delay_alu instid0(VALU_DEP_4) | instskip(NEXT) | instid1(VALU_DEP_4)
	v_pk_fma_f16 v27, v56, v45, v27
	v_pk_fma_f16 v26, v57, v45, v26
	v_and_b32_e32 v45, 0xffff, v49
	ds_load_2addr_b64 v[54:57], v104 offset0:112 offset1:136
	s_wait_dscnt 0x3
	v_pk_fma_f16 v27, v62, v46, v27
	v_pk_fma_f16 v26, v63, v46, v26
	v_lshrrev_b32_e32 v62, 16, v49
	v_mul_u32_u24_e32 v47, 0x10001, v47
	v_mul_u32_u24_e32 v45, 0x10001, v45
	v_and_b32_e32 v63, 0xffff, v58
	s_delay_alu instid0(VALU_DEP_4) | instskip(NEXT) | instid1(VALU_DEP_4)
	v_mul_u32_u24_e32 v62, 0x10001, v62
	v_pk_fma_f16 v27, v64, v47, v27
	v_pk_fma_f16 v26, v65, v47, v26
	ds_load_2addr_b64 v[46:49], v105 offset0:80 offset1:104
	s_wait_dscnt 0x0
	s_barrier_signal -1
	v_pk_fma_f16 v27, v50, v45, v27
	v_pk_fma_f16 v26, v51, v45, v26
	v_lshrrev_b32_e32 v45, 16, v58
	v_mul_u32_u24_e32 v50, 0x10001, v63
	v_and_b32_e32 v51, 0xffff, v59
	v_pk_fma_f16 v27, v52, v62, v27
	v_pk_fma_f16 v26, v53, v62, v26
	s_barrier_wait -1
	s_delay_alu instid0(VALU_DEP_3) | instskip(NEXT) | instid1(VALU_DEP_3)
	v_mul_u32_u24_e32 v51, 0x10001, v51
	v_pk_fma_f16 v27, v66, v50, v27
	s_delay_alu instid0(VALU_DEP_3) | instskip(SKIP_3) | instid1(VALU_DEP_2)
	v_pk_fma_f16 v26, v67, v50, v26
	v_lshrrev_b32_e32 v50, 16, v59
	v_mul_u32_u24_e32 v45, 0x10001, v45
	s_load_b32 s15, s[8:9], 0x4
	v_mul_u32_u24_e32 v50, 0x10001, v50
	s_delay_alu instid0(VALU_DEP_2) | instskip(SKIP_2) | instid1(VALU_DEP_3)
	v_pk_fma_f16 v27, v68, v45, v27
	v_pk_fma_f16 v26, v69, v45, v26
	v_and_b32_e32 v45, 0xffff, v60
	v_pk_fma_f16 v27, v54, v51, v27
	s_delay_alu instid0(VALU_DEP_3) | instskip(SKIP_1) | instid1(VALU_DEP_4)
	v_pk_fma_f16 v26, v55, v51, v26
	v_lshrrev_b32_e32 v51, 16, v60
	v_mul_u32_u24_e32 v45, 0x10001, v45
	s_delay_alu instid0(VALU_DEP_4) | instskip(NEXT) | instid1(VALU_DEP_4)
	v_pk_fma_f16 v27, v56, v50, v27
	v_pk_fma_f16 v26, v57, v50, v26
	v_and_b32_e32 v50, 0xffff, v61
	s_delay_alu instid0(VALU_DEP_3) | instskip(NEXT) | instid1(VALU_DEP_3)
	v_pk_fma_f16 v27, v70, v45, v27
	v_pk_fma_f16 v26, v71, v45, v26
	v_lshrrev_b32_e32 v45, 16, v61
	v_mul_u32_u24_e32 v51, 0x10001, v51
	v_mul_u32_u24_e32 v50, 0x10001, v50
	s_wait_kmcnt 0x0
	s_lshl_b32 s15, s15, 5
	v_mul_u32_u24_e32 v45, 0x10001, v45
	v_pk_fma_f16 v27, v72, v51, v27
	v_pk_fma_f16 v26, v73, v51, v26
	s_add_co_i32 s14, s15, s14
	s_delay_alu instid0(SALU_CYCLE_1) | instskip(NEXT) | instid1(VALU_DEP_2)
	s_cmp_lt_i32 s14, s3
	v_pk_fma_f16 v27, v46, v50, v27
	s_delay_alu instid0(VALU_DEP_2) | instskip(NEXT) | instid1(VALU_DEP_2)
	v_pk_fma_f16 v26, v47, v50, v26
	v_pk_fma_f16 v27, v48, v45, v27
	s_delay_alu instid0(VALU_DEP_2)
	v_pk_fma_f16 v26, v49, v45, v26
	s_cbranch_scc0 .LBB68_15
; %bb.13:                               ;   in Loop: Header=BB68_10 Depth=1
	v_dual_mov_b32 v45, v0 :: v_dual_mov_b32 v44, v32
	s_branch .LBB68_10
.LBB68_14:
	v_dual_mov_b32 v26, 0 :: v_dual_mov_b32 v32, 0
	v_dual_mov_b32 v0, 0xfeffffff :: v_dual_mov_b32 v27, 0
.LBB68_15:
	s_cmp_gt_i32 s34, s14
	s_cbranch_scc1 .LBB68_18
; %bb.16:
	v_mbcnt_lo_u32_b32 v5, -1, 0
	v_mov_b32_e32 v4, 32
	s_delay_alu instid0(VALU_DEP_2)
	v_xor_b32_e32 v8, 16, v5
	v_xor_b32_e32 v6, 8, v5
	;; [unrolled: 1-line block ×5, first 2 shown]
	s_cbranch_execz .LBB68_19
; %bb.17:
	v_mov_b32_e32 v24, v5
	s_branch .LBB68_24
.LBB68_18:
                                        ; implicit-def: $vgpr5
                                        ; implicit-def: $vgpr4
                                        ; implicit-def: $vgpr8
                                        ; implicit-def: $vgpr6
                                        ; implicit-def: $vgpr7
                                        ; implicit-def: $vgpr9
                                        ; implicit-def: $vgpr10
.LBB68_19:
	v_lshl_add_u32 v33, v25, 4, v33
	s_ashr_i32 s15, s14, 31
	s_ashr_i32 s5, s4, 31
	v_mov_b32_e32 v7, 0
	s_mul_u64 s[8:9], s[14:15], s[4:5]
	v_mul_lo_u32 v4, s4, v33
	s_lshl_b64 s[8:9], s[8:9], 2
	s_mov_b32 s36, 0
	s_add_nc_u64 s[8:9], s[24:25], s[8:9]
	s_mov_b32 s37, s36
	s_mov_b32 s38, s36
	s_sub_co_i32 s5, s34, s14
	v_lshl_add_u32 v11, v25, 3, v3
	v_cmp_gt_i32_e64 s3, s5, v33
	s_delay_alu instid0(VALU_DEP_3) | instskip(NEXT) | instid1(VALU_DEP_3)
	v_dual_ashrrev_i32 v5, 31, v4 :: v_dual_bitop2_b32 v6, 16, v2 bitop3:0x40
	v_mul_lo_u32 v18, s4, v11
	v_cmp_gt_i32_e32 vcc_lo, s5, v11
	s_delay_alu instid0(VALU_DEP_3) | instskip(SKIP_2) | instid1(VALU_DEP_3)
	v_lshl_add_u64 v[8:9], v[4:5], 2, s[8:9]
	v_dual_mov_b32 v4, 0 :: v_dual_lshlrev_b32 v5, 20, v24
	v_mov_b32_e32 v3, v7
	v_add_nc_u64_e32 v[34:35], v[8:9], v[6:7]
	v_mov_b32_e32 v8, s36
	s_delay_alu instid0(VALU_DEP_4)
	v_add_nc_u64_e32 v[36:37], src_flat_scratch_base_lo, v[4:5]
	v_dual_mov_b32 v9, s37 :: v_dual_mov_b32 v10, s38
	s_clause 0x1
	scratch_store_b32 off, v7, off
	scratch_store_b96 off, v[8:10], off offset:4
	v_add_nc_u64_e32 v[12:13], 64, v[34:35]
	v_mad_u32_u24 v6, 0x70, v33, v6
	v_add_nc_u64_e32 v[34:35], 0xa0, v[34:35]
	v_dual_ashrrev_i32 v19, 31, v18 :: v_dual_add_nc_u32 v4, 16, v11
	s_delay_alu instid0(VALU_DEP_4) | instskip(NEXT) | instid1(VALU_DEP_2)
	v_dual_cndmask_b32 v13, v37, v13, s3 :: v_dual_cndmask_b32 v12, v36, v12, s3
	v_lshl_add_u64 v[20:21], v[18:19], 2, s[8:9]
	v_lshl_add_u32 v18, s4, 4, v18
	v_dual_cndmask_b32 v35, v37, v35, s3 :: v_dual_cndmask_b32 v34, v36, v34, s3
	flat_load_b128 v[14:17], v[12:13]
	s_wait_xcnt 0x0
	v_lshlrev_b32_e32 v12, 2, v22
	s_clause 0x1
	scratch_store_b32 off, v7, off
	scratch_store_b96 off, v[8:10], off offset:4
	v_cmp_gt_i32_e64 s4, s5, v4
	v_dual_mov_b32 v4, v7 :: v_dual_ashrrev_i32 v19, 31, v18
	v_and_b32_e32 v2, 12, v12
	s_delay_alu instid0(VALU_DEP_2) | instskip(NEXT) | instid1(VALU_DEP_2)
	v_lshl_add_u64 v[18:19], v[18:19], 2, s[8:9]
	v_lshlrev_b32_e32 v2, 2, v2
	s_delay_alu instid0(VALU_DEP_1) | instskip(NEXT) | instid1(VALU_DEP_1)
	v_add_nc_u64_e32 v[38:39], v[20:21], v[2:3]
	v_dual_cndmask_b32 v21, v37, v39 :: v_dual_cndmask_b32 v20, v36, v38
	s_delay_alu instid0(VALU_DEP_4) | instskip(SKIP_1) | instid1(VALU_DEP_2)
	v_add_nc_u64_e32 v[40:41], v[18:19], v[2:3]
	v_mad_u32_u24 v3, 0x70, v11, v2
	v_dual_cndmask_b32 v19, v37, v41, s4 :: v_dual_cndmask_b32 v18, v36, v40, s4
	s_wait_loadcnt_dscnt 0x0
	ds_store_b128 v6, v[14:17] offset:64
	flat_load_b128 v[14:17], v[20:21]
	s_clause 0x1
	scratch_store_b32 off, v7, off
	scratch_store_b96 off, v[8:10], off offset:4
	s_wait_loadcnt_dscnt 0x0
	ds_store_b128 v3, v[14:17]
	flat_load_b128 v[14:17], v[18:19]
	s_wait_loadcnt_dscnt 0x0
	ds_store_b128 v3, v[14:17] offset:1792
	s_wait_storecnt_dscnt 0x0
	s_barrier_signal -1
	s_barrier_wait -1
	ds_load_b128 v[14:17], v31
	s_wait_xcnt 0x0
	ds_load_b128 v[18:21], v30
	s_wait_dscnt 0x0
	;;#ASMSTART
	v_dot2_f32_f16 v4, v14, v18, v4
	;;#ASMEND
	;;#ASMSTART
	v_dot2_f32_f16 v4, v15, v19, v4
	;;#ASMEND
	;;#ASMSTART
	v_dot2_f32_f16 v4, v16, v20, v4
	;;#ASMEND
	;;#ASMSTART
	v_dot2_f32_f16 v4, v17, v21, v4
	;;#ASMEND
	ds_load_b128 v[14:17], v31 offset:16
	ds_load_b128 v[18:21], v30 offset:16
	s_wait_dscnt 0x0
	;;#ASMSTART
	v_dot2_f32_f16 v4, v14, v18, v4
	;;#ASMEND
	;;#ASMSTART
	v_dot2_f32_f16 v4, v15, v19, v4
	;;#ASMEND
	;;#ASMSTART
	v_dot2_f32_f16 v4, v16, v20, v4
	;;#ASMEND
	;;#ASMSTART
	v_dot2_f32_f16 v4, v17, v21, v4
	;;#ASMEND
	ds_load_b128 v[14:17], v31 offset:32
	ds_load_b128 v[18:21], v30 offset:32
	;; [unrolled: 15-line block ×5, first 2 shown]
	s_wait_dscnt 0x0
	;;#ASMSTART
	v_dot2_f32_f16 v4, v14, v18, v4
	;;#ASMEND
	;;#ASMSTART
	v_dot2_f32_f16 v4, v15, v19, v4
	;;#ASMEND
	;;#ASMSTART
	v_dot2_f32_f16 v4, v16, v20, v4
	;;#ASMEND
	;;#ASMSTART
	v_dot2_f32_f16 v4, v17, v21, v4
	;;#ASMEND
	s_barrier_signal -1
	s_barrier_wait -1
	s_clause 0x1
	scratch_store_b32 off, v7, off
	scratch_store_b96 off, v[8:10], off offset:4
	flat_load_b128 v[14:17], v[34:35]
	v_add_nc_u64_e32 v[18:19], 0x60, v[38:39]
	s_clause 0x1
	scratch_store_b32 off, v7, off
	scratch_store_b96 off, v[8:10], off offset:4
	v_dual_cndmask_b32 v19, v37, v19 :: v_dual_cndmask_b32 v18, v36, v18
	s_wait_loadcnt_dscnt 0x0
	ds_store_b128 v6, v[14:17] offset:64
	flat_load_b128 v[14:17], v[18:19]
	s_wait_xcnt 0x0
	v_add_nc_u64_e32 v[18:19], 0x60, v[40:41]
	s_clause 0x1
	scratch_store_b32 off, v7, off
	scratch_store_b96 off, v[8:10], off offset:4
	v_dual_cndmask_b32 v19, v37, v19, s4 :: v_dual_cndmask_b32 v18, v36, v18, s4
	s_mov_b32 s4, exec_lo
	s_wait_loadcnt_dscnt 0x0
	ds_store_b128 v3, v[14:17]
	flat_load_b128 v[14:17], v[18:19]
	s_wait_loadcnt_dscnt 0x0
	ds_store_b128 v3, v[14:17] offset:1792
	s_wait_storecnt_dscnt 0x0
	s_barrier_signal -1
	s_barrier_wait -1
	ds_load_b128 v[14:17], v31
	s_wait_xcnt 0x0
	ds_load_b128 v[18:21], v30 offset:96
	s_wait_dscnt 0x0
	;;#ASMSTART
	v_dot2_f32_f16 v4, v14, v18, v4
	;;#ASMEND
	;;#ASMSTART
	v_dot2_f32_f16 v4, v15, v19, v4
	;;#ASMEND
	;;#ASMSTART
	v_dot2_f32_f16 v4, v16, v20, v4
	;;#ASMEND
	;;#ASMSTART
	v_dot2_f32_f16 v4, v17, v21, v4
	;;#ASMEND
	ds_load_b128 v[14:17], v31 offset:16
	ds_load_b128 v[18:21], v30 offset:112
	s_wait_dscnt 0x0
	;;#ASMSTART
	v_dot2_f32_f16 v4, v14, v18, v4
	;;#ASMEND
	;;#ASMSTART
	v_dot2_f32_f16 v4, v15, v19, v4
	;;#ASMEND
	;;#ASMSTART
	v_dot2_f32_f16 v4, v16, v20, v4
	;;#ASMEND
	;;#ASMSTART
	v_dot2_f32_f16 v4, v17, v21, v4
	;;#ASMEND
	ds_load_b128 v[14:17], v31 offset:32
	ds_load_b128 v[18:21], v30 offset:128
	s_wait_dscnt 0x0
	;;#ASMSTART
	v_dot2_f32_f16 v4, v14, v18, v4
	;;#ASMEND
	;;#ASMSTART
	v_dot2_f32_f16 v4, v15, v19, v4
	;;#ASMEND
	;;#ASMSTART
	v_dot2_f32_f16 v4, v16, v20, v4
	;;#ASMEND
	;;#ASMSTART
	v_dot2_f32_f16 v4, v17, v21, v4
	;;#ASMEND
	ds_load_b128 v[14:17], v31 offset:48
	ds_load_b128 v[18:21], v30 offset:144
	s_wait_dscnt 0x0
	;;#ASMSTART
	v_dot2_f32_f16 v4, v14, v18, v4
	;;#ASMEND
	;;#ASMSTART
	v_dot2_f32_f16 v4, v15, v19, v4
	;;#ASMEND
	;;#ASMSTART
	v_dot2_f32_f16 v4, v16, v20, v4
	;;#ASMEND
	;;#ASMSTART
	v_dot2_f32_f16 v4, v17, v21, v4
	;;#ASMEND
	ds_load_b128 v[14:17], v31 offset:64
	ds_load_b128 v[18:21], v30 offset:160
	s_wait_dscnt 0x0
	;;#ASMSTART
	v_dot2_f32_f16 v4, v14, v18, v4
	;;#ASMEND
	;;#ASMSTART
	v_dot2_f32_f16 v4, v15, v19, v4
	;;#ASMEND
	;;#ASMSTART
	v_dot2_f32_f16 v4, v16, v20, v4
	;;#ASMEND
	;;#ASMSTART
	v_dot2_f32_f16 v4, v17, v21, v4
	;;#ASMEND
	ds_load_b128 v[14:17], v31 offset:80
	ds_load_b128 v[18:21], v30 offset:176
	v_mov_b32_e32 v3, v0
	s_wait_dscnt 0x0
	;;#ASMSTART
	v_dot2_f32_f16 v4, v14, v18, v4
	;;#ASMEND
	;;#ASMSTART
	v_dot2_f32_f16 v4, v15, v19, v4
	;;#ASMEND
	;; [unrolled: 3-line block ×4, first 2 shown]
	v_cmpx_gt_i32_e64 s5, v22
	s_cbranch_execz .LBB68_23
; %bb.20:
	s_cmp_eq_u64 s[30:31], 0
	s_cbranch_scc1 .LBB68_22
; %bb.21:
	v_mul_hi_u32 v3, s20, v23
	s_delay_alu instid0(VALU_DEP_1) | instskip(NEXT) | instid1(VALU_DEP_1)
	v_add_nc_u32_e32 v3, v23, v3
	v_lshrrev_b32_e32 v3, s21, v3
	s_delay_alu instid0(VALU_DEP_1) | instskip(NEXT) | instid1(VALU_DEP_1)
	v_mul_lo_u32 v3, v3, s22
	v_sub_nc_u32_e32 v3, v23, v3
	s_delay_alu instid0(VALU_DEP_1) | instskip(NEXT) | instid1(VALU_DEP_1)
	v_mul_lo_u32 v3, v3, s35
	v_add3_u32 v3, v3, v22, s14
	global_load_u16 v3, v3, s[30:31] scale_offset
	s_wait_loadcnt 0x0
	v_cvt_f32_f16_e32 v3, v3
	s_delay_alu instid0(VALU_DEP_1)
	v_mul_f32_e32 v7, v29, v3
.LBB68_22:
	s_delay_alu instid0(VALU_DEP_1) | instskip(SKIP_1) | instid1(VALU_DEP_2)
	v_add_f32_e32 v4, v4, v7
	v_max_num_f32_e32 v6, v0, v0
	v_add_f32_e32 v3, 0x40051340, v4
	s_delay_alu instid0(VALU_DEP_1)
	v_max_num_f32_e32 v3, v6, v3
.LBB68_23:
	s_or_b32 exec_lo, exec_lo, s4
	v_xor_b32_e32 v8, 16, v24
	s_ashr_i32 s11, s10, 31
	s_mov_b32 s38, s36
	s_mul_u64 s[8:9], s[14:15], s[10:11]
	s_mov_b32 s37, s36
	v_cmp_gt_i32_e64 s3, 32, v8
	s_lshl_b64 s[8:9], s[8:9], 2
	v_dual_mov_b32 v68, s38 :: v_dual_mov_b32 v67, s37
	s_add_nc_u64 s[8:9], s[6:7], s[8:9]
	v_cndmask_b32_e64 v6, v24, v8, s3
	s_barrier_signal -1
	s_barrier_wait -1
	s_delay_alu instid0(VALU_DEP_1) | instskip(SKIP_4) | instid1(VALU_DEP_1)
	v_dual_lshlrev_b32 v6, 2, v6 :: v_dual_lshlrev_b32 v69, 6, v25
	v_lshl_add_u32 v25, v25, 2, v28
	ds_bpermute_b32 v7, v6, v3
	v_dual_max_num_f32 v3, v3, v3 :: v_dual_bitop2_b32 v6, 8, v24 bitop3:0x14
	v_mul_lo_u32 v20, s10, v25
	v_dual_add_nc_u32 v76, 8, v25 :: v_dual_ashrrev_i32 v21, 31, v20
	s_delay_alu instid0(VALU_DEP_1) | instskip(SKIP_3) | instid1(VALU_DEP_1)
	v_lshlrev_b64_e32 v[70:71], 2, v[20:21]
	s_wait_dscnt 0x0
	v_max_num_f32_e32 v7, v7, v7
	v_cmp_gt_i32_e64 s3, 32, v6
	v_dual_max_num_f32 v3, v3, v7 :: v_dual_cndmask_b32 v9, v24, v6, s3
	s_delay_alu instid0(VALU_DEP_1) | instskip(NEXT) | instid1(VALU_DEP_1)
	v_dual_lshlrev_b32 v9, 2, v9 :: v_dual_bitop2_b32 v7, 4, v24 bitop3:0x14
	v_cmp_gt_i32_e64 s3, 32, v7
	ds_bpermute_b32 v9, v9, v3
	s_wait_dscnt 0x0
	v_dual_cndmask_b32 v10, v24, v7, s3 :: v_dual_max_num_f32 v9, v9, v9
	s_delay_alu instid0(VALU_DEP_1) | instskip(SKIP_3) | instid1(VALU_DEP_1)
	v_dual_max_num_f32 v3, v3, v9 :: v_dual_lshlrev_b32 v10, 2, v10
	ds_bpermute_b32 v10, v10, v3
	s_wait_dscnt 0x0
	v_dual_max_num_f32 v10, v10, v10 :: v_dual_bitop2_b32 v9, 2, v24 bitop3:0x14
	v_cmp_gt_i32_e64 s3, 32, v9
	s_delay_alu instid0(VALU_DEP_1) | instskip(NEXT) | instid1(VALU_DEP_1)
	v_dual_max_num_f32 v3, v3, v10 :: v_dual_cndmask_b32 v13, v24, v9, s3
	v_dual_lshlrev_b32 v13, 2, v13 :: v_dual_bitop2_b32 v10, 1, v24 bitop3:0x14
	s_delay_alu instid0(VALU_DEP_1) | instskip(SKIP_3) | instid1(VALU_DEP_1)
	v_cmp_gt_i32_e64 s3, 32, v10
	ds_bpermute_b32 v13, v13, v3
	s_wait_dscnt 0x0
	v_dual_cndmask_b32 v14, v24, v10, s3 :: v_dual_max_num_f32 v13, v13, v13
	v_dual_max_num_f32 v3, v3, v13 :: v_dual_lshlrev_b32 v14, 2, v14
	ds_bpermute_b32 v13, v14, v3
	v_mul_lo_u32 v14, s10, v11
	s_delay_alu instid0(VALU_DEP_1) | instskip(NEXT) | instid1(VALU_DEP_1)
	v_ashrrev_i32_e32 v15, 31, v14
	v_lshlrev_b64_e32 v[18:19], 2, v[14:15]
	s_wait_dscnt 0x0
	v_max_num_f32_e32 v13, v13, v13
	s_delay_alu instid0(VALU_DEP_2) | instskip(NEXT) | instid1(VALU_DEP_2)
	v_add_nc_u64_e32 v[14:15], s[8:9], v[18:19]
	v_max_num_f32_e32 v33, v3, v13
	s_delay_alu instid0(VALU_DEP_1) | instskip(NEXT) | instid1(VALU_DEP_1)
	v_sub_f32_e32 v13, v4, v33
	v_mul_f32_e32 v3, 0x3fb8aa3b, v13
	v_cmp_ngt_f32_e64 s3, 0xc2ce8ed0, v13
	s_delay_alu instid0(VALU_DEP_2) | instskip(SKIP_1) | instid1(VALU_DEP_1)
	v_fma_f32 v4, 0x3fb8aa3b, v13, -v3
	v_rndne_f32_e32 v16, v3
	v_dual_fmac_f32 v4, 0x32a5705f, v13 :: v_dual_sub_f32 v3, v3, v16
	v_cvt_i32_f32_e32 v16, v16
	s_delay_alu instid0(VALU_DEP_2) | instskip(NEXT) | instid1(VALU_DEP_1)
	v_dual_sub_f32 v0, v0, v33 :: v_dual_add_f32 v3, v3, v4
	v_exp_f32_e32 v4, v3
	v_nop
	s_delay_alu instid0(TRANS32_DEP_1) | instskip(NEXT) | instid1(VALU_DEP_1)
	v_ldexp_f32 v4, v4, v16
	v_dual_mov_b32 v3, 0 :: v_dual_cndmask_b32 v16, 0, v4, s3
	v_cmp_nlt_f32_e64 s3, 0x42b17218, v13
	s_delay_alu instid0(VALU_DEP_2) | instskip(SKIP_2) | instid1(VALU_DEP_4)
	v_add_nc_u64_e32 v[14:15], v[14:15], v[2:3]
	v_dual_mov_b32 v4, 0 :: v_dual_bitop2_b32 v21, 28, v12 bitop3:0x40
	v_mov_b32_e32 v73, v3
	v_cndmask_b32_e64 v13, 0x7f800000, v16, s3
	v_cmp_gt_u32_e64 s3, s5, v22
	s_delay_alu instid0(VALU_DEP_4) | instskip(SKIP_2) | instid1(VALU_DEP_4)
	v_add_nc_u64_e32 v[4:5], src_flat_scratch_base_lo, v[4:5]
	v_add_nc_u64_e32 v[14:15], 0x80, v[14:15]
	v_dual_mov_b32 v66, s36 :: v_dual_lshlrev_b32 v17, 1, v22
	v_cndmask_b32_e64 v74, 0, v13, s3
	v_lshlrev_b32_e32 v72, 2, v21
	v_mul_u32_u24_e32 v21, 0xc0, v11
	s_delay_alu instid0(VALU_DEP_4)
	v_add3_u32 v13, 0x1000, v69, v17
	v_cndmask_b32_e32 v15, v5, v15, vcc_lo
	v_cvt_f16_f32_e32 v16, v74
	v_cndmask_b32_e32 v14, v4, v14, vcc_lo
	s_clause 0x1
	scratch_store_b32 off, v3, off
	scratch_store_b96 off, v[66:68], off offset:4
	v_or_b32_e32 v75, v21, v2
	v_cmp_gt_i32_e32 vcc_lo, s5, v25
	ds_store_b16 v13, v16
	flat_load_b128 v[14:17], v[14:15]
	v_add_nc_u64_e32 v[12:13], s[8:9], v[70:71]
	s_clause 0x1
	scratch_store_b32 off, v3, off
	scratch_store_b96 off, v[66:68], off offset:4
	v_mad_u32_u24 v77, 0xc0, v25, v72
	v_add_nc_u64_e32 v[12:13], v[12:13], v[72:73]
	s_delay_alu instid0(VALU_DEP_1)
	v_dual_cndmask_b32 v13, v5, v13 :: v_dual_cndmask_b32 v12, v4, v12
	v_cmp_gt_i32_e32 vcc_lo, s5, v76
	s_add_co_i32 s5, s5, -16
	s_wait_loadcnt_dscnt 0x0
	ds_store_b128 v75, v[14:17] offset:128
	flat_load_b128 v[12:15], v[12:13]
	v_lshl_add_u32 v16, s10, 3, v20
	s_clause 0x1
	scratch_store_b32 off, v3, off
	scratch_store_b96 off, v[66:68], off offset:4
	v_ashrrev_i32_e32 v17, 31, v16
	s_delay_alu instid0(VALU_DEP_1) | instskip(NEXT) | instid1(VALU_DEP_1)
	v_lshlrev_b64_e32 v[20:21], 2, v[16:17]
	v_add_nc_u64_e32 v[16:17], s[8:9], v[20:21]
	s_or_b32 s8, s14, 16
	s_delay_alu instid0(SALU_CYCLE_1) | instskip(NEXT) | instid1(SALU_CYCLE_1)
	s_ashr_i32 s9, s8, 31
	s_mul_u64 s[8:9], s[8:9], s[10:11]
	s_delay_alu instid0(VALU_DEP_1) | instskip(SKIP_1) | instid1(SALU_CYCLE_1)
	v_add_nc_u64_e32 v[16:17], v[16:17], v[72:73]
	s_lshl_b64 s[8:9], s[8:9], 2
	s_add_nc_u64 s[6:7], s[6:7], s[8:9]
	s_delay_alu instid0(SALU_CYCLE_1) | instskip(SKIP_1) | instid1(VALU_DEP_3)
	v_add_nc_u64_e32 v[70:71], s[6:7], v[70:71]
	v_add_nc_u64_e32 v[20:21], s[6:7], v[20:21]
	v_dual_cndmask_b32 v17, v5, v17 :: v_dual_cndmask_b32 v16, v4, v16
	v_cmp_gt_i32_e32 vcc_lo, s5, v11
	s_delay_alu instid0(VALU_DEP_4) | instskip(NEXT) | instid1(VALU_DEP_4)
	v_add_nc_u64_e32 v[70:71], v[70:71], v[72:73]
	v_add_nc_u64_e32 v[20:21], v[20:21], v[72:73]
	s_wait_loadcnt_dscnt 0x0
	ds_store_b128 v77, v[12:15]
	flat_load_b128 v[12:15], v[16:17]
	s_wait_xcnt 0x0
	v_add_nc_u64_e32 v[16:17], s[6:7], v[18:19]
	s_delay_alu instid0(VALU_DEP_1) | instskip(NEXT) | instid1(VALU_DEP_1)
	v_add_nc_u64_e32 v[16:17], v[16:17], v[2:3]
	v_add_nc_u64_e32 v[16:17], 0x80, v[16:17]
	s_delay_alu instid0(VALU_DEP_1) | instskip(NEXT) | instid1(VALU_DEP_2)
	v_dual_cndmask_b32 v62, v4, v16 :: v_dual_add_nc_u32 v11, 0x400, v1
	v_cndmask_b32_e32 v63, v5, v17, vcc_lo
	v_cmp_gt_i32_e32 vcc_lo, s5, v25
	v_dual_cndmask_b32 v71, v5, v71 :: v_dual_add_nc_u32 v78, 0x800, v1
	v_cndmask_b32_e32 v70, v4, v70, vcc_lo
	v_cmp_gt_i32_e32 vcc_lo, s5, v76
	v_dual_cndmask_b32 v5, v5, v21 :: v_dual_cndmask_b32 v4, v4, v20
	v_cmp_ngt_f32_e32 vcc_lo, 0xc2ce8ed0, v0
	s_wait_loadcnt_dscnt 0x0
	ds_store_b128 v77, v[12:15] offset:1536
	s_wait_storecnt_dscnt 0x0
	s_barrier_signal -1
	s_barrier_wait -1
	ds_load_2addr_b64 v[12:15], v1 offset1:24
	ds_load_b128 v[16:19], v69 offset:4096
	ds_load_b128 v[28:31], v69 offset:4112
	ds_load_2addr_b64 v[34:37], v1 offset0:48 offset1:72
	ds_load_2addr_b64 v[38:41], v1 offset0:96 offset1:120
	;; [unrolled: 1-line block ×7, first 2 shown]
	s_wait_dscnt 0x0
	s_barrier_signal -1
	s_barrier_wait -1
	s_clause 0x1
	scratch_store_b32 off, v3, off
	scratch_store_b96 off, v[66:68], off offset:4
	flat_load_b128 v[62:65], v[62:63]
	s_clause 0x1
	scratch_store_b32 off, v3, off
	scratch_store_b96 off, v[66:68], off offset:4
	v_mul_f32_e32 v20, 0x3fb8aa3b, v0
	s_delay_alu instid0(VALU_DEP_1) | instskip(SKIP_1) | instid1(VALU_DEP_1)
	v_fma_f32 v21, 0x3fb8aa3b, v0, -v20
	v_rndne_f32_e32 v25, v20
	v_dual_fmac_f32 v21, 0x32a5705f, v0 :: v_dual_sub_f32 v20, v20, v25
	s_delay_alu instid0(VALU_DEP_1) | instskip(SKIP_3) | instid1(VALU_DEP_4)
	v_add_f32_e32 v20, v20, v21
	v_cvt_i32_f32_e32 v21, v25
	v_and_b32_e32 v25, 0xffff, v17
	v_lshrrev_b32_e32 v17, 16, v17
	v_exp_f32_e32 v20, v20
	v_nop
	s_delay_alu instid0(TRANS32_DEP_1) | instskip(SKIP_2) | instid1(VALU_DEP_3)
	v_ldexp_f32 v20, v20, v21
	v_and_b32_e32 v21, 0xffff, v16
	v_lshrrev_b32_e32 v16, 16, v16
	v_cndmask_b32_e32 v20, 0, v20, vcc_lo
	v_cmp_nlt_f32_e32 vcc_lo, 0x42b17218, v0
	s_delay_alu instid0(VALU_DEP_4) | instskip(NEXT) | instid1(VALU_DEP_4)
	v_mul_u32_u24_e32 v21, 0x10001, v21
	v_mul_u32_u24_e32 v16, 0x10001, v16
	s_delay_alu instid0(VALU_DEP_4) | instskip(NEXT) | instid1(VALU_DEP_3)
	v_cndmask_b32_e32 v20, 0x7f800000, v20, vcc_lo
	v_pk_mul_f16 v12, v12, v21
	v_pk_mul_f16 v13, v13, v21
	v_mul_u32_u24_e32 v21, 0x10001, v25
	s_delay_alu instid0(VALU_DEP_4) | instskip(NEXT) | instid1(VALU_DEP_1)
	v_cvt_f16_f32_e32 v0, v20
	v_and_b32_e32 v0, 0xffff, v0
	s_delay_alu instid0(VALU_DEP_1) | instskip(NEXT) | instid1(VALU_DEP_1)
	v_mul_u32_u24_e32 v0, 0x10001, v0
	v_pk_fma_f16 v12, v27, v0, v12
	v_pk_fma_f16 v0, v26, v0, v13
	v_and_b32_e32 v13, 0xffff, v18
	s_delay_alu instid0(VALU_DEP_3) | instskip(NEXT) | instid1(VALU_DEP_3)
	v_pk_fma_f16 v12, v14, v16, v12
	v_pk_fma_f16 v0, v15, v16, v0
	v_mul_u32_u24_e32 v14, 0x10001, v17
	v_lshrrev_b32_e32 v15, 16, v18
	v_mul_u32_u24_e32 v13, 0x10001, v13
	v_pk_fma_f16 v12, v34, v21, v12
	v_pk_fma_f16 v0, v35, v21, v0
	v_and_b32_e32 v16, 0xffff, v19
	v_mul_u32_u24_e32 v15, 0x10001, v15
	v_and_b32_e32 v17, 0xffff, v30
	v_pk_fma_f16 v12, v36, v14, v12
	v_pk_fma_f16 v0, v37, v14, v0
	v_lshrrev_b32_e32 v14, 16, v19
	v_mul_u32_u24_e32 v16, 0x10001, v16
	v_mul_u32_u24_e32 v17, 0x10001, v17
	v_pk_fma_f16 v12, v38, v13, v12
	v_pk_fma_f16 v0, v39, v13, v0
	v_and_b32_e32 v13, 0xffff, v28
	v_fmac_f32_e32 v74, v32, v20
	s_delay_alu instid0(VALU_DEP_4) | instskip(NEXT) | instid1(VALU_DEP_4)
	v_pk_fma_f16 v12, v40, v15, v12
	v_pk_fma_f16 v0, v41, v15, v0
	v_lshrrev_b32_e32 v15, 16, v28
	v_mul_u32_u24_e32 v14, 0x10001, v14
	v_mul_u32_u24_e32 v13, 0x10001, v13
	v_pk_fma_f16 v12, v42, v16, v12
	v_pk_fma_f16 v0, v43, v16, v0
	v_and_b32_e32 v16, 0xffff, v29
	v_mul_u32_u24_e32 v15, 0x10001, v15
	v_mov_b32_e32 v32, v74
	v_pk_fma_f16 v12, v44, v14, v12
	v_pk_fma_f16 v0, v45, v14, v0
	v_lshrrev_b32_e32 v14, 16, v29
	v_mul_u32_u24_e32 v16, 0x10001, v16
	s_delay_alu instid0(VALU_DEP_4) | instskip(NEXT) | instid1(VALU_DEP_4)
	v_pk_fma_f16 v12, v46, v13, v12
	v_pk_fma_f16 v0, v47, v13, v0
	v_lshrrev_b32_e32 v13, 16, v30
	v_mul_u32_u24_e32 v14, 0x10001, v14
	s_delay_alu instid0(VALU_DEP_4) | instskip(NEXT) | instid1(VALU_DEP_4)
	v_pk_fma_f16 v12, v48, v15, v12
	v_pk_fma_f16 v0, v49, v15, v0
	v_and_b32_e32 v15, 0xffff, v31
	s_delay_alu instid0(VALU_DEP_3) | instskip(NEXT) | instid1(VALU_DEP_3)
	v_pk_fma_f16 v12, v50, v16, v12
	v_pk_fma_f16 v0, v51, v16, v0
	v_mul_u32_u24_e32 v16, 0x10001, v13
	s_delay_alu instid0(VALU_DEP_4) | instskip(NEXT) | instid1(VALU_DEP_4)
	v_mul_u32_u24_e32 v21, 0x10001, v15
	v_pk_fma_f16 v12, v52, v14, v12
	s_delay_alu instid0(VALU_DEP_4) | instskip(NEXT) | instid1(VALU_DEP_2)
	v_pk_fma_f16 v0, v53, v14, v0
	v_pk_fma_f16 v18, v54, v17, v12
	s_delay_alu instid0(VALU_DEP_2) | instskip(NEXT) | instid1(VALU_DEP_2)
	v_pk_fma_f16 v0, v55, v17, v0
	v_pk_fma_f16 v17, v56, v16, v18
	s_delay_alu instid0(VALU_DEP_2) | instskip(NEXT) | instid1(VALU_DEP_2)
	v_pk_fma_f16 v0, v57, v16, v0
	v_pk_fma_f16 v30, v58, v21, v17
	s_delay_alu instid0(VALU_DEP_2)
	v_pk_fma_f16 v0, v59, v21, v0
	s_wait_loadcnt_dscnt 0x0
	ds_store_b128 v75, v[62:65] offset:128
	flat_load_b128 v[62:65], v[70:71]
	s_clause 0x1
	scratch_store_b32 off, v3, off
	scratch_store_b96 off, v[66:68], off offset:4
	s_wait_loadcnt_dscnt 0x0
	ds_store_b128 v77, v[62:65]
	flat_load_b128 v[2:5], v[4:5]
	s_wait_loadcnt_dscnt 0x0
	ds_store_b128 v77, v[2:5] offset:1536
	s_wait_storecnt_dscnt 0x0
	s_barrier_signal -1
	s_barrier_wait -1
	s_wait_xcnt 0x0
	ds_load_b128 v[2:5], v69 offset:4128
	ds_load_2addr_b64 v[12:15], v1 offset1:24
	v_lshrrev_b32_e32 v19, 16, v31
	s_wait_dscnt 0x1
	v_and_b32_e32 v31, 0xffff, v2
	v_lshrrev_b32_e32 v2, 16, v2
	s_delay_alu instid0(VALU_DEP_3)
	v_mul_u32_u24_e32 v25, 0x10001, v19
	ds_load_b128 v[16:19], v69 offset:4144
	ds_load_2addr_b64 v[26:29], v1 offset0:48 offset1:72
	ds_load_2addr_b64 v[34:37], v1 offset0:96 offset1:120
	v_mul_u32_u24_e32 v2, 0x10001, v2
	v_pk_fma_f16 v21, v60, v25, v30
	v_mul_u32_u24_e32 v30, 0x10001, v31
	v_pk_fma_f16 v0, v61, v25, v0
	v_and_b32_e32 v25, 0xffff, v3
	v_lshrrev_b32_e32 v3, 16, v3
	s_wait_dscnt 0x3
	v_pk_fma_f16 v12, v12, v30, v21
	v_pk_fma_f16 v0, v13, v30, v0
	v_mul_u32_u24_e32 v21, 0x10001, v25
	s_delay_alu instid0(VALU_DEP_3) | instskip(NEXT) | instid1(VALU_DEP_3)
	v_pk_fma_f16 v25, v14, v2, v12
	v_pk_fma_f16 v0, v15, v2, v0
	ds_load_2addr_b64 v[12:15], v1 offset0:144 offset1:168
	v_and_b32_e32 v2, 0xffff, v4
	v_lshrrev_b32_e32 v4, 16, v4
	v_mul_u32_u24_e32 v3, 0x10001, v3
	s_wait_dscnt 0x2
	v_pk_fma_f16 v25, v26, v21, v25
	v_pk_fma_f16 v0, v27, v21, v0
	v_mul_u32_u24_e32 v21, 0x10001, v2
	v_and_b32_e32 v27, 0xffff, v5
	v_mul_u32_u24_e32 v4, 0x10001, v4
	v_pk_fma_f16 v25, v28, v3, v25
	v_pk_fma_f16 v26, v29, v3, v0
	ds_load_2addr_b64 v[0:3], v1 offset0:192 offset1:216
	v_lshrrev_b32_e32 v5, 16, v5
	v_mul_u32_u24_e32 v30, 0x10001, v27
	s_wait_dscnt 0x2
	v_pk_fma_f16 v25, v34, v21, v25
	v_pk_fma_f16 v21, v35, v21, v26
	ds_load_2addr_b64 v[26:29], v11 offset0:112 offset1:136
	v_and_b32_e32 v11, 0xffff, v16
	v_lshrrev_b32_e32 v16, 16, v16
	v_pk_fma_f16 v25, v36, v4, v25
	v_pk_fma_f16 v4, v37, v4, v21
	v_mul_u32_u24_e32 v5, 0x10001, v5
	v_mul_u32_u24_e32 v11, 0x10001, v11
	;; [unrolled: 1-line block ×3, first 2 shown]
	s_wait_dscnt 0x2
	v_pk_fma_f16 v12, v12, v30, v25
	v_pk_fma_f16 v4, v13, v30, v4
	s_delay_alu instid0(VALU_DEP_2) | instskip(NEXT) | instid1(VALU_DEP_2)
	v_pk_fma_f16 v21, v14, v5, v12
	v_pk_fma_f16 v4, v15, v5, v4
	ds_load_2addr_b64 v[12:15], v78 offset0:32 offset1:56
	v_and_b32_e32 v5, 0xffff, v17
	s_wait_dscnt 0x2
	v_pk_fma_f16 v0, v0, v11, v21
	v_pk_fma_f16 v1, v1, v11, v4
	v_lshrrev_b32_e32 v4, 16, v17
	v_mul_u32_u24_e32 v5, 0x10001, v5
	v_and_b32_e32 v17, 0xffff, v18
	v_pk_fma_f16 v11, v2, v16, v0
	v_pk_fma_f16 v16, v3, v16, v1
	ds_load_2addr_b64 v[0:3], v78 offset0:80 offset1:104
	s_wait_dscnt 0x0
	v_mul_u32_u24_e32 v17, 0x10001, v17
	v_pk_fma_f16 v11, v26, v5, v11
	v_pk_fma_f16 v5, v27, v5, v16
	v_lshrrev_b32_e32 v16, 16, v18
	v_mul_u32_u24_e32 v4, 0x10001, v4
	s_barrier_signal -1
	s_barrier_wait -1
	s_delay_alu instid0(VALU_DEP_2) | instskip(NEXT) | instid1(VALU_DEP_2)
	v_mul_u32_u24_e32 v16, 0x10001, v16
	v_pk_fma_f16 v11, v28, v4, v11
	v_pk_fma_f16 v4, v29, v4, v5
	v_and_b32_e32 v5, 0xffff, v19
	s_delay_alu instid0(VALU_DEP_3) | instskip(NEXT) | instid1(VALU_DEP_3)
	v_pk_fma_f16 v11, v12, v17, v11
	v_pk_fma_f16 v4, v13, v17, v4
	v_lshrrev_b32_e32 v12, 16, v19
	s_delay_alu instid0(VALU_DEP_4) | instskip(NEXT) | instid1(VALU_DEP_4)
	v_mul_u32_u24_e32 v5, 0x10001, v5
	v_pk_fma_f16 v11, v14, v16, v11
	s_delay_alu instid0(VALU_DEP_4) | instskip(NEXT) | instid1(VALU_DEP_4)
	v_pk_fma_f16 v4, v15, v16, v4
	v_mul_u32_u24_e32 v12, 0x10001, v12
	s_delay_alu instid0(VALU_DEP_3) | instskip(NEXT) | instid1(VALU_DEP_3)
	v_pk_fma_f16 v11, v0, v5, v11
	v_pk_fma_f16 v1, v1, v5, v4
	v_dual_mov_b32 v4, 32 :: v_dual_mov_b32 v0, v33
	s_delay_alu instid0(VALU_DEP_3) | instskip(NEXT) | instid1(VALU_DEP_3)
	v_pk_fma_f16 v27, v2, v12, v11
	v_pk_fma_f16 v26, v3, v12, v1
.LBB68_24:
	s_delay_alu instid0(VALU_DEP_3)
	v_cmp_lt_i32_e32 vcc_lo, v8, v4
	s_cmp_eq_u64 s[12:13], 0
	s_cselect_b32 s3, -1, 0
	s_cmp_lg_u32 s26, 0
	v_cndmask_b32_e32 v1, v24, v8, vcc_lo
	v_cmp_lt_i32_e32 vcc_lo, v6, v4
	s_cselect_b32 s4, -1, 0
	s_delay_alu instid0(SALU_CYCLE_1) | instskip(NEXT) | instid1(VALU_DEP_2)
	s_or_b32 s3, s4, s3
	v_dual_cndmask_b32 v2, v24, v6 :: v_dual_lshlrev_b32 v1, 2, v1
	v_cmp_lt_i32_e32 vcc_lo, v7, v4
	s_delay_alu instid0(VALU_DEP_2) | instskip(SKIP_4) | instid1(VALU_DEP_2)
	v_lshlrev_b32_e32 v2, 2, v2
	ds_bpermute_b32 v1, v1, v32
	v_cndmask_b32_e32 v3, v24, v7, vcc_lo
	v_cmp_lt_i32_e32 vcc_lo, v9, v4
	s_wait_dscnt 0x0
	v_dual_lshlrev_b32 v3, 2, v3 :: v_dual_add_f32 v1, v32, v1
	ds_bpermute_b32 v2, v2, v1
	s_wait_dscnt 0x0
	v_add_f32_e32 v1, v1, v2
	ds_bpermute_b32 v2, v3, v1
	v_cndmask_b32_e32 v3, v24, v9, vcc_lo
	v_cmp_lt_i32_e32 vcc_lo, v10, v4
	s_wait_dscnt 0x0
	s_delay_alu instid0(VALU_DEP_2) | instskip(SKIP_4) | instid1(VALU_DEP_1)
	v_dual_add_f32 v1, v1, v2 :: v_dual_lshlrev_b32 v3, 2, v3
	ds_bpermute_b32 v2, v3, v1
	v_cndmask_b32_e32 v3, v24, v10, vcc_lo
	s_and_b32 vcc_lo, exec_lo, s3
	s_wait_dscnt 0x0
	v_dual_add_f32 v1, v1, v2 :: v_dual_lshlrev_b32 v3, 2, v3
	ds_bpermute_b32 v2, v3, v1
	s_wait_dscnt 0x0
	v_add_f32_e32 v1, v1, v2
	s_cbranch_vccnz .LBB68_27
; %bb.25:
	v_mov_b32_e32 v2, s33
	global_load_b32 v3, v2, s[12:13] scale_offset
	s_wait_loadcnt 0x0
	v_dual_max_num_f32 v2, v0, v0 :: v_dual_max_num_f32 v4, v3, v3
	s_delay_alu instid0(VALU_DEP_1) | instskip(NEXT) | instid1(VALU_DEP_1)
	v_max_num_f32_e32 v2, v2, v4
	v_sub_f32_e32 v0, v0, v2
	s_delay_alu instid0(VALU_DEP_1) | instskip(NEXT) | instid1(VALU_DEP_1)
	v_mul_f32_e32 v4, 0x3fb8aa3b, v0
	v_rndne_f32_e32 v6, v4
	v_fma_f32 v5, 0x3fb8aa3b, v0, -v4
	s_delay_alu instid0(VALU_DEP_2) | instskip(SKIP_3) | instid1(VALU_DEP_3)
	v_sub_f32_e32 v4, v4, v6
	v_sub_f32_e32 v3, v3, v2
	v_cvt_i32_f32_e32 v6, v6
	v_cmp_ngt_f32_e32 vcc_lo, 0xc2ce8ed0, v0
	v_mul_f32_e32 v7, 0x3fb8aa3b, v3
	s_delay_alu instid0(VALU_DEP_1) | instskip(SKIP_2) | instid1(VALU_DEP_3)
	v_fma_f32 v8, 0x3fb8aa3b, v3, -v7
	v_fmac_f32_e32 v5, 0x32a5705f, v0
	v_rndne_f32_e32 v9, v7
	v_fmac_f32_e32 v8, 0x32a5705f, v3
	s_delay_alu instid0(VALU_DEP_3) | instskip(NEXT) | instid1(VALU_DEP_3)
	v_add_f32_e32 v4, v4, v5
	v_sub_f32_e32 v5, v7, v9
	s_delay_alu instid0(VALU_DEP_1) | instskip(NEXT) | instid1(VALU_DEP_3)
	v_add_f32_e32 v5, v5, v8
	v_exp_f32_e32 v4, v4
	s_delay_alu instid0(VALU_DEP_1) | instskip(NEXT) | instid1(TRANS32_DEP_2)
	v_exp_f32_e32 v5, v5
	v_ldexp_f32 v4, v4, v6
	v_cvt_i32_f32_e32 v6, v9
	s_delay_alu instid0(VALU_DEP_2) | instskip(SKIP_1) | instid1(VALU_DEP_2)
	v_cndmask_b32_e32 v4, 0, v4, vcc_lo
	v_cmp_nlt_f32_e32 vcc_lo, 0x42b17218, v0
	v_cndmask_b32_e32 v0, 0x7f800000, v4, vcc_lo
	s_delay_alu instid0(TRANS32_DEP_1) | instid1(VALU_DEP_4)
	v_ldexp_f32 v4, v5, v6
	v_cmp_ngt_f32_e32 vcc_lo, 0xc2ce8ed0, v3
	s_delay_alu instid0(VALU_DEP_3) | instskip(NEXT) | instid1(VALU_DEP_3)
	v_cvt_f16_f32_e32 v5, v0
	v_cndmask_b32_e32 v4, 0, v4, vcc_lo
	v_cmp_nlt_f32_e32 vcc_lo, 0x42b17218, v3
	s_delay_alu instid0(VALU_DEP_3) | instskip(NEXT) | instid1(VALU_DEP_3)
	v_and_b32_e32 v5, 0xffff, v5
	v_cndmask_b32_e32 v3, 0x7f800000, v4, vcc_lo
	s_delay_alu instid0(VALU_DEP_2) | instskip(NEXT) | instid1(VALU_DEP_2)
	v_mul_u32_u24_e32 v4, 0x10001, v5
	v_fmac_f32_e32 v3, v1, v0
	s_delay_alu instid0(VALU_DEP_2) | instskip(SKIP_1) | instid1(VALU_DEP_3)
	v_pk_mul_f16 v27, v27, v4
	v_pk_mul_f16 v26, v26, v4
	v_mov_b64_e32 v[0:1], v[2:3]
	s_mov_b32 s3, exec_lo
	v_cmpx_gt_i32_e64 s22, v23
	s_cbranch_execnz .LBB68_28
.LBB68_26:
	s_sendmsg sendmsg(MSG_DEALLOC_VGPRS)
	s_endpgm
.LBB68_27:
	s_delay_alu instid0(VALU_DEP_1)
	v_mov_b32_e32 v3, v1
	s_mov_b32 s3, exec_lo
	v_cmpx_gt_i32_e64 s22, v23
	s_cbranch_execz .LBB68_26
.LBB68_28:
	v_mad_u32 v2, s28, s22, v23
	s_load_b32 s0, s[0:1], 0xd4
	s_delay_alu instid0(VALU_DEP_1) | instskip(SKIP_2) | instid1(VALU_DEP_1)
	v_mad_u32 v2, v2, s23, s33
	s_wait_kmcnt 0x0
	s_cmp_lg_u32 s0, 1
	v_mad_u32 v2, s0, v2, s26
	s_cselect_b32 s0, -1, 0
	s_and_saveexec_b32 s1, s2
	s_cbranch_execz .LBB68_30
; %bb.29:
	v_div_scale_f32 v4, null, v3, v3, 1.0
	v_div_scale_f32 v7, vcc_lo, 1.0, v3, 1.0
	v_lshrrev_b32_e32 v9, 16, v26
	s_delay_alu instid0(VALU_DEP_3) | instskip(NEXT) | instid1(VALU_DEP_1)
	v_rcp_f32_e32 v5, v4
	v_cvt_f32_f16_e32 v9, v9
	s_delay_alu instid0(TRANS32_DEP_1) | instskip(NEXT) | instid1(VALU_DEP_1)
	v_fma_f32 v6, -v4, v5, 1.0
	v_fmac_f32_e32 v5, v6, v5
	s_delay_alu instid0(VALU_DEP_1) | instskip(NEXT) | instid1(VALU_DEP_1)
	v_mul_f32_e32 v6, v7, v5
	v_fma_f32 v8, -v4, v6, v7
	s_delay_alu instid0(VALU_DEP_1) | instskip(SKIP_1) | instid1(VALU_DEP_2)
	v_fmac_f32_e32 v6, v8, v5
	v_cvt_f32_f16_e32 v8, v26
	v_fma_f32 v4, -v4, v6, v7
	v_lshlrev_b32_e32 v7, 2, v22
	s_delay_alu instid0(VALU_DEP_2) | instskip(NEXT) | instid1(VALU_DEP_2)
	v_div_fmas_f32 v6, v4, v5, v6
	v_mad_u32 v4, 0x60, v2, v7
	v_dual_lshrrev_b32 v7, 16, v27 :: v_dual_mov_b32 v5, 0
	s_delay_alu instid0(VALU_DEP_3) | instskip(SKIP_1) | instid1(VALU_DEP_3)
	v_div_fixup_f32 v3, v6, v3, 1.0
	v_cvt_f32_f16_e32 v6, v27
	v_cvt_f32_f16_e32 v7, v7
	s_delay_alu instid0(VALU_DEP_3) | instskip(SKIP_1) | instid1(VALU_DEP_2)
	v_cndmask_b32_e64 v10, v3, 1.0, s0
	v_lshl_add_u64 v[12:13], v[4:5], 2, s[16:17]
	v_pk_mul_f32 v[4:5], v[10:11], v[6:7] op_sel_hi:[0,1]
	v_pk_mul_f32 v[6:7], v[10:11], v[8:9] op_sel_hi:[0,1]
	global_store_b128 v[12:13], v[4:7], off
.LBB68_30:
	s_wait_xcnt 0x0
	s_or_b32 exec_lo, exec_lo, s1
	v_cmp_eq_u32_e32 vcc_lo, 0, v22
	s_and_b32 s0, vcc_lo, s0
	s_delay_alu instid0(SALU_CYCLE_1)
	s_and_b32 exec_lo, exec_lo, s0
	s_cbranch_execz .LBB68_26
; %bb.31:
	global_store_b64 v2, v[0:1], s[18:19] scale_offset
	s_sendmsg sendmsg(MSG_DEALLOC_VGPRS)
	s_endpgm
	.section	.rodata,"a",@progbits
	.p2align	6, 0x0
	.amdhsa_kernel _ZL15flash_attn_tileILi96ELi96ELi2ELi1ELb0EEvPKcS1_S1_S1_S1_PKiPfP15HIP_vector_typeIfLj2EEffffjfiS5_IjLj3EEiiiiiiiiiiiliiliiiiil
		.amdhsa_group_segment_fixed_size 4224
		.amdhsa_private_segment_fixed_size 32
		.amdhsa_kernarg_size 464
		.amdhsa_user_sgpr_count 2
		.amdhsa_user_sgpr_dispatch_ptr 0
		.amdhsa_user_sgpr_queue_ptr 0
		.amdhsa_user_sgpr_kernarg_segment_ptr 1
		.amdhsa_user_sgpr_dispatch_id 0
		.amdhsa_user_sgpr_kernarg_preload_length 0
		.amdhsa_user_sgpr_kernarg_preload_offset 0
		.amdhsa_user_sgpr_private_segment_size 0
		.amdhsa_wavefront_size32 1
		.amdhsa_uses_dynamic_stack 0
		.amdhsa_enable_private_segment 1
		.amdhsa_system_sgpr_workgroup_id_x 1
		.amdhsa_system_sgpr_workgroup_id_y 1
		.amdhsa_system_sgpr_workgroup_id_z 1
		.amdhsa_system_sgpr_workgroup_info 0
		.amdhsa_system_vgpr_workitem_id 1
		.amdhsa_next_free_vgpr 106
		.amdhsa_next_free_sgpr 46
		.amdhsa_named_barrier_count 0
		.amdhsa_reserve_vcc 1
		.amdhsa_float_round_mode_32 0
		.amdhsa_float_round_mode_16_64 0
		.amdhsa_float_denorm_mode_32 3
		.amdhsa_float_denorm_mode_16_64 3
		.amdhsa_fp16_overflow 0
		.amdhsa_memory_ordered 1
		.amdhsa_forward_progress 1
		.amdhsa_inst_pref_size 82
		.amdhsa_round_robin_scheduling 0
		.amdhsa_exception_fp_ieee_invalid_op 0
		.amdhsa_exception_fp_denorm_src 0
		.amdhsa_exception_fp_ieee_div_zero 0
		.amdhsa_exception_fp_ieee_overflow 0
		.amdhsa_exception_fp_ieee_underflow 0
		.amdhsa_exception_fp_ieee_inexact 0
		.amdhsa_exception_int_div_zero 0
	.end_amdhsa_kernel
	.section	.text._ZL15flash_attn_tileILi96ELi96ELi2ELi1ELb0EEvPKcS1_S1_S1_S1_PKiPfP15HIP_vector_typeIfLj2EEffffjfiS5_IjLj3EEiiiiiiiiiiiliiliiiiil,"axG",@progbits,_ZL15flash_attn_tileILi96ELi96ELi2ELi1ELb0EEvPKcS1_S1_S1_S1_PKiPfP15HIP_vector_typeIfLj2EEffffjfiS5_IjLj3EEiiiiiiiiiiiliiliiiiil,comdat
.Lfunc_end68:
	.size	_ZL15flash_attn_tileILi96ELi96ELi2ELi1ELb0EEvPKcS1_S1_S1_S1_PKiPfP15HIP_vector_typeIfLj2EEffffjfiS5_IjLj3EEiiiiiiiiiiiliiliiiiil, .Lfunc_end68-_ZL15flash_attn_tileILi96ELi96ELi2ELi1ELb0EEvPKcS1_S1_S1_S1_PKiPfP15HIP_vector_typeIfLj2EEffffjfiS5_IjLj3EEiiiiiiiiiiiliiliiiiil
                                        ; -- End function
	.set _ZL15flash_attn_tileILi96ELi96ELi2ELi1ELb0EEvPKcS1_S1_S1_S1_PKiPfP15HIP_vector_typeIfLj2EEffffjfiS5_IjLj3EEiiiiiiiiiiiliiliiiiil.num_vgpr, 106
	.set _ZL15flash_attn_tileILi96ELi96ELi2ELi1ELb0EEvPKcS1_S1_S1_S1_PKiPfP15HIP_vector_typeIfLj2EEffffjfiS5_IjLj3EEiiiiiiiiiiiliiliiiiil.num_agpr, 0
	.set _ZL15flash_attn_tileILi96ELi96ELi2ELi1ELb0EEvPKcS1_S1_S1_S1_PKiPfP15HIP_vector_typeIfLj2EEffffjfiS5_IjLj3EEiiiiiiiiiiiliiliiiiil.numbered_sgpr, 46
	.set _ZL15flash_attn_tileILi96ELi96ELi2ELi1ELb0EEvPKcS1_S1_S1_S1_PKiPfP15HIP_vector_typeIfLj2EEffffjfiS5_IjLj3EEiiiiiiiiiiiliiliiiiil.num_named_barrier, 0
	.set _ZL15flash_attn_tileILi96ELi96ELi2ELi1ELb0EEvPKcS1_S1_S1_S1_PKiPfP15HIP_vector_typeIfLj2EEffffjfiS5_IjLj3EEiiiiiiiiiiiliiliiiiil.private_seg_size, 32
	.set _ZL15flash_attn_tileILi96ELi96ELi2ELi1ELb0EEvPKcS1_S1_S1_S1_PKiPfP15HIP_vector_typeIfLj2EEffffjfiS5_IjLj3EEiiiiiiiiiiiliiliiiiil.uses_vcc, 1
	.set _ZL15flash_attn_tileILi96ELi96ELi2ELi1ELb0EEvPKcS1_S1_S1_S1_PKiPfP15HIP_vector_typeIfLj2EEffffjfiS5_IjLj3EEiiiiiiiiiiiliiliiiiil.uses_flat_scratch, 1
	.set _ZL15flash_attn_tileILi96ELi96ELi2ELi1ELb0EEvPKcS1_S1_S1_S1_PKiPfP15HIP_vector_typeIfLj2EEffffjfiS5_IjLj3EEiiiiiiiiiiiliiliiiiil.has_dyn_sized_stack, 0
	.set _ZL15flash_attn_tileILi96ELi96ELi2ELi1ELb0EEvPKcS1_S1_S1_S1_PKiPfP15HIP_vector_typeIfLj2EEffffjfiS5_IjLj3EEiiiiiiiiiiiliiliiiiil.has_recursion, 0
	.set _ZL15flash_attn_tileILi96ELi96ELi2ELi1ELb0EEvPKcS1_S1_S1_S1_PKiPfP15HIP_vector_typeIfLj2EEffffjfiS5_IjLj3EEiiiiiiiiiiiliiliiiiil.has_indirect_call, 0
	.section	.AMDGPU.csdata,"",@progbits
; Kernel info:
; codeLenInByte = 10392
; TotalNumSgprs: 48
; NumVgprs: 106
; ScratchSize: 32
; MemoryBound: 0
; FloatMode: 240
; IeeeMode: 1
; LDSByteSize: 4224 bytes/workgroup (compile time only)
; SGPRBlocks: 0
; VGPRBlocks: 6
; NumSGPRsForWavesPerEU: 48
; NumVGPRsForWavesPerEU: 106
; NamedBarCnt: 0
; Occupancy: 9
; WaveLimiterHint : 1
; COMPUTE_PGM_RSRC2:SCRATCH_EN: 1
; COMPUTE_PGM_RSRC2:USER_SGPR: 2
; COMPUTE_PGM_RSRC2:TRAP_HANDLER: 0
; COMPUTE_PGM_RSRC2:TGID_X_EN: 1
; COMPUTE_PGM_RSRC2:TGID_Y_EN: 1
; COMPUTE_PGM_RSRC2:TGID_Z_EN: 1
; COMPUTE_PGM_RSRC2:TIDIG_COMP_CNT: 1
	.section	.text._ZL33flash_attn_stream_k_fixup_uniformILi96ELi2ELi1EEvPfPK15HIP_vector_typeIfLj2EEiiiiiiS1_IjLj3EES5_S5_,"axG",@progbits,_ZL33flash_attn_stream_k_fixup_uniformILi96ELi2ELi1EEvPfPK15HIP_vector_typeIfLj2EEiiiiiiS1_IjLj3EES5_S5_,comdat
	.globl	_ZL33flash_attn_stream_k_fixup_uniformILi96ELi2ELi1EEvPfPK15HIP_vector_typeIfLj2EEiiiiiiS1_IjLj3EES5_S5_ ; -- Begin function _ZL33flash_attn_stream_k_fixup_uniformILi96ELi2ELi1EEvPfPK15HIP_vector_typeIfLj2EEiiiiiiS1_IjLj3EES5_S5_
	.p2align	8
	.type	_ZL33flash_attn_stream_k_fixup_uniformILi96ELi2ELi1EEvPfPK15HIP_vector_typeIfLj2EEiiiiiiS1_IjLj3EES5_S5_,@function
_ZL33flash_attn_stream_k_fixup_uniformILi96ELi2ELi1EEvPfPK15HIP_vector_typeIfLj2EEiiiiiiS1_IjLj3EES5_S5_: ; @_ZL33flash_attn_stream_k_fixup_uniformILi96ELi2ELi1EEvPfPK15HIP_vector_typeIfLj2EEiiiiiiS1_IjLj3EES5_S5_
; %bb.0:
	s_load_b256 s[4:11], s[0:1], 0x1c
	s_bfe_u32 s2, ttmp6, 0x40014
	s_lshr_b32 s3, ttmp7, 16
	s_add_co_i32 s2, s2, 1
	s_bfe_u32 s13, ttmp6, 0x40010
	s_mul_i32 s2, s3, s2
	s_bfe_u32 s12, ttmp6, 0x40008
	s_and_b32 s14, ttmp7, 0xffff
	s_add_co_i32 s13, s13, 1
	s_bfe_u32 s15, ttmp6, 0x4000c
	s_add_co_i32 s2, s12, s2
	s_mul_i32 s12, s14, s13
	s_bfe_u32 s13, ttmp6, 0x40004
	s_add_co_i32 s15, s15, 1
	s_add_co_i32 s13, s13, s12
	s_and_b32 s12, ttmp6, 15
	s_mul_i32 s15, ttmp9, s15
	s_getreg_b32 s20, hwreg(HW_REG_IB_STS2, 6, 4)
	s_add_co_i32 s12, s12, s15
	s_load_b128 s[16:19], s[0:1], 0x3c
	s_cmp_eq_u32 s20, 0
	s_cselect_b32 s12, ttmp9, s12
	s_cselect_b32 s13, s14, s13
	s_wait_kmcnt 0x0
	s_mul_hi_u32 s7, s7, s12
	s_cselect_b32 s14, s3, s2
	s_add_co_i32 s2, s12, s7
	s_delay_alu instid0(SALU_CYCLE_1) | instskip(NEXT) | instid1(SALU_CYCLE_1)
	s_lshr_b32 s7, s2, s8
	s_mul_i32 s2, s7, s9
	s_delay_alu instid0(SALU_CYCLE_1) | instskip(NEXT) | instid1(SALU_CYCLE_1)
	s_sub_co_i32 s8, s12, s2
	s_mul_hi_u32 s2, s8, s10
	s_delay_alu instid0(SALU_CYCLE_1) | instskip(SKIP_2) | instid1(SALU_CYCLE_1)
	s_add_co_i32 s9, s8, s2
	s_load_b64 s[2:3], s[0:1], 0x10
	s_lshr_b32 s15, s9, s11
	s_mul_i32 s9, s15, s16
	s_delay_alu instid0(SALU_CYCLE_1) | instskip(NEXT) | instid1(SALU_CYCLE_1)
	s_sub_co_i32 s8, s8, s9
	s_mul_hi_u32 s9, s8, s17
	s_delay_alu instid0(SALU_CYCLE_1) | instskip(NEXT) | instid1(SALU_CYCLE_1)
	s_add_co_i32 s9, s8, s9
	s_lshr_b32 s17, s9, s18
	s_delay_alu instid0(SALU_CYCLE_1) | instskip(NEXT) | instid1(SALU_CYCLE_1)
	s_mul_i32 s9, s17, s19
	s_sub_co_i32 s16, s8, s9
	s_delay_alu instid0(SALU_CYCLE_1) | instskip(NEXT) | instid1(SALU_CYCLE_1)
	s_lshl_b32 s8, s16, 1
	s_add_co_i32 s8, s8, s13
	s_wait_kmcnt 0x0
	s_cmp_lt_i32 s8, s2
	s_cselect_b32 s8, -1, 0
	s_add_co_i32 s17, s17, s14
	s_delay_alu instid0(SALU_CYCLE_1) | instskip(SKIP_1) | instid1(SALU_CYCLE_1)
	s_cmp_lt_i32 s17, s5
	s_cselect_b32 s9, -1, 0
	s_and_b32 s8, s8, s9
	s_delay_alu instid0(SALU_CYCLE_1)
	s_and_not1_b32 vcc_lo, exec_lo, s8
	s_cbranch_vccnz .LBB69_6
; %bb.1:
	s_load_b128 s[8:11], s[0:1], 0x0
	s_wait_xcnt 0x0
	s_mul_i32 s0, s7, s2
	s_mul_i32 s15, s15, s5
	s_add_co_i32 s0, s0, s13
	s_add_co_i32 s1, s17, s15
	s_mul_i32 s0, s0, s3
	s_mul_i32 s2, s3, s16
	s_add_co_i32 s0, s1, s0
	s_mulk_i32 s2, 0xc0
	s_mulk_i32 s0, 0x60
	s_mul_i32 s7, s6, s12
	v_add3_u32 v4, s0, s2, v0
	s_add_co_i32 s5, s7, s6
	s_add_co_i32 s13, s13, s14
	s_lshl_b32 s0, s5, 1
	s_add_co_i32 s2, s5, -2
	s_add_co_i32 s0, s13, s0
	v_ashrrev_i32_e32 v5, 31, v4
	s_add_co_i32 s0, s0, -2
	s_delay_alu instid0(SALU_CYCLE_1)
	s_ashr_i32 s1, s0, 31
	s_wait_kmcnt 0x0
	global_load_b32 v3, v4, s[8:9] scale_offset
	s_lshl_b64 s[0:1], s[0:1], 3
	s_cmp_lt_i32 s2, s7
	s_add_nc_u64 s[0:1], s[10:11], s[0:1]
	s_load_b32 s14, s[0:1], 0x4
	s_cbranch_scc1 .LBB69_4
; %bb.2:
	s_wait_xcnt 0x0
	s_load_b32 s0, s[0:1], 0x0
	s_add_co_i32 s12, s12, 1
	s_lshl_b32 s2, s4, 3
	s_wait_xcnt 0x0
	s_mul_i32 s1, s6, s12
	s_mul_i32 s6, s13, 0x60
	s_lshl_b32 s12, s1, 1
	s_mulk_i32 s1, 0xc0
	s_ashr_i32 s3, s2, 31
	s_add_co_i32 s6, s6, s1
	s_add_co_i32 s12, s13, s12
	s_lshl_b32 s1, s4, 1
	v_add3_u32 v0, s6, v0, 0xfffffe80
	s_wait_kmcnt 0x0
	v_mov_b32_e32 v2, s14
	s_lshl_b64 s[2:3], s[2:3], 2
	s_add_co_i32 s4, s12, s1
	s_add_nc_u64 s[2:3], s[10:11], s[2:3]
	s_add_co_i32 s1, s5, -1
	s_add_co_i32 s4, s4, -4
.LBB69_3:                               ; =>This Inner Loop Header: Depth=1
	global_load_b32 v7, v0, s[2:3] scale_offset
	s_ashr_i32 s5, s4, 31
	v_max_num_f32_e64 v1, s0, s0
	s_lshl_b64 s[12:13], s[4:5], 3
	s_delay_alu instid0(SALU_CYCLE_1) | instskip(SKIP_1) | instid1(VALU_DEP_1)
	s_add_nc_u64 s[12:13], s[10:11], s[12:13]
	s_load_b64 s[12:13], s[12:13], 0x0
	v_readfirstlane_b32 s5, v1
	v_add_nc_u32_e32 v0, 0xffffff40, v0
	s_wait_kmcnt 0x0
	v_max_num_f32_e64 v1, s12, s12
	s_delay_alu instid0(VALU_DEP_1) | instskip(SKIP_1) | instid1(SALU_CYCLE_3)
	v_readfirstlane_b32 s6, v1
	s_max_num_f32 s5, s5, s6
	s_sub_f32 s0, s0, s5
	s_sub_f32 s6, s12, s5
	s_delay_alu instid0(SALU_CYCLE_2) | instskip(NEXT) | instid1(SALU_CYCLE_2)
	s_mul_f32 s12, s0, 0x3fb8aa3b
	s_mul_f32 s14, s6, 0x3fb8aa3b
	s_delay_alu instid0(SALU_CYCLE_2)
	s_xor_b32 s15, s12, 0x80000000
	s_rndne_f32 s16, s12
	s_fmamk_f32 s15, s0, 0x3fb8aa3b, s15
	s_cmp_nlt_f32 s0, 0xc2ce8ed0
	s_rndne_f32 s17, s14
	s_sub_f32 s12, s12, s16
	s_fmamk_f32 s15, s0, 0x32a5705f, s15
	s_cselect_b32 vcc_lo, -1, 0
	s_cmp_ngt_f32 s0, 0x42b17218
	s_delay_alu instid0(SALU_CYCLE_1) | instskip(SKIP_2) | instid1(SALU_CYCLE_1)
	s_add_f32 s12, s12, s15
	s_cvt_i32_f32 s15, s16
	s_sub_f32 s16, s14, s17
	v_s_exp_f32 s12, s12
	v_nop
	s_delay_alu instid0(TRANS32_DEP_1) | instskip(SKIP_1) | instid1(VALU_DEP_1)
	v_ldexp_f32 v1, s12, s15
	s_cvt_i32_f32 s12, s17
	v_cndmask_b32_e32 v1, 0, v1, vcc_lo
	s_cselect_b32 vcc_lo, -1, 0
	s_cmp_ge_f32 s0, 0xc1a00000
	s_delay_alu instid0(VALU_DEP_1)
	v_cndmask_b32_e32 v1, 0x7f800000, v1, vcc_lo
	s_cselect_b32 vcc_lo, -1, 0
	s_xor_b32 s0, s14, 0x80000000
	s_cmp_nlt_f32 s6, 0xc2ce8ed0
	s_fmamk_f32 s0, s6, 0x3fb8aa3b, s0
	v_cndmask_b32_e32 v10, 0, v1, vcc_lo
	s_delay_alu instid0(SALU_CYCLE_2) | instskip(NEXT) | instid1(SALU_CYCLE_3)
	s_fmamk_f32 s0, s6, 0x32a5705f, s0
	s_add_f32 s0, s16, s0
	s_delay_alu instid0(SALU_CYCLE_3) | instskip(SKIP_1) | instid1(TRANS32_DEP_1)
	v_s_exp_f32 s0, s0
	v_nop
	v_ldexp_f32 v6, s0, s12
	s_cselect_b32 s0, -1, 0
	s_cmp_ngt_f32 s6, 0x42b17218
	s_delay_alu instid0(VALU_DEP_1) | instskip(SKIP_2) | instid1(VALU_DEP_1)
	v_cndmask_b32_e64 v6, 0, v6, s0
	s_cselect_b32 s0, -1, 0
	s_cmp_ge_f32 s6, 0xc1a00000
	v_cndmask_b32_e64 v8, 0x7f800000, v6, s0
	s_cselect_b32 s0, -1, 0
	v_mov_b32_e32 v6, s13
	s_add_co_i32 s1, s1, -1
	s_add_co_i32 s4, s4, -2
	v_cndmask_b32_e64 v8, 0, v8, s0
	s_cmp_le_i32 s1, s7
	s_mov_b32 s0, s5
	s_wait_loadcnt 0x0
	s_delay_alu instid0(VALU_DEP_1) | instskip(NEXT) | instid1(VALU_DEP_1)
	v_pk_mul_f32 v[6:7], v[6:7], v[8:9] op_sel_hi:[1,0]
	v_pk_fma_f32 v[2:3], v[2:3], v[10:11], v[6:7] op_sel_hi:[1,0,1]
	s_cbranch_scc0 .LBB69_3
	s_branch .LBB69_5
.LBB69_4:
	s_wait_kmcnt 0x0
	v_mov_b32_e32 v2, s14
.LBB69_5:
	v_lshl_add_u64 v[0:1], v[4:5], 2, s[8:9]
	s_wait_loadcnt 0x0
	s_delay_alu instid0(VALU_DEP_2) | instskip(NEXT) | instid1(VALU_DEP_1)
	v_div_scale_f32 v4, null, v2, v2, v3
	v_rcp_f32_e32 v5, v4
	v_nop
	s_delay_alu instid0(TRANS32_DEP_1) | instskip(NEXT) | instid1(VALU_DEP_1)
	v_fma_f32 v6, -v4, v5, 1.0
	v_fmac_f32_e32 v5, v6, v5
	v_div_scale_f32 v6, vcc_lo, v3, v2, v3
	s_delay_alu instid0(VALU_DEP_1) | instskip(NEXT) | instid1(VALU_DEP_1)
	v_mul_f32_e32 v7, v6, v5
	v_fma_f32 v8, -v4, v7, v6
	s_delay_alu instid0(VALU_DEP_1) | instskip(NEXT) | instid1(VALU_DEP_1)
	v_fmac_f32_e32 v7, v8, v5
	v_fma_f32 v4, -v4, v7, v6
	s_delay_alu instid0(VALU_DEP_1) | instskip(NEXT) | instid1(VALU_DEP_1)
	v_div_fmas_f32 v4, v4, v5, v7
	v_div_fixup_f32 v2, v4, v2, v3
	global_store_b32 v[0:1], v2, off
.LBB69_6:
	s_endpgm
	.section	.rodata,"a",@progbits
	.p2align	6, 0x0
	.amdhsa_kernel _ZL33flash_attn_stream_k_fixup_uniformILi96ELi2ELi1EEvPfPK15HIP_vector_typeIfLj2EEiiiiiiS1_IjLj3EES5_S5_
		.amdhsa_group_segment_fixed_size 0
		.amdhsa_private_segment_fixed_size 0
		.amdhsa_kernarg_size 76
		.amdhsa_user_sgpr_count 2
		.amdhsa_user_sgpr_dispatch_ptr 0
		.amdhsa_user_sgpr_queue_ptr 0
		.amdhsa_user_sgpr_kernarg_segment_ptr 1
		.amdhsa_user_sgpr_dispatch_id 0
		.amdhsa_user_sgpr_kernarg_preload_length 0
		.amdhsa_user_sgpr_kernarg_preload_offset 0
		.amdhsa_user_sgpr_private_segment_size 0
		.amdhsa_wavefront_size32 1
		.amdhsa_uses_dynamic_stack 0
		.amdhsa_enable_private_segment 0
		.amdhsa_system_sgpr_workgroup_id_x 1
		.amdhsa_system_sgpr_workgroup_id_y 1
		.amdhsa_system_sgpr_workgroup_id_z 1
		.amdhsa_system_sgpr_workgroup_info 0
		.amdhsa_system_vgpr_workitem_id 0
		.amdhsa_next_free_vgpr 12
		.amdhsa_next_free_sgpr 21
		.amdhsa_named_barrier_count 0
		.amdhsa_reserve_vcc 1
		.amdhsa_float_round_mode_32 0
		.amdhsa_float_round_mode_16_64 0
		.amdhsa_float_denorm_mode_32 3
		.amdhsa_float_denorm_mode_16_64 3
		.amdhsa_fp16_overflow 0
		.amdhsa_memory_ordered 1
		.amdhsa_forward_progress 1
		.amdhsa_inst_pref_size 9
		.amdhsa_round_robin_scheduling 0
		.amdhsa_exception_fp_ieee_invalid_op 0
		.amdhsa_exception_fp_denorm_src 0
		.amdhsa_exception_fp_ieee_div_zero 0
		.amdhsa_exception_fp_ieee_overflow 0
		.amdhsa_exception_fp_ieee_underflow 0
		.amdhsa_exception_fp_ieee_inexact 0
		.amdhsa_exception_int_div_zero 0
	.end_amdhsa_kernel
	.section	.text._ZL33flash_attn_stream_k_fixup_uniformILi96ELi2ELi1EEvPfPK15HIP_vector_typeIfLj2EEiiiiiiS1_IjLj3EES5_S5_,"axG",@progbits,_ZL33flash_attn_stream_k_fixup_uniformILi96ELi2ELi1EEvPfPK15HIP_vector_typeIfLj2EEiiiiiiS1_IjLj3EES5_S5_,comdat
.Lfunc_end69:
	.size	_ZL33flash_attn_stream_k_fixup_uniformILi96ELi2ELi1EEvPfPK15HIP_vector_typeIfLj2EEiiiiiiS1_IjLj3EES5_S5_, .Lfunc_end69-_ZL33flash_attn_stream_k_fixup_uniformILi96ELi2ELi1EEvPfPK15HIP_vector_typeIfLj2EEiiiiiiS1_IjLj3EES5_S5_
                                        ; -- End function
	.set _ZL33flash_attn_stream_k_fixup_uniformILi96ELi2ELi1EEvPfPK15HIP_vector_typeIfLj2EEiiiiiiS1_IjLj3EES5_S5_.num_vgpr, 12
	.set _ZL33flash_attn_stream_k_fixup_uniformILi96ELi2ELi1EEvPfPK15HIP_vector_typeIfLj2EEiiiiiiS1_IjLj3EES5_S5_.num_agpr, 0
	.set _ZL33flash_attn_stream_k_fixup_uniformILi96ELi2ELi1EEvPfPK15HIP_vector_typeIfLj2EEiiiiiiS1_IjLj3EES5_S5_.numbered_sgpr, 21
	.set _ZL33flash_attn_stream_k_fixup_uniformILi96ELi2ELi1EEvPfPK15HIP_vector_typeIfLj2EEiiiiiiS1_IjLj3EES5_S5_.num_named_barrier, 0
	.set _ZL33flash_attn_stream_k_fixup_uniformILi96ELi2ELi1EEvPfPK15HIP_vector_typeIfLj2EEiiiiiiS1_IjLj3EES5_S5_.private_seg_size, 0
	.set _ZL33flash_attn_stream_k_fixup_uniformILi96ELi2ELi1EEvPfPK15HIP_vector_typeIfLj2EEiiiiiiS1_IjLj3EES5_S5_.uses_vcc, 1
	.set _ZL33flash_attn_stream_k_fixup_uniformILi96ELi2ELi1EEvPfPK15HIP_vector_typeIfLj2EEiiiiiiS1_IjLj3EES5_S5_.uses_flat_scratch, 0
	.set _ZL33flash_attn_stream_k_fixup_uniformILi96ELi2ELi1EEvPfPK15HIP_vector_typeIfLj2EEiiiiiiS1_IjLj3EES5_S5_.has_dyn_sized_stack, 0
	.set _ZL33flash_attn_stream_k_fixup_uniformILi96ELi2ELi1EEvPfPK15HIP_vector_typeIfLj2EEiiiiiiS1_IjLj3EES5_S5_.has_recursion, 0
	.set _ZL33flash_attn_stream_k_fixup_uniformILi96ELi2ELi1EEvPfPK15HIP_vector_typeIfLj2EEiiiiiiS1_IjLj3EES5_S5_.has_indirect_call, 0
	.section	.AMDGPU.csdata,"",@progbits
; Kernel info:
; codeLenInByte = 1072
; TotalNumSgprs: 23
; NumVgprs: 12
; ScratchSize: 0
; MemoryBound: 0
; FloatMode: 240
; IeeeMode: 1
; LDSByteSize: 0 bytes/workgroup (compile time only)
; SGPRBlocks: 0
; VGPRBlocks: 0
; NumSGPRsForWavesPerEU: 23
; NumVGPRsForWavesPerEU: 12
; NamedBarCnt: 0
; Occupancy: 16
; WaveLimiterHint : 0
; COMPUTE_PGM_RSRC2:SCRATCH_EN: 0
; COMPUTE_PGM_RSRC2:USER_SGPR: 2
; COMPUTE_PGM_RSRC2:TRAP_HANDLER: 0
; COMPUTE_PGM_RSRC2:TGID_X_EN: 1
; COMPUTE_PGM_RSRC2:TGID_Y_EN: 1
; COMPUTE_PGM_RSRC2:TGID_Z_EN: 1
; COMPUTE_PGM_RSRC2:TIDIG_COMP_CNT: 0
	.section	.text._ZL33flash_attn_stream_k_fixup_generalILi96ELi2ELi1EEvPfPK15HIP_vector_typeIfLj2EEiiiiS1_IjLj3EES5_S5_S5_,"axG",@progbits,_ZL33flash_attn_stream_k_fixup_generalILi96ELi2ELi1EEvPfPK15HIP_vector_typeIfLj2EEiiiiS1_IjLj3EES5_S5_S5_,comdat
	.globl	_ZL33flash_attn_stream_k_fixup_generalILi96ELi2ELi1EEvPfPK15HIP_vector_typeIfLj2EEiiiiS1_IjLj3EES5_S5_S5_ ; -- Begin function _ZL33flash_attn_stream_k_fixup_generalILi96ELi2ELi1EEvPfPK15HIP_vector_typeIfLj2EEiiiiS1_IjLj3EES5_S5_S5_
	.p2align	8
	.type	_ZL33flash_attn_stream_k_fixup_generalILi96ELi2ELi1EEvPfPK15HIP_vector_typeIfLj2EEiiiiS1_IjLj3EES5_S5_S5_,@function
_ZL33flash_attn_stream_k_fixup_generalILi96ELi2ELi1EEvPfPK15HIP_vector_typeIfLj2EEiiiiS1_IjLj3EES5_S5_S5_: ; @_ZL33flash_attn_stream_k_fixup_generalILi96ELi2ELi1EEvPfPK15HIP_vector_typeIfLj2EEiiiiS1_IjLj3EES5_S5_S5_
; %bb.0:
	s_clause 0x1
	s_load_b128 s[4:7], s[0:1], 0x10
	s_load_b32 s16, s[0:1], 0x50
	s_bfe_u32 s2, ttmp6, 0x4000c
	s_and_b32 s3, ttmp6, 15
	s_add_co_i32 s2, s2, 1
	s_getreg_b32 s15, hwreg(HW_REG_IB_STS2, 6, 4)
	s_mul_i32 s2, ttmp9, s2
	s_mov_b32 s17, 0
	s_add_co_i32 s3, s3, s2
	s_cmp_eq_u32 s15, 0
	s_cselect_b32 s2, ttmp9, s3
	s_delay_alu instid0(SALU_CYCLE_1) | instskip(SKIP_3) | instid1(SALU_CYCLE_1)
	s_ashr_i32 s3, s2, 31
	s_wait_kmcnt 0x0
	s_ashr_i32 s19, s7, 31
	s_mov_b32 s18, s7
	s_mul_u64 s[8:9], s[18:19], s[2:3]
	s_delay_alu instid0(SALU_CYCLE_1) | instskip(NEXT) | instid1(SALU_CYCLE_1)
	s_and_b64 s[10:11], s[8:9], 0xffffffff00000000
	s_cmp_lg_u64 s[10:11], 0
	s_cbranch_scc0 .LBB70_21
; %bb.1:
	s_add_nc_u64 s[10:11], s[16:17], 0
	s_mov_b32 s23, s17
	s_xor_b64 s[10:11], s[10:11], 0
	s_mov_b32 s27, s17
	s_cvt_f32_u32 s3, s10
	s_cvt_f32_u32 s7, s11
	s_sub_nc_u64 s[20:21], 0, s[10:11]
	s_delay_alu instid0(SALU_CYCLE_2) | instskip(NEXT) | instid1(SALU_CYCLE_3)
	s_fmamk_f32 s3, s7, 0x4f800000, s3
	v_s_rcp_f32 s3, s3
	s_delay_alu instid0(TRANS32_DEP_1) | instskip(NEXT) | instid1(SALU_CYCLE_3)
	s_mul_f32 s3, s3, 0x5f7ffffc
	s_mul_f32 s7, s3, 0x2f800000
	s_delay_alu instid0(SALU_CYCLE_3) | instskip(NEXT) | instid1(SALU_CYCLE_3)
	s_trunc_f32 s7, s7
	s_fmamk_f32 s3, s7, 0xcf800000, s3
	s_cvt_u32_f32 s13, s7
	s_delay_alu instid0(SALU_CYCLE_2) | instskip(NEXT) | instid1(SALU_CYCLE_3)
	s_cvt_u32_f32 s12, s3
	s_mul_u64 s[24:25], s[20:21], s[12:13]
	s_delay_alu instid0(SALU_CYCLE_1)
	s_mul_hi_u32 s29, s12, s25
	s_mul_i32 s28, s12, s25
	s_mul_hi_u32 s22, s12, s24
	s_mul_i32 s7, s13, s24
	s_add_nc_u64 s[22:23], s[22:23], s[28:29]
	s_mul_hi_u32 s3, s13, s24
	s_mul_hi_u32 s14, s13, s25
	s_add_co_u32 s7, s22, s7
	s_add_co_ci_u32 s26, s23, s3
	s_mul_i32 s24, s13, s25
	s_add_co_ci_u32 s25, s14, 0
	s_delay_alu instid0(SALU_CYCLE_1) | instskip(SKIP_3) | instid1(SALU_CYCLE_1)
	s_add_nc_u64 s[22:23], s[26:27], s[24:25]
	s_mov_b32 s25, s17
	s_add_co_u32 s12, s12, s22
	s_cselect_b32 s3, -1, 0
	s_cmp_lg_u32 s3, 0
	s_add_co_ci_u32 s13, s13, s23
	s_mov_b32 s23, s17
	s_mul_u64 s[20:21], s[20:21], s[12:13]
	s_delay_alu instid0(SALU_CYCLE_1)
	s_mul_hi_u32 s27, s12, s21
	s_mul_i32 s26, s12, s21
	s_mul_hi_u32 s22, s12, s20
	s_mul_i32 s7, s13, s20
	s_add_nc_u64 s[22:23], s[22:23], s[26:27]
	s_mul_hi_u32 s3, s13, s20
	s_mul_hi_u32 s14, s13, s21
	s_add_co_u32 s7, s22, s7
	s_add_co_ci_u32 s24, s23, s3
	s_mul_i32 s20, s13, s21
	s_add_co_ci_u32 s21, s14, 0
	s_mov_b32 s23, s17
	s_add_nc_u64 s[20:21], s[24:25], s[20:21]
	s_delay_alu instid0(SALU_CYCLE_1) | instskip(SKIP_1) | instid1(SALU_CYCLE_1)
	s_add_co_u32 s3, s12, s20
	s_cselect_b32 s7, -1, 0
	s_cmp_lg_u32 s7, 0
	s_add_co_ci_u32 s7, s13, s21
	s_ashr_i32 s12, s9, 31
	s_delay_alu instid0(SALU_CYCLE_1) | instskip(NEXT) | instid1(SALU_CYCLE_1)
	s_mov_b32 s13, s12
	s_add_nc_u64 s[20:21], s[8:9], s[12:13]
	s_delay_alu instid0(SALU_CYCLE_1) | instskip(NEXT) | instid1(SALU_CYCLE_1)
	s_xor_b64 s[20:21], s[20:21], s[12:13]
	s_mul_hi_u32 s27, s20, s7
	s_mul_i32 s26, s20, s7
	s_mul_hi_u32 s22, s20, s3
	s_mul_hi_u32 s14, s21, s3
	s_mul_i32 s3, s21, s3
	s_add_nc_u64 s[22:23], s[22:23], s[26:27]
	s_mul_hi_u32 s9, s21, s7
	s_add_co_u32 s3, s22, s3
	s_add_co_ci_u32 s24, s23, s14
	s_mul_i32 s26, s21, s7
	s_add_co_ci_u32 s27, s9, 0
	s_delay_alu instid0(SALU_CYCLE_1) | instskip(NEXT) | instid1(SALU_CYCLE_1)
	s_add_nc_u64 s[22:23], s[24:25], s[26:27]
	s_and_b64 s[24:25], s[22:23], 0xffffffff00000000
	s_delay_alu instid0(SALU_CYCLE_1) | instskip(NEXT) | instid1(SALU_CYCLE_1)
	s_or_b32 s24, s24, s22
	s_mul_u64 s[22:23], s[10:11], s[24:25]
	s_add_nc_u64 s[26:27], s[24:25], 1
	s_sub_co_u32 s3, s20, s22
	s_cselect_b32 s7, -1, 0
	s_sub_co_i32 s9, s21, s23
	s_cmp_lg_u32 s7, 0
	s_add_nc_u64 s[28:29], s[24:25], 2
	s_sub_co_ci_u32 s9, s9, s11
	s_sub_co_u32 s14, s3, s10
	s_cselect_b32 s20, -1, 0
	s_delay_alu instid0(SALU_CYCLE_1) | instskip(SKIP_1) | instid1(SALU_CYCLE_1)
	s_cmp_lg_u32 s20, 0
	s_sub_co_ci_u32 s9, s9, 0
	s_cmp_ge_u32 s9, s11
	s_cselect_b32 s20, -1, 0
	s_cmp_ge_u32 s14, s10
	s_cselect_b32 s14, -1, 0
	s_cmp_eq_u32 s9, s11
	s_cselect_b32 s9, s14, s20
	s_delay_alu instid0(SALU_CYCLE_1) | instskip(SKIP_4) | instid1(SALU_CYCLE_1)
	s_cmp_lg_u32 s9, 0
	s_cselect_b32 s9, s28, s26
	s_cselect_b32 s14, s29, s27
	s_cmp_lg_u32 s7, 0
	s_sub_co_ci_u32 s7, s21, s23
	s_cmp_ge_u32 s7, s11
	s_cselect_b32 s20, -1, 0
	s_cmp_ge_u32 s3, s10
	s_cselect_b32 s3, -1, 0
	s_cmp_eq_u32 s7, s11
	s_cselect_b32 s3, s3, s20
	s_delay_alu instid0(SALU_CYCLE_1) | instskip(SKIP_4) | instid1(SALU_CYCLE_1)
	s_cmp_lg_u32 s3, 0
	s_mov_b32 s3, s17
	s_cselect_b32 s11, s14, s25
	s_cselect_b32 s10, s9, s24
	s_xor_b64 s[12:13], s[12:13], 0
	s_xor_b64 s[10:11], s[10:11], s[12:13]
	s_delay_alu instid0(SALU_CYCLE_1)
	s_sub_nc_u64 s[20:21], s[10:11], s[12:13]
	s_and_not1_b32 vcc_lo, exec_lo, s3
	s_cbranch_vccnz .LBB70_3
.LBB70_2:
	v_cvt_f32_u32_e32 v1, s16
	s_sub_co_i32 s7, 0, s16
	s_mov_b32 s21, 0
	s_delay_alu instid0(VALU_DEP_1) | instskip(SKIP_1) | instid1(TRANS32_DEP_1)
	v_rcp_iflag_f32_e32 v1, v1
	v_nop
	v_mul_f32_e32 v1, 0x4f7ffffe, v1
	s_delay_alu instid0(VALU_DEP_1) | instskip(NEXT) | instid1(VALU_DEP_1)
	v_cvt_u32_f32_e32 v1, v1
	v_readfirstlane_b32 s3, v1
	s_mul_i32 s7, s7, s3
	s_delay_alu instid0(SALU_CYCLE_1) | instskip(NEXT) | instid1(SALU_CYCLE_1)
	s_mul_hi_u32 s7, s3, s7
	s_add_co_i32 s3, s3, s7
	s_delay_alu instid0(SALU_CYCLE_1) | instskip(NEXT) | instid1(SALU_CYCLE_1)
	s_mul_hi_u32 s3, s8, s3
	s_mul_i32 s7, s3, s16
	s_delay_alu instid0(SALU_CYCLE_1)
	s_sub_co_i32 s7, s8, s7
	s_add_co_i32 s8, s3, 1
	s_sub_co_i32 s9, s7, s16
	s_cmp_ge_u32 s7, s16
	s_cselect_b32 s3, s8, s3
	s_cselect_b32 s7, s9, s7
	s_add_co_i32 s8, s3, 1
	s_cmp_ge_u32 s7, s16
	s_cselect_b32 s20, s8, s3
.LBB70_3:
	s_add_co_i32 s8, s2, 1
	s_delay_alu instid0(SALU_CYCLE_1) | instskip(NEXT) | instid1(SALU_CYCLE_1)
	s_ashr_i32 s9, s8, 31
	s_mul_u64 s[8:9], s[18:19], s[8:9]
	s_delay_alu instid0(SALU_CYCLE_1) | instskip(NEXT) | instid1(SALU_CYCLE_1)
	s_and_b64 s[10:11], s[8:9], 0xffffffff00000000
	s_cmp_lg_u64 s[10:11], 0
	s_cbranch_scc0 .LBB70_22
; %bb.4:
	s_add_nc_u64 s[10:11], s[16:17], 0
	s_delay_alu instid0(SALU_CYCLE_1) | instskip(SKIP_4) | instid1(SALU_CYCLE_2)
	s_xor_b64 s[12:13], s[10:11], 0
	s_mov_b32 s11, 0
	s_cvt_f32_u32 s3, s12
	s_cvt_f32_u32 s7, s13
	s_sub_nc_u64 s[24:25], 0, s[12:13]
	s_fmamk_f32 s3, s7, 0x4f800000, s3
	s_delay_alu instid0(SALU_CYCLE_3) | instskip(NEXT) | instid1(TRANS32_DEP_1)
	v_s_rcp_f32 s3, s3
	s_mul_f32 s3, s3, 0x5f7ffffc
	s_delay_alu instid0(SALU_CYCLE_3) | instskip(NEXT) | instid1(SALU_CYCLE_3)
	s_mul_f32 s7, s3, 0x2f800000
	s_trunc_f32 s7, s7
	s_delay_alu instid0(SALU_CYCLE_3) | instskip(SKIP_1) | instid1(SALU_CYCLE_2)
	s_fmamk_f32 s3, s7, 0xcf800000, s3
	s_cvt_u32_f32 s23, s7
	s_cvt_u32_f32 s22, s3
	s_delay_alu instid0(SALU_CYCLE_3) | instskip(NEXT) | instid1(SALU_CYCLE_1)
	s_mul_u64 s[26:27], s[24:25], s[22:23]
	s_mul_hi_u32 s29, s22, s27
	s_mul_i32 s28, s22, s27
	s_mul_hi_u32 s10, s22, s26
	s_mul_i32 s7, s23, s26
	s_add_nc_u64 s[28:29], s[10:11], s[28:29]
	s_mul_hi_u32 s3, s23, s26
	s_mul_hi_u32 s14, s23, s27
	s_add_co_u32 s7, s28, s7
	s_add_co_ci_u32 s10, s29, s3
	s_mul_i32 s26, s23, s27
	s_add_co_ci_u32 s27, s14, 0
	s_delay_alu instid0(SALU_CYCLE_1) | instskip(NEXT) | instid1(SALU_CYCLE_1)
	s_add_nc_u64 s[26:27], s[10:11], s[26:27]
	s_add_co_u32 s22, s22, s26
	s_cselect_b32 s3, -1, 0
	s_delay_alu instid0(SALU_CYCLE_1) | instskip(SKIP_1) | instid1(SALU_CYCLE_1)
	s_cmp_lg_u32 s3, 0
	s_add_co_ci_u32 s23, s23, s27
	s_mul_u64 s[24:25], s[24:25], s[22:23]
	s_delay_alu instid0(SALU_CYCLE_1)
	s_mul_hi_u32 s27, s22, s25
	s_mul_i32 s26, s22, s25
	s_mul_hi_u32 s10, s22, s24
	s_mul_i32 s7, s23, s24
	s_add_nc_u64 s[26:27], s[10:11], s[26:27]
	s_mul_hi_u32 s3, s23, s24
	s_mul_hi_u32 s14, s23, s25
	s_add_co_u32 s7, s26, s7
	s_add_co_ci_u32 s10, s27, s3
	s_mul_i32 s24, s23, s25
	s_add_co_ci_u32 s25, s14, 0
	s_delay_alu instid0(SALU_CYCLE_1) | instskip(NEXT) | instid1(SALU_CYCLE_1)
	s_add_nc_u64 s[24:25], s[10:11], s[24:25]
	s_add_co_u32 s3, s22, s24
	s_cselect_b32 s7, -1, 0
	s_delay_alu instid0(SALU_CYCLE_1) | instskip(SKIP_2) | instid1(SALU_CYCLE_1)
	s_cmp_lg_u32 s7, 0
	s_add_co_ci_u32 s7, s23, s25
	s_ashr_i32 s22, s9, 31
	s_mov_b32 s23, s22
	s_delay_alu instid0(SALU_CYCLE_1) | instskip(NEXT) | instid1(SALU_CYCLE_1)
	s_add_nc_u64 s[24:25], s[8:9], s[22:23]
	s_xor_b64 s[24:25], s[24:25], s[22:23]
	s_delay_alu instid0(SALU_CYCLE_1)
	s_mul_hi_u32 s27, s24, s7
	s_mul_i32 s26, s24, s7
	s_mul_hi_u32 s10, s24, s3
	s_mul_hi_u32 s14, s25, s3
	s_mul_i32 s3, s25, s3
	s_add_nc_u64 s[26:27], s[10:11], s[26:27]
	s_mul_hi_u32 s9, s25, s7
	s_add_co_u32 s3, s26, s3
	s_add_co_ci_u32 s10, s27, s14
	s_mul_i32 s28, s25, s7
	s_add_co_ci_u32 s29, s9, 0
	s_delay_alu instid0(SALU_CYCLE_1) | instskip(NEXT) | instid1(SALU_CYCLE_1)
	s_add_nc_u64 s[26:27], s[10:11], s[28:29]
	s_and_b64 s[28:29], s[26:27], 0xffffffff00000000
	s_delay_alu instid0(SALU_CYCLE_1) | instskip(NEXT) | instid1(SALU_CYCLE_1)
	s_or_b32 s28, s28, s26
	s_mul_u64 s[26:27], s[12:13], s[28:29]
	s_add_nc_u64 s[30:31], s[28:29], 1
	s_sub_co_u32 s3, s24, s26
	s_cselect_b32 s7, -1, 0
	s_sub_co_i32 s9, s25, s27
	s_cmp_lg_u32 s7, 0
	s_add_nc_u64 s[34:35], s[28:29], 2
	s_sub_co_ci_u32 s9, s9, s13
	s_sub_co_u32 s10, s3, s12
	s_cselect_b32 s14, -1, 0
	s_delay_alu instid0(SALU_CYCLE_1) | instskip(SKIP_1) | instid1(SALU_CYCLE_1)
	s_cmp_lg_u32 s14, 0
	s_sub_co_ci_u32 s9, s9, 0
	s_cmp_ge_u32 s9, s13
	s_cselect_b32 s14, -1, 0
	s_cmp_ge_u32 s10, s12
	s_cselect_b32 s10, -1, 0
	s_cmp_eq_u32 s9, s13
	s_cselect_b32 s9, s10, s14
	s_delay_alu instid0(SALU_CYCLE_1) | instskip(SKIP_4) | instid1(SALU_CYCLE_1)
	s_cmp_lg_u32 s9, 0
	s_cselect_b32 s9, s34, s30
	s_cselect_b32 s10, s35, s31
	s_cmp_lg_u32 s7, 0
	s_sub_co_ci_u32 s7, s25, s27
	s_cmp_ge_u32 s7, s13
	s_cselect_b32 s14, -1, 0
	s_cmp_ge_u32 s3, s12
	s_cselect_b32 s3, -1, 0
	s_cmp_eq_u32 s7, s13
	s_cselect_b32 s3, s3, s14
	s_delay_alu instid0(SALU_CYCLE_1) | instskip(SKIP_3) | instid1(SALU_CYCLE_1)
	s_cmp_lg_u32 s3, 0
	s_cselect_b32 s13, s10, s29
	s_cselect_b32 s12, s9, s28
	s_xor_b64 s[22:23], s[22:23], 0
	s_xor_b64 s[12:13], s[12:13], s[22:23]
	s_delay_alu instid0(SALU_CYCLE_1)
	s_sub_nc_u64 s[24:25], s[12:13], s[22:23]
	s_load_b96 s[12:14], s[0:1], 0x44
	s_cbranch_execnz .LBB70_6
.LBB70_5:
	v_cvt_f32_u32_e32 v1, s16
	s_sub_co_i32 s7, 0, s16
	s_delay_alu instid0(VALU_DEP_1) | instskip(SKIP_1) | instid1(TRANS32_DEP_1)
	v_rcp_iflag_f32_e32 v1, v1
	v_nop
	v_mul_f32_e32 v1, 0x4f7ffffe, v1
	s_delay_alu instid0(VALU_DEP_1) | instskip(NEXT) | instid1(VALU_DEP_1)
	v_cvt_u32_f32_e32 v1, v1
	v_readfirstlane_b32 s3, v1
	s_mul_i32 s7, s7, s3
	s_delay_alu instid0(SALU_CYCLE_1) | instskip(NEXT) | instid1(SALU_CYCLE_1)
	s_mul_hi_u32 s7, s3, s7
	s_add_co_i32 s3, s3, s7
	s_delay_alu instid0(SALU_CYCLE_1) | instskip(NEXT) | instid1(SALU_CYCLE_1)
	s_mul_hi_u32 s3, s8, s3
	s_mul_i32 s7, s3, s16
	s_delay_alu instid0(SALU_CYCLE_1)
	s_sub_co_i32 s7, s8, s7
	s_add_co_i32 s8, s3, 1
	s_sub_co_i32 s9, s7, s16
	s_cmp_ge_u32 s7, s16
	s_cselect_b32 s3, s8, s3
	s_cselect_b32 s7, s9, s7
	s_add_co_i32 s8, s3, 1
	s_cmp_ge_u32 s7, s16
	s_cselect_b32 s24, s8, s3
.LBB70_6:
	s_delay_alu instid0(SALU_CYCLE_1)
	s_cmp_eq_u32 s20, s24
	s_mov_b64 s[8:9], 0xffffffff
	s_cselect_b32 s3, -1, 0
	s_and_b64 s[8:9], s[20:21], s[8:9]
	s_mov_b32 s23, 0
	s_wait_kmcnt 0x0
	s_mov_b32 s22, s12
	s_mov_b32 s25, s23
	s_mul_u64 s[10:11], s[8:9], s[22:23]
	s_delay_alu instid0(SALU_CYCLE_1) | instskip(SKIP_2) | instid1(SALU_CYCLE_1)
	s_add_co_i32 s7, s11, s20
	s_mul_u64 s[10:11], s[24:25], s[22:23]
	s_lshr_b32 s12, s7, s13
	s_mul_i32 s7, s12, s14
	s_delay_alu instid0(SALU_CYCLE_1) | instskip(SKIP_2) | instid1(SALU_CYCLE_1)
	s_cmp_eq_u32 s7, s20
	s_cselect_b32 s7, -1, 0
	s_add_co_i32 s10, s11, s24
	s_lshr_b32 s10, s10, s13
	s_delay_alu instid0(SALU_CYCLE_1)
	s_cmp_eq_u32 s12, s10
	s_mul_i32 s10, s10, s14
	s_cselect_b32 s11, -1, 0
	s_cmp_lg_u32 s10, s24
	s_cselect_b32 s10, -1, 0
	s_or_b32 s3, s3, s7
	s_and_b32 s10, s11, s10
	s_delay_alu instid0(SALU_CYCLE_1) | instskip(NEXT) | instid1(SALU_CYCLE_1)
	s_or_b32 s3, s3, s10
	s_and_b32 vcc_lo, exec_lo, s3
	s_cbranch_vccnz .LBB70_24
; %bb.7:
	s_load_b256 s[24:31], s[0:1], 0x20
	s_bfe_u32 s7, ttmp6, 0x40014
	s_bfe_u32 s33, ttmp6, 0x40010
	s_lshr_b32 s3, ttmp7, 16
	s_add_co_i32 s7, s7, 1
	s_and_b32 s21, ttmp7, 0xffff
	s_add_co_i32 s33, s33, 1
	s_bfe_u32 s10, ttmp6, 0x40008
	s_mul_i32 s7, s3, s7
	s_bfe_u32 s34, ttmp6, 0x40004
	s_mul_i32 s33, s21, s33
	s_mov_b32 s11, s23
	s_add_co_i32 s7, s10, s7
	s_add_co_i32 s34, s34, s33
	s_cmp_eq_u32 s15, 0
	s_cselect_b32 s15, s21, s34
	s_cselect_b32 s3, s3, s7
	s_wait_kmcnt 0x0
	s_mov_b32 s10, s24
	s_delay_alu instid0(SALU_CYCLE_1) | instskip(SKIP_2) | instid1(SALU_CYCLE_1)
	s_mul_u64 s[8:9], s[8:9], s[10:11]
	s_load_b32 s8, s[0:1], 0x40
	s_add_co_i32 s7, s9, s20
	s_lshr_b32 s7, s7, s25
	s_delay_alu instid0(SALU_CYCLE_1) | instskip(NEXT) | instid1(SALU_CYCLE_1)
	s_mul_i32 s9, s7, s26
	s_sub_co_i32 s9, s20, s9
	s_delay_alu instid0(SALU_CYCLE_1) | instskip(NEXT) | instid1(SALU_CYCLE_1)
	s_mul_hi_u32 s10, s9, s27
	s_add_co_i32 s10, s9, s10
	s_delay_alu instid0(SALU_CYCLE_1) | instskip(NEXT) | instid1(SALU_CYCLE_1)
	s_lshr_b32 s21, s10, s28
	s_mul_i32 s10, s21, s29
	s_delay_alu instid0(SALU_CYCLE_1) | instskip(NEXT) | instid1(SALU_CYCLE_1)
	s_sub_co_i32 s10, s9, s10
	s_mul_hi_u32 s9, s10, s30
	s_delay_alu instid0(SALU_CYCLE_1) | instskip(NEXT) | instid1(SALU_CYCLE_1)
	s_add_co_i32 s9, s10, s9
	s_lshr_b32 s25, s9, s31
	s_mov_b32 s9, s23
	s_wait_kmcnt 0x0
	s_mul_i32 s8, s25, s8
	s_delay_alu instid0(SALU_CYCLE_1) | instskip(NEXT) | instid1(SALU_CYCLE_1)
	s_sub_co_i32 s8, s10, s8
	s_mul_u64 s[10:11], s[8:9], s[22:23]
	s_delay_alu instid0(SALU_CYCLE_1) | instskip(NEXT) | instid1(SALU_CYCLE_1)
	s_add_co_i32 s8, s8, s11
	s_lshr_b32 s24, s8, s13
	s_delay_alu instid0(SALU_CYCLE_1) | instskip(NEXT) | instid1(SALU_CYCLE_1)
	s_lshl_b32 s8, s24, 1
	s_add_co_i32 s8, s8, s15
	s_delay_alu instid0(SALU_CYCLE_1) | instskip(SKIP_2) | instid1(SALU_CYCLE_1)
	s_cmp_lt_i32 s8, s4
	s_cselect_b32 s8, -1, 0
	s_add_co_i32 s25, s25, s3
	s_cmp_lt_i32 s25, s6
	s_cselect_b32 s9, -1, 0
	s_delay_alu instid0(SALU_CYCLE_1) | instskip(NEXT) | instid1(SALU_CYCLE_1)
	s_and_b32 s8, s8, s9
	s_and_not1_b32 vcc_lo, exec_lo, s8
	s_cbranch_vccnz .LBB70_24
; %bb.8:
	s_load_b128 s[8:11], s[0:1], 0x0
	s_wait_xcnt 0x0
	s_mul_i32 s0, s7, s4
	s_mul_i32 s21, s21, s6
	s_add_co_i32 s0, s0, s15
	s_add_co_i32 s1, s25, s21
	s_mul_i32 s0, s0, s5
	s_mul_i32 s4, s5, s24
	s_add_co_i32 s0, s1, s0
	s_mulk_i32 s4, 0xc0
	s_mulk_i32 s0, 0x60
	s_add_co_i32 s15, s15, s3
	v_add3_u32 v2, s4, s0, v0
	s_add_nc_u64 s[0:1], s[16:17], 0
	v_cvt_f32_u32_e32 v4, s16
	s_xor_b64 s[6:7], s[0:1], 0
	s_lshl_b32 s0, s2, 1
	s_cvt_f32_u32 s3, s6
	s_cvt_f32_u32 s4, s7
	s_add_co_i32 s0, s0, s15
	v_rcp_iflag_f32_e32 v4, v4
	s_wait_kmcnt 0x0
	global_load_b32 v1, v2, s[8:9] scale_offset
	s_fmamk_f32 s3, s4, 0x4f800000, s3
	s_ashr_i32 s1, s0, 31
	s_lshl_b32 s24, s16, 3
	s_lshl_b64 s[0:1], s[0:1], 3
	v_s_rcp_f32 s3, s3
	s_add_nc_u64 s[0:1], s[10:11], s[0:1]
	s_mov_b32 s25, 0
	s_load_b64 s[28:29], s[0:1], 0x0
	v_mad_u32 v6, 0x60, s15, v0
	v_dual_mul_f32 v4, 0x4f7ffffe, v4 :: v_dual_ashrrev_i32 v3, 31, v2
	s_wait_xcnt 0x0
	s_lshl_b64 s[0:1], s[24:25], 2
	s_mul_f32 s3, s3, 0x5f7ffffc
	s_add_nc_u64 s[26:27], s[10:11], s[0:1]
	v_lshl_add_u64 v[2:3], v[2:3], 2, s[8:9]
	v_cvt_u32_f32_e32 v7, v4
	s_mul_f32 s4, s3, 0x2f800000
	s_mov_b64 s[8:9], 0xffffffff
	s_add_co_i32 s36, s2, -1
	s_sub_nc_u64 s[34:35], 0, s[6:7]
	s_trunc_f32 s4, s4
	s_delay_alu instid0(SALU_CYCLE_3)
	s_fmamk_f32 s0, s4, 0xcf800000, s3
	s_cvt_u32_f32 s31, s4
	s_wait_kmcnt 0x0
	v_mov_b32_e32 v0, s29
	s_cvt_u32_f32 s30, s0
.LBB70_9:                               ; =>This Inner Loop Header: Depth=1
	s_ashr_i32 s37, s36, 31
                                        ; implicit-def: $sgpr40_sgpr41
	s_delay_alu instid0(SALU_CYCLE_1) | instskip(NEXT) | instid1(SALU_CYCLE_1)
	s_mul_u64 s[0:1], s[36:37], s[18:19]
	s_and_b64 s[2:3], s[0:1], 0xffffffff00000000
	s_delay_alu instid0(SALU_CYCLE_1)
	s_cmp_lg_u64 s[2:3], 0
	s_mov_b32 s2, -1
	s_cbranch_scc0 .LBB70_11
; %bb.10:                               ;   in Loop: Header=BB70_9 Depth=1
	s_mul_u64 s[2:3], s[34:35], s[30:31]
	s_delay_alu instid0(SALU_CYCLE_1)
	s_mul_hi_u32 s5, s30, s3
	s_mul_i32 s4, s30, s3
	s_mul_hi_u32 s24, s30, s2
	s_mul_hi_u32 s17, s31, s2
	s_add_nc_u64 s[4:5], s[24:25], s[4:5]
	s_mul_i32 s2, s31, s2
	s_mul_hi_u32 s21, s31, s3
	s_add_co_u32 s2, s4, s2
	s_add_co_ci_u32 s24, s5, s17
	s_add_co_ci_u32 s5, s21, 0
	s_mul_i32 s4, s31, s3
	s_delay_alu instid0(SALU_CYCLE_1) | instskip(NEXT) | instid1(SALU_CYCLE_1)
	s_add_nc_u64 s[2:3], s[24:25], s[4:5]
	s_add_co_u32 s2, s30, s2
	s_cselect_b32 s4, -1, 0
	s_delay_alu instid0(SALU_CYCLE_1) | instskip(SKIP_1) | instid1(SALU_CYCLE_1)
	s_cmp_lg_u32 s4, 0
	s_add_co_ci_u32 s3, s31, s3
	s_mul_u64 s[4:5], s[34:35], s[2:3]
	s_delay_alu instid0(SALU_CYCLE_1)
	s_mul_hi_u32 s39, s2, s5
	s_mul_i32 s38, s2, s5
	s_mul_hi_u32 s24, s2, s4
	s_mul_hi_u32 s17, s3, s4
	s_mul_i32 s4, s3, s4
	s_add_nc_u64 s[38:39], s[24:25], s[38:39]
	s_mul_hi_u32 s21, s3, s5
	s_add_co_u32 s4, s38, s4
	s_add_co_ci_u32 s24, s39, s17
	s_mul_i32 s4, s3, s5
	s_add_co_ci_u32 s5, s21, 0
	s_delay_alu instid0(SALU_CYCLE_1) | instskip(NEXT) | instid1(SALU_CYCLE_1)
	s_add_nc_u64 s[4:5], s[24:25], s[4:5]
	s_add_co_u32 s17, s2, s4
	s_cselect_b32 s2, -1, 0
	s_delay_alu instid0(SALU_CYCLE_1) | instskip(SKIP_2) | instid1(SALU_CYCLE_1)
	s_cmp_lg_u32 s2, 0
	s_add_co_ci_u32 s21, s3, s5
	s_ashr_i32 s2, s1, 31
	s_mov_b32 s3, s2
	s_delay_alu instid0(SALU_CYCLE_1) | instskip(NEXT) | instid1(SALU_CYCLE_1)
	s_add_nc_u64 s[4:5], s[0:1], s[2:3]
	s_xor_b64 s[4:5], s[4:5], s[2:3]
	s_delay_alu instid0(SALU_CYCLE_1)
	s_mul_hi_u32 s39, s4, s21
	s_mul_i32 s38, s4, s21
	s_mul_hi_u32 s24, s4, s17
	s_mul_hi_u32 s29, s5, s17
	s_mul_i32 s17, s5, s17
	s_add_nc_u64 s[38:39], s[24:25], s[38:39]
	s_mul_hi_u32 s1, s5, s21
	s_add_co_u32 s17, s38, s17
	s_add_co_ci_u32 s24, s39, s29
	s_mul_i32 s40, s5, s21
	s_add_co_ci_u32 s41, s1, 0
	s_delay_alu instid0(SALU_CYCLE_1) | instskip(NEXT) | instid1(SALU_CYCLE_1)
	s_add_nc_u64 s[38:39], s[24:25], s[40:41]
	s_and_b64 s[40:41], s[38:39], 0xffffffff00000000
	s_delay_alu instid0(SALU_CYCLE_1) | instskip(NEXT) | instid1(SALU_CYCLE_1)
	s_or_b32 s40, s40, s38
	s_mul_u64 s[38:39], s[6:7], s[40:41]
	s_add_nc_u64 s[42:43], s[40:41], 1
	s_sub_co_u32 s1, s4, s38
	s_cselect_b32 s4, -1, 0
	s_sub_co_i32 s17, s5, s39
	s_cmp_lg_u32 s4, 0
	s_add_nc_u64 s[44:45], s[40:41], 2
	s_sub_co_ci_u32 s17, s17, s7
	s_sub_co_u32 s21, s1, s6
	s_cselect_b32 s24, -1, 0
	s_delay_alu instid0(SALU_CYCLE_1) | instskip(SKIP_1) | instid1(SALU_CYCLE_1)
	s_cmp_lg_u32 s24, 0
	s_sub_co_ci_u32 s17, s17, 0
	s_cmp_ge_u32 s17, s7
	s_cselect_b32 s24, -1, 0
	s_cmp_ge_u32 s21, s6
	s_cselect_b32 s21, -1, 0
	s_cmp_eq_u32 s17, s7
	s_cselect_b32 s17, s21, s24
	s_delay_alu instid0(SALU_CYCLE_1) | instskip(SKIP_4) | instid1(SALU_CYCLE_1)
	s_cmp_lg_u32 s17, 0
	s_cselect_b32 s17, s44, s42
	s_cselect_b32 s21, s45, s43
	s_cmp_lg_u32 s4, 0
	s_sub_co_ci_u32 s4, s5, s39
	s_cmp_ge_u32 s4, s7
	s_cselect_b32 s5, -1, 0
	s_cmp_ge_u32 s1, s6
	s_cselect_b32 s1, -1, 0
	s_cmp_eq_u32 s4, s7
	s_cselect_b32 s1, s1, s5
	s_delay_alu instid0(SALU_CYCLE_1) | instskip(SKIP_3) | instid1(SALU_CYCLE_1)
	s_cmp_lg_u32 s1, 0
	s_cselect_b32 s5, s21, s41
	s_cselect_b32 s4, s17, s40
	s_xor_b64 s[2:3], s[2:3], 0
	s_xor_b64 s[4:5], s[4:5], s[2:3]
	s_delay_alu instid0(SALU_CYCLE_1)
	s_sub_nc_u64 s[40:41], s[4:5], s[2:3]
	s_mov_b32 s2, 0
.LBB70_11:                              ;   in Loop: Header=BB70_9 Depth=1
	s_delay_alu instid0(SALU_CYCLE_1)
	s_and_not1_b32 vcc_lo, exec_lo, s2
	s_cbranch_vccnz .LBB70_13
; %bb.12:                               ;   in Loop: Header=BB70_9 Depth=1
	v_readfirstlane_b32 s1, v7
	s_sub_co_i32 s2, 0, s16
	s_delay_alu instid0(SALU_CYCLE_1) | instskip(NEXT) | instid1(SALU_CYCLE_1)
	s_mul_i32 s2, s2, s1
	s_mul_hi_u32 s2, s1, s2
	s_delay_alu instid0(SALU_CYCLE_1) | instskip(NEXT) | instid1(SALU_CYCLE_1)
	s_add_co_i32 s1, s1, s2
	s_mul_hi_u32 s1, s0, s1
	s_delay_alu instid0(SALU_CYCLE_1) | instskip(NEXT) | instid1(SALU_CYCLE_1)
	s_mul_i32 s2, s1, s16
	s_sub_co_i32 s0, s0, s2
	s_add_co_i32 s2, s1, 1
	s_sub_co_i32 s3, s0, s16
	s_cmp_ge_u32 s0, s16
	s_cselect_b32 s1, s2, s1
	s_cselect_b32 s0, s3, s0
	s_add_co_i32 s2, s1, 1
	s_cmp_ge_u32 s0, s16
	s_cselect_b32 s24, s2, s1
	s_delay_alu instid0(SALU_CYCLE_1)
	s_mov_b64 s[40:41], s[24:25]
.LBB70_13:                              ;   in Loop: Header=BB70_9 Depth=1
	s_delay_alu instid0(SALU_CYCLE_1)
	s_cmp_lg_u32 s20, s40
	s_mov_b32 s0, -1
                                        ; implicit-def: $vgpr4_vgpr5
                                        ; implicit-def: $sgpr24
                                        ; implicit-def: $sgpr17
                                        ; implicit-def: $sgpr21
                                        ; implicit-def: $sgpr29
	s_cbranch_scc0 .LBB70_18
; %bb.14:                               ;   in Loop: Header=BB70_9 Depth=1
	s_add_co_i32 s0, s36, s16
	v_max_num_f32_e64 v4, s28, s28
	s_lshl_b32 s0, s0, 1
	s_mov_b32 s29, s20
	s_add_co_i32 s0, s0, s15
	s_load_b64 s[38:39], s[10:11], s0 offset:0x0 scale_offset
	s_wait_xcnt 0x0
	v_readfirstlane_b32 s0, v4
	s_wait_kmcnt 0x0
	v_max_num_f32_e64 v5, s38, s38
	s_delay_alu instid0(VALU_DEP_1) | instskip(SKIP_1) | instid1(SALU_CYCLE_3)
	v_readfirstlane_b32 s1, v5
	s_max_num_f32 s17, s0, s1
	s_sub_f32 s33, s28, s17
	s_sub_f32 s37, s38, s17
	s_delay_alu instid0(SALU_CYCLE_2)
	s_cmp_nlt_f32 s33, 0xc2ce8ed0
	s_cselect_b32 s1, -1, 0
	s_cmp_ngt_f32 s33, 0x42b17218
	s_cselect_b32 s2, -1, 0
	s_cmp_ge_f32 s33, 0xc1a00000
	s_cselect_b32 s0, -1, 0
	s_cmp_nlt_f32 s37, 0xc2ce8ed0
	s_cselect_b32 s3, -1, 0
	s_cmp_ngt_f32 s37, 0x42b17218
	s_cselect_b32 s4, -1, 0
	s_cmp_ge_f32 s37, 0xc1a00000
	s_cselect_b32 s5, -1, 0
	s_and_b64 s[42:43], s[40:41], s[8:9]
	s_delay_alu instid0(SALU_CYCLE_1) | instskip(NEXT) | instid1(SALU_CYCLE_1)
	s_mul_u64 s[42:43], s[42:43], s[22:23]
	s_add_co_i32 s21, s43, s40
	s_delay_alu instid0(SALU_CYCLE_1) | instskip(NEXT) | instid1(SALU_CYCLE_1)
	s_lshr_b32 s21, s21, s13
	s_mul_i32 s24, s21, s14
	s_delay_alu instid0(SALU_CYCLE_1) | instskip(SKIP_3) | instid1(SALU_CYCLE_1)
	s_cmp_eq_u32 s24, s40
	s_cselect_b32 s24, -1, 0
	s_cmp_lt_u32 s21, s12
	s_cselect_b32 s21, -1, 0
	s_or_b32 s21, s21, s24
	s_mov_b32 s24, -1
	s_and_b32 vcc_lo, exec_lo, s21
	s_mov_b32 s21, s36
	s_cbranch_vccnz .LBB70_16
; %bb.15:                               ;   in Loop: Header=BB70_9 Depth=1
	s_add_co_i32 s21, s36, -1
	s_mov_b32 s24, 0
	s_mov_b32 s29, s40
.LBB70_16:                              ;   in Loop: Header=BB70_9 Depth=1
	v_mad_u32 v4, 0xc0, s36, v6
	s_mul_f32 s40, s33, 0x3fb8aa3b
	s_mul_f32 s38, s37, 0x3fb8aa3b
	s_delay_alu instid0(SALU_CYCLE_2)
	s_xor_b32 s42, s40, 0x80000000
	s_rndne_f32 s44, s40
	s_fmamk_f32 s42, s33, 0x3fb8aa3b, s42
	s_xor_b32 s41, s38, 0x80000000
	s_rndne_f32 s43, s38
	s_sub_f32 s40, s40, s44
	global_load_b32 v5, v4, s[26:27] scale_offset
	s_fmamk_f32 s33, s33, 0x32a5705f, s42
	s_fmamk_f32 s41, s37, 0x3fb8aa3b, s41
	s_sub_f32 s38, s38, s43
	s_delay_alu instid0(SALU_CYCLE_1) | instskip(NEXT) | instid1(SALU_CYCLE_1)
	s_add_f32 s33, s40, s33
	s_fmamk_f32 s37, s37, 0x32a5705f, s41
	s_cvt_i32_f32 s40, s44
	s_delay_alu instid0(SALU_CYCLE_1) | instskip(NEXT) | instid1(SALU_CYCLE_1)
	v_s_exp_f32 s33, s33
	s_add_f32 s37, s38, s37
	s_cvt_i32_f32 s38, s43
	s_delay_alu instid0(SALU_CYCLE_2) | instskip(NEXT) | instid1(TRANS32_DEP_2)
	v_s_exp_f32 s37, s37
	v_ldexp_f32 v8, s33, s40
	s_wait_xcnt 0x0
	s_delay_alu instid0(TRANS32_DEP_1) | instskip(NEXT) | instid1(VALU_DEP_2)
	v_ldexp_f32 v4, s37, s38
	v_cndmask_b32_e64 v8, 0, v8, s1
	s_delay_alu instid0(VALU_DEP_1) | instskip(NEXT) | instid1(VALU_DEP_1)
	v_cndmask_b32_e64 v9, 0x7f800000, v8, s2
	v_dual_cndmask_b32 v4, 0, v4, s3 :: v_dual_cndmask_b32 v10, 0, v9, s0
	s_delay_alu instid0(VALU_DEP_1) | instskip(NEXT) | instid1(VALU_DEP_1)
	v_cndmask_b32_e64 v4, 0x7f800000, v4, s4
	v_dual_cndmask_b32 v8, 0, v4, s5 :: v_dual_mov_b32 v4, s39
	s_wait_loadcnt 0x0
	s_delay_alu instid0(VALU_DEP_1) | instskip(NEXT) | instid1(VALU_DEP_1)
	v_pk_mul_f32 v[4:5], v[4:5], v[8:9] op_sel_hi:[1,0]
	v_pk_fma_f32 v[4:5], v[0:1], v[10:11], v[4:5] op_sel_hi:[1,0,1]
	s_cbranch_execz .LBB70_19
.LBB70_17:                              ;   in Loop: Header=BB70_9 Depth=1
	s_and_not1_b32 vcc_lo, exec_lo, s24
	s_cbranch_vccnz .LBB70_20
	s_branch .LBB70_23
.LBB70_18:                              ;   in Loop: Header=BB70_9 Depth=1
	s_and_not1_b32 vcc_lo, exec_lo, s0
	s_cbranch_vccnz .LBB70_17
.LBB70_19:                              ;   in Loop: Header=BB70_9 Depth=1
	s_wait_loadcnt 0x0
	v_mov_b64_e32 v[4:5], v[0:1]
	s_add_co_i32 s21, s36, -1
	s_mov_b32 s29, s20
	s_mov_b32 s17, s28
	s_cbranch_execz .LBB70_23
.LBB70_20:                              ;   in Loop: Header=BB70_9 Depth=1
	s_wait_loadcnt 0x0
	s_delay_alu instid0(VALU_DEP_1)
	v_mov_b64_e32 v[0:1], v[4:5]
	s_mov_b32 s20, s29
	s_mov_b32 s36, s21
	;; [unrolled: 1-line block ×3, first 2 shown]
	s_branch .LBB70_9
.LBB70_21:
                                        ; implicit-def: $sgpr20_sgpr21
	s_branch .LBB70_2
.LBB70_22:
                                        ; implicit-def: $sgpr24_sgpr25
	s_load_b96 s[12:14], s[0:1], 0x44
	s_branch .LBB70_5
.LBB70_23:
	s_delay_alu instid0(VALU_DEP_1) | instskip(SKIP_1) | instid1(VALU_DEP_1)
	v_div_scale_f32 v0, null, v4, v4, v5
	s_wait_loadcnt 0x0
	v_rcp_f32_e32 v1, v0
	v_nop
	s_delay_alu instid0(TRANS32_DEP_1) | instskip(NEXT) | instid1(VALU_DEP_1)
	v_fma_f32 v6, -v0, v1, 1.0
	v_fmac_f32_e32 v1, v6, v1
	v_div_scale_f32 v6, vcc_lo, v5, v4, v5
	s_delay_alu instid0(VALU_DEP_1) | instskip(NEXT) | instid1(VALU_DEP_1)
	v_mul_f32_e32 v7, v6, v1
	v_fma_f32 v8, -v0, v7, v6
	s_delay_alu instid0(VALU_DEP_1) | instskip(NEXT) | instid1(VALU_DEP_1)
	v_fmac_f32_e32 v7, v8, v1
	v_fma_f32 v0, -v0, v7, v6
	s_delay_alu instid0(VALU_DEP_1) | instskip(NEXT) | instid1(VALU_DEP_1)
	v_div_fmas_f32 v0, v0, v1, v7
	v_div_fixup_f32 v0, v0, v4, v5
	global_store_b32 v[2:3], v0, off
.LBB70_24:
	s_endpgm
	.section	.rodata,"a",@progbits
	.p2align	6, 0x0
	.amdhsa_kernel _ZL33flash_attn_stream_k_fixup_generalILi96ELi2ELi1EEvPfPK15HIP_vector_typeIfLj2EEiiiiS1_IjLj3EES5_S5_S5_
		.amdhsa_group_segment_fixed_size 0
		.amdhsa_private_segment_fixed_size 0
		.amdhsa_kernarg_size 336
		.amdhsa_user_sgpr_count 2
		.amdhsa_user_sgpr_dispatch_ptr 0
		.amdhsa_user_sgpr_queue_ptr 0
		.amdhsa_user_sgpr_kernarg_segment_ptr 1
		.amdhsa_user_sgpr_dispatch_id 0
		.amdhsa_user_sgpr_kernarg_preload_length 0
		.amdhsa_user_sgpr_kernarg_preload_offset 0
		.amdhsa_user_sgpr_private_segment_size 0
		.amdhsa_wavefront_size32 1
		.amdhsa_uses_dynamic_stack 0
		.amdhsa_enable_private_segment 0
		.amdhsa_system_sgpr_workgroup_id_x 1
		.amdhsa_system_sgpr_workgroup_id_y 1
		.amdhsa_system_sgpr_workgroup_id_z 1
		.amdhsa_system_sgpr_workgroup_info 0
		.amdhsa_system_vgpr_workitem_id 0
		.amdhsa_next_free_vgpr 12
		.amdhsa_next_free_sgpr 46
		.amdhsa_named_barrier_count 0
		.amdhsa_reserve_vcc 1
		.amdhsa_float_round_mode_32 0
		.amdhsa_float_round_mode_16_64 0
		.amdhsa_float_denorm_mode_32 3
		.amdhsa_float_denorm_mode_16_64 3
		.amdhsa_fp16_overflow 0
		.amdhsa_memory_ordered 1
		.amdhsa_forward_progress 1
		.amdhsa_inst_pref_size 27
		.amdhsa_round_robin_scheduling 0
		.amdhsa_exception_fp_ieee_invalid_op 0
		.amdhsa_exception_fp_denorm_src 0
		.amdhsa_exception_fp_ieee_div_zero 0
		.amdhsa_exception_fp_ieee_overflow 0
		.amdhsa_exception_fp_ieee_underflow 0
		.amdhsa_exception_fp_ieee_inexact 0
		.amdhsa_exception_int_div_zero 0
	.end_amdhsa_kernel
	.section	.text._ZL33flash_attn_stream_k_fixup_generalILi96ELi2ELi1EEvPfPK15HIP_vector_typeIfLj2EEiiiiS1_IjLj3EES5_S5_S5_,"axG",@progbits,_ZL33flash_attn_stream_k_fixup_generalILi96ELi2ELi1EEvPfPK15HIP_vector_typeIfLj2EEiiiiS1_IjLj3EES5_S5_S5_,comdat
.Lfunc_end70:
	.size	_ZL33flash_attn_stream_k_fixup_generalILi96ELi2ELi1EEvPfPK15HIP_vector_typeIfLj2EEiiiiS1_IjLj3EES5_S5_S5_, .Lfunc_end70-_ZL33flash_attn_stream_k_fixup_generalILi96ELi2ELi1EEvPfPK15HIP_vector_typeIfLj2EEiiiiS1_IjLj3EES5_S5_S5_
                                        ; -- End function
	.set _ZL33flash_attn_stream_k_fixup_generalILi96ELi2ELi1EEvPfPK15HIP_vector_typeIfLj2EEiiiiS1_IjLj3EES5_S5_S5_.num_vgpr, 12
	.set _ZL33flash_attn_stream_k_fixup_generalILi96ELi2ELi1EEvPfPK15HIP_vector_typeIfLj2EEiiiiS1_IjLj3EES5_S5_S5_.num_agpr, 0
	.set _ZL33flash_attn_stream_k_fixup_generalILi96ELi2ELi1EEvPfPK15HIP_vector_typeIfLj2EEiiiiS1_IjLj3EES5_S5_S5_.numbered_sgpr, 46
	.set _ZL33flash_attn_stream_k_fixup_generalILi96ELi2ELi1EEvPfPK15HIP_vector_typeIfLj2EEiiiiS1_IjLj3EES5_S5_S5_.num_named_barrier, 0
	.set _ZL33flash_attn_stream_k_fixup_generalILi96ELi2ELi1EEvPfPK15HIP_vector_typeIfLj2EEiiiiS1_IjLj3EES5_S5_S5_.private_seg_size, 0
	.set _ZL33flash_attn_stream_k_fixup_generalILi96ELi2ELi1EEvPfPK15HIP_vector_typeIfLj2EEiiiiS1_IjLj3EES5_S5_S5_.uses_vcc, 1
	.set _ZL33flash_attn_stream_k_fixup_generalILi96ELi2ELi1EEvPfPK15HIP_vector_typeIfLj2EEiiiiS1_IjLj3EES5_S5_S5_.uses_flat_scratch, 0
	.set _ZL33flash_attn_stream_k_fixup_generalILi96ELi2ELi1EEvPfPK15HIP_vector_typeIfLj2EEiiiiS1_IjLj3EES5_S5_S5_.has_dyn_sized_stack, 0
	.set _ZL33flash_attn_stream_k_fixup_generalILi96ELi2ELi1EEvPfPK15HIP_vector_typeIfLj2EEiiiiS1_IjLj3EES5_S5_S5_.has_recursion, 0
	.set _ZL33flash_attn_stream_k_fixup_generalILi96ELi2ELi1EEvPfPK15HIP_vector_typeIfLj2EEiiiiS1_IjLj3EES5_S5_S5_.has_indirect_call, 0
	.section	.AMDGPU.csdata,"",@progbits
; Kernel info:
; codeLenInByte = 3344
; TotalNumSgprs: 48
; NumVgprs: 12
; ScratchSize: 0
; MemoryBound: 0
; FloatMode: 240
; IeeeMode: 1
; LDSByteSize: 0 bytes/workgroup (compile time only)
; SGPRBlocks: 0
; VGPRBlocks: 0
; NumSGPRsForWavesPerEU: 48
; NumVGPRsForWavesPerEU: 12
; NamedBarCnt: 0
; Occupancy: 16
; WaveLimiterHint : 0
; COMPUTE_PGM_RSRC2:SCRATCH_EN: 0
; COMPUTE_PGM_RSRC2:USER_SGPR: 2
; COMPUTE_PGM_RSRC2:TRAP_HANDLER: 0
; COMPUTE_PGM_RSRC2:TGID_X_EN: 1
; COMPUTE_PGM_RSRC2:TGID_Y_EN: 1
; COMPUTE_PGM_RSRC2:TGID_Z_EN: 1
; COMPUTE_PGM_RSRC2:TIDIG_COMP_CNT: 0
	.text
	.p2align	2                               ; -- Begin function __ockl_printf_append_string_n
	.type	__ockl_printf_append_string_n,@function
__ockl_printf_append_string_n:          ; @__ockl_printf_append_string_n
; %bb.0:
	s_wait_loadcnt_dscnt 0x0
	s_wait_kmcnt 0x0
	v_mov_b32_e32 v2, v0
	v_mbcnt_lo_u32_b32 v30, -1, 0
	s_get_pc_i64 s[0:1]
	s_add_nc_u64 s[0:1], s[0:1], __FUNCTION__._ZL15flash_attn_tileILi96ELi96ELi8ELi8ELb1EEvPKcS1_S1_S1_S1_PKiPfP15HIP_vector_typeIfLj2EEffffjfiS5_IjLj3EEiiiiiiiiiiiliiliiiiil@rel64+4
	s_delay_alu instid0(SALU_CYCLE_1)
	s_cmp_lg_u64 s[0:1], 0
	s_cbranch_scc0 .LBB71_87
; %bb.1:
	s_load_b64 s[2:3], s[8:9], 0x50
	v_dual_mov_b32 v11, 0 :: v_dual_bitop2_b32 v0, -3, v2 bitop3:0x40
	v_mov_b64_e32 v[12:13], 0x100000002
	v_mov_b64_e32 v[34:35], s[0:1]
	v_and_b32_e32 v32, 2, v2
	s_delay_alu instid0(VALU_DEP_4)
	v_mov_b64_e32 v[6:7], v[0:1]
	s_mov_b32 s7, 0
	s_mov_b32 s6, 0
	s_branch .LBB71_3
.LBB71_2:                               ;   in Loop: Header=BB71_3 Depth=1
	s_or_b32 exec_lo, exec_lo, s10
	v_sub_nc_u64_e32 v[4:5], v[4:5], v[36:37]
	v_add_nc_u64_e32 v[34:35], v[34:35], v[36:37]
	s_delay_alu instid0(VALU_DEP_2) | instskip(SKIP_1) | instid1(SALU_CYCLE_1)
	v_cmp_eq_u64_e32 vcc_lo, 0, v[4:5]
	s_or_b32 s6, vcc_lo, s6
	s_and_not1_b32 exec_lo, exec_lo, s6
	s_cbranch_execz .LBB71_85
.LBB71_3:                               ; =>This Loop Header: Depth=1
                                        ;     Child Loop BB71_6 Depth 2
                                        ;     Child Loop BB71_14 Depth 2
	;; [unrolled: 1-line block ×11, first 2 shown]
	v_min_u64 v[36:37], v[4:5], 56
	s_delay_alu instid0(VALU_DEP_3)
	v_add_nc_u64_e32 v[16:17], 8, v[34:35]
	s_mov_b32 s0, exec_lo
	v_cmpx_gt_u64_e32 8, v[4:5]
	s_xor_b32 s4, exec_lo, s0
	s_cbranch_execz .LBB71_9
; %bb.4:                                ;   in Loop: Header=BB71_3 Depth=1
	v_mov_b64_e32 v[8:9], 0
	s_mov_b32 s5, exec_lo
	v_cmpx_ne_u64_e32 0, v[4:5]
	s_cbranch_execz .LBB71_8
; %bb.5:                                ;   in Loop: Header=BB71_3 Depth=1
	v_mov_b64_e32 v[8:9], 0
	v_mov_b64_e32 v[14:15], v[34:35]
	v_lshlrev_b32_e32 v0, 3, v36
	s_mov_b64 s[0:1], 0
	s_mov_b32 s10, 0
.LBB71_6:                               ;   Parent Loop BB71_3 Depth=1
                                        ; =>  This Inner Loop Header: Depth=2
	global_load_u8 v3, v[14:15], off
	v_mov_b32_e32 v17, s7
	s_wait_xcnt 0x0
	v_add_nc_u64_e32 v[14:15], 1, v[14:15]
	s_wait_loadcnt 0x0
	v_and_b32_e32 v16, 0xffff, v3
	s_delay_alu instid0(VALU_DEP_1) | instskip(SKIP_1) | instid1(SALU_CYCLE_1)
	v_lshlrev_b64_e32 v[16:17], s0, v[16:17]
	s_add_nc_u64 s[0:1], s[0:1], 8
	v_cmp_eq_u32_e32 vcc_lo, s0, v0
	s_delay_alu instid0(VALU_DEP_2) | instskip(NEXT) | instid1(VALU_DEP_3)
	v_or_b32_e32 v9, v17, v9
	v_or_b32_e32 v8, v16, v8
	s_or_b32 s10, vcc_lo, s10
	s_delay_alu instid0(SALU_CYCLE_1)
	s_and_not1_b32 exec_lo, exec_lo, s10
	s_cbranch_execnz .LBB71_6
; %bb.7:                                ;   in Loop: Header=BB71_3 Depth=1
	s_or_b32 exec_lo, exec_lo, s10
.LBB71_8:                               ;   in Loop: Header=BB71_3 Depth=1
	s_delay_alu instid0(SALU_CYCLE_1)
	s_or_b32 exec_lo, exec_lo, s5
	v_mov_b64_e32 v[16:17], v[34:35]
.LBB71_9:                               ;   in Loop: Header=BB71_3 Depth=1
	s_or_saveexec_b32 s0, s4
	v_mov_b32_e32 v0, 0
	s_xor_b32 exec_lo, exec_lo, s0
	s_cbranch_execz .LBB71_11
; %bb.10:                               ;   in Loop: Header=BB71_3 Depth=1
	global_load_b64 v[8:9], v[34:35], off
	v_add_nc_u32_e32 v0, -8, v36
.LBB71_11:                              ;   in Loop: Header=BB71_3 Depth=1
	s_wait_xcnt 0x0
	s_or_b32 exec_lo, exec_lo, s0
	v_add_nc_u64_e32 v[18:19], 8, v[16:17]
                                        ; implicit-def: $vgpr14_vgpr15
	s_mov_b32 s0, exec_lo
	v_cmpx_gt_u32_e32 8, v0
	s_xor_b32 s10, exec_lo, s0
	s_cbranch_execz .LBB71_17
; %bb.12:                               ;   in Loop: Header=BB71_3 Depth=1
	v_mov_b64_e32 v[14:15], 0
	s_mov_b32 s11, exec_lo
	v_cmpx_ne_u32_e32 0, v0
	s_cbranch_execz .LBB71_16
; %bb.13:                               ;   in Loop: Header=BB71_3 Depth=1
	v_mov_b64_e32 v[14:15], 0
	s_mov_b64 s[0:1], 0
	s_mov_b32 s12, 0
	s_mov_b64 s[4:5], 0
.LBB71_14:                              ;   Parent Loop BB71_3 Depth=1
                                        ; =>  This Inner Loop Header: Depth=2
	s_delay_alu instid0(SALU_CYCLE_1) | instskip(SKIP_1) | instid1(SALU_CYCLE_1)
	v_add_nc_u64_e32 v[18:19], s[4:5], v[16:17]
	s_add_nc_u64 s[4:5], s[4:5], 1
	v_cmp_eq_u32_e32 vcc_lo, s4, v0
	global_load_u8 v3, v[18:19], off
	s_wait_xcnt 0x0
	v_mov_b32_e32 v19, s7
	s_or_b32 s12, vcc_lo, s12
	s_wait_loadcnt 0x0
	v_and_b32_e32 v18, 0xffff, v3
	s_delay_alu instid0(VALU_DEP_1) | instskip(SKIP_1) | instid1(VALU_DEP_1)
	v_lshlrev_b64_e32 v[18:19], s0, v[18:19]
	s_add_nc_u64 s[0:1], s[0:1], 8
	v_or_b32_e32 v15, v19, v15
	s_delay_alu instid0(VALU_DEP_2)
	v_or_b32_e32 v14, v18, v14
	s_and_not1_b32 exec_lo, exec_lo, s12
	s_cbranch_execnz .LBB71_14
; %bb.15:                               ;   in Loop: Header=BB71_3 Depth=1
	s_or_b32 exec_lo, exec_lo, s12
.LBB71_16:                              ;   in Loop: Header=BB71_3 Depth=1
	s_delay_alu instid0(SALU_CYCLE_1)
	s_or_b32 exec_lo, exec_lo, s11
	v_mov_b64_e32 v[18:19], v[16:17]
                                        ; implicit-def: $vgpr0
.LBB71_17:                              ;   in Loop: Header=BB71_3 Depth=1
	s_or_saveexec_b32 s0, s10
	v_mov_b32_e32 v3, 0
	s_xor_b32 exec_lo, exec_lo, s0
	s_cbranch_execz .LBB71_19
; %bb.18:                               ;   in Loop: Header=BB71_3 Depth=1
	global_load_b64 v[14:15], v[16:17], off
	v_add_nc_u32_e32 v3, -8, v0
.LBB71_19:                              ;   in Loop: Header=BB71_3 Depth=1
	s_wait_xcnt 0x0
	s_or_b32 exec_lo, exec_lo, s0
	v_add_nc_u64_e32 v[20:21], 8, v[18:19]
	s_mov_b32 s0, exec_lo
	v_cmpx_gt_u32_e32 8, v3
	s_xor_b32 s10, exec_lo, s0
	s_cbranch_execz .LBB71_25
; %bb.20:                               ;   in Loop: Header=BB71_3 Depth=1
	v_mov_b64_e32 v[16:17], 0
	s_mov_b32 s11, exec_lo
	v_cmpx_ne_u32_e32 0, v3
	s_cbranch_execz .LBB71_24
; %bb.21:                               ;   in Loop: Header=BB71_3 Depth=1
	v_mov_b64_e32 v[16:17], 0
	s_mov_b64 s[0:1], 0
	s_mov_b32 s12, 0
	s_mov_b64 s[4:5], 0
.LBB71_22:                              ;   Parent Loop BB71_3 Depth=1
                                        ; =>  This Inner Loop Header: Depth=2
	s_delay_alu instid0(SALU_CYCLE_1) | instskip(SKIP_1) | instid1(SALU_CYCLE_1)
	v_add_nc_u64_e32 v[20:21], s[4:5], v[18:19]
	s_add_nc_u64 s[4:5], s[4:5], 1
	v_cmp_eq_u32_e32 vcc_lo, s4, v3
	global_load_u8 v0, v[20:21], off
	s_wait_xcnt 0x0
	v_mov_b32_e32 v21, s7
	s_or_b32 s12, vcc_lo, s12
	s_wait_loadcnt 0x0
	v_and_b32_e32 v20, 0xffff, v0
	s_delay_alu instid0(VALU_DEP_1) | instskip(SKIP_1) | instid1(VALU_DEP_1)
	v_lshlrev_b64_e32 v[20:21], s0, v[20:21]
	s_add_nc_u64 s[0:1], s[0:1], 8
	v_or_b32_e32 v17, v21, v17
	s_delay_alu instid0(VALU_DEP_2)
	v_or_b32_e32 v16, v20, v16
	s_and_not1_b32 exec_lo, exec_lo, s12
	s_cbranch_execnz .LBB71_22
; %bb.23:                               ;   in Loop: Header=BB71_3 Depth=1
	s_or_b32 exec_lo, exec_lo, s12
.LBB71_24:                              ;   in Loop: Header=BB71_3 Depth=1
	s_delay_alu instid0(SALU_CYCLE_1)
	s_or_b32 exec_lo, exec_lo, s11
	v_mov_b64_e32 v[20:21], v[18:19]
                                        ; implicit-def: $vgpr3
.LBB71_25:                              ;   in Loop: Header=BB71_3 Depth=1
	s_or_saveexec_b32 s0, s10
	v_mov_b32_e32 v0, 0
	s_xor_b32 exec_lo, exec_lo, s0
	s_cbranch_execz .LBB71_27
; %bb.26:                               ;   in Loop: Header=BB71_3 Depth=1
	global_load_b64 v[16:17], v[18:19], off
	v_add_nc_u32_e32 v0, -8, v3
.LBB71_27:                              ;   in Loop: Header=BB71_3 Depth=1
	s_wait_xcnt 0x0
	s_or_b32 exec_lo, exec_lo, s0
	v_add_nc_u64_e32 v[22:23], 8, v[20:21]
                                        ; implicit-def: $vgpr18_vgpr19
	s_mov_b32 s0, exec_lo
	v_cmpx_gt_u32_e32 8, v0
	s_xor_b32 s10, exec_lo, s0
	s_cbranch_execz .LBB71_33
; %bb.28:                               ;   in Loop: Header=BB71_3 Depth=1
	v_mov_b64_e32 v[18:19], 0
	s_mov_b32 s11, exec_lo
	v_cmpx_ne_u32_e32 0, v0
	s_cbranch_execz .LBB71_32
; %bb.29:                               ;   in Loop: Header=BB71_3 Depth=1
	v_mov_b64_e32 v[18:19], 0
	s_mov_b64 s[0:1], 0
	s_mov_b32 s12, 0
	s_mov_b64 s[4:5], 0
.LBB71_30:                              ;   Parent Loop BB71_3 Depth=1
                                        ; =>  This Inner Loop Header: Depth=2
	s_delay_alu instid0(SALU_CYCLE_1) | instskip(SKIP_1) | instid1(SALU_CYCLE_1)
	v_add_nc_u64_e32 v[22:23], s[4:5], v[20:21]
	s_add_nc_u64 s[4:5], s[4:5], 1
	v_cmp_eq_u32_e32 vcc_lo, s4, v0
	global_load_u8 v3, v[22:23], off
	s_wait_xcnt 0x0
	v_mov_b32_e32 v23, s7
	s_or_b32 s12, vcc_lo, s12
	s_wait_loadcnt 0x0
	v_and_b32_e32 v22, 0xffff, v3
	s_delay_alu instid0(VALU_DEP_1) | instskip(SKIP_1) | instid1(VALU_DEP_1)
	v_lshlrev_b64_e32 v[22:23], s0, v[22:23]
	s_add_nc_u64 s[0:1], s[0:1], 8
	v_or_b32_e32 v19, v23, v19
	s_delay_alu instid0(VALU_DEP_2)
	v_or_b32_e32 v18, v22, v18
	s_and_not1_b32 exec_lo, exec_lo, s12
	s_cbranch_execnz .LBB71_30
; %bb.31:                               ;   in Loop: Header=BB71_3 Depth=1
	s_or_b32 exec_lo, exec_lo, s12
.LBB71_32:                              ;   in Loop: Header=BB71_3 Depth=1
	s_delay_alu instid0(SALU_CYCLE_1)
	s_or_b32 exec_lo, exec_lo, s11
	v_mov_b64_e32 v[22:23], v[20:21]
                                        ; implicit-def: $vgpr0
.LBB71_33:                              ;   in Loop: Header=BB71_3 Depth=1
	s_or_saveexec_b32 s0, s10
	v_mov_b32_e32 v3, 0
	s_xor_b32 exec_lo, exec_lo, s0
	s_cbranch_execz .LBB71_35
; %bb.34:                               ;   in Loop: Header=BB71_3 Depth=1
	global_load_b64 v[18:19], v[20:21], off
	v_add_nc_u32_e32 v3, -8, v0
.LBB71_35:                              ;   in Loop: Header=BB71_3 Depth=1
	s_wait_xcnt 0x0
	s_or_b32 exec_lo, exec_lo, s0
	v_add_nc_u64_e32 v[24:25], 8, v[22:23]
	s_mov_b32 s0, exec_lo
	v_cmpx_gt_u32_e32 8, v3
	s_xor_b32 s10, exec_lo, s0
	s_cbranch_execz .LBB71_41
; %bb.36:                               ;   in Loop: Header=BB71_3 Depth=1
	v_mov_b64_e32 v[20:21], 0
	s_mov_b32 s11, exec_lo
	v_cmpx_ne_u32_e32 0, v3
	s_cbranch_execz .LBB71_40
; %bb.37:                               ;   in Loop: Header=BB71_3 Depth=1
	v_mov_b64_e32 v[20:21], 0
	s_mov_b64 s[0:1], 0
	s_mov_b32 s12, 0
	s_mov_b64 s[4:5], 0
.LBB71_38:                              ;   Parent Loop BB71_3 Depth=1
                                        ; =>  This Inner Loop Header: Depth=2
	s_delay_alu instid0(SALU_CYCLE_1) | instskip(SKIP_1) | instid1(SALU_CYCLE_1)
	v_add_nc_u64_e32 v[24:25], s[4:5], v[22:23]
	s_add_nc_u64 s[4:5], s[4:5], 1
	v_cmp_eq_u32_e32 vcc_lo, s4, v3
	global_load_u8 v0, v[24:25], off
	s_wait_xcnt 0x0
	v_mov_b32_e32 v25, s7
	s_or_b32 s12, vcc_lo, s12
	s_wait_loadcnt 0x0
	v_and_b32_e32 v24, 0xffff, v0
	s_delay_alu instid0(VALU_DEP_1) | instskip(SKIP_1) | instid1(VALU_DEP_1)
	v_lshlrev_b64_e32 v[24:25], s0, v[24:25]
	s_add_nc_u64 s[0:1], s[0:1], 8
	v_or_b32_e32 v21, v25, v21
	s_delay_alu instid0(VALU_DEP_2)
	v_or_b32_e32 v20, v24, v20
	s_and_not1_b32 exec_lo, exec_lo, s12
	s_cbranch_execnz .LBB71_38
; %bb.39:                               ;   in Loop: Header=BB71_3 Depth=1
	s_or_b32 exec_lo, exec_lo, s12
.LBB71_40:                              ;   in Loop: Header=BB71_3 Depth=1
	s_delay_alu instid0(SALU_CYCLE_1)
	s_or_b32 exec_lo, exec_lo, s11
	v_mov_b64_e32 v[24:25], v[22:23]
                                        ; implicit-def: $vgpr3
.LBB71_41:                              ;   in Loop: Header=BB71_3 Depth=1
	s_or_saveexec_b32 s0, s10
	v_mov_b32_e32 v0, 0
	s_xor_b32 exec_lo, exec_lo, s0
	s_cbranch_execz .LBB71_43
; %bb.42:                               ;   in Loop: Header=BB71_3 Depth=1
	global_load_b64 v[20:21], v[22:23], off
	v_add_nc_u32_e32 v0, -8, v3
.LBB71_43:                              ;   in Loop: Header=BB71_3 Depth=1
	s_wait_xcnt 0x0
	s_or_b32 exec_lo, exec_lo, s0
	v_add_nc_u64_e32 v[26:27], 8, v[24:25]
                                        ; implicit-def: $vgpr22_vgpr23
	s_mov_b32 s0, exec_lo
	v_cmpx_gt_u32_e32 8, v0
	s_xor_b32 s10, exec_lo, s0
	s_cbranch_execz .LBB71_49
; %bb.44:                               ;   in Loop: Header=BB71_3 Depth=1
	v_mov_b64_e32 v[22:23], 0
	s_mov_b32 s11, exec_lo
	v_cmpx_ne_u32_e32 0, v0
	s_cbranch_execz .LBB71_48
; %bb.45:                               ;   in Loop: Header=BB71_3 Depth=1
	v_mov_b64_e32 v[22:23], 0
	s_mov_b64 s[0:1], 0
	s_mov_b32 s12, 0
	s_mov_b64 s[4:5], 0
.LBB71_46:                              ;   Parent Loop BB71_3 Depth=1
                                        ; =>  This Inner Loop Header: Depth=2
	s_delay_alu instid0(SALU_CYCLE_1) | instskip(SKIP_1) | instid1(SALU_CYCLE_1)
	v_add_nc_u64_e32 v[26:27], s[4:5], v[24:25]
	s_add_nc_u64 s[4:5], s[4:5], 1
	v_cmp_eq_u32_e32 vcc_lo, s4, v0
	global_load_u8 v3, v[26:27], off
	s_wait_xcnt 0x0
	v_mov_b32_e32 v27, s7
	s_or_b32 s12, vcc_lo, s12
	s_wait_loadcnt 0x0
	v_and_b32_e32 v26, 0xffff, v3
	s_delay_alu instid0(VALU_DEP_1) | instskip(SKIP_1) | instid1(VALU_DEP_1)
	v_lshlrev_b64_e32 v[26:27], s0, v[26:27]
	s_add_nc_u64 s[0:1], s[0:1], 8
	v_or_b32_e32 v23, v27, v23
	s_delay_alu instid0(VALU_DEP_2)
	v_or_b32_e32 v22, v26, v22
	s_and_not1_b32 exec_lo, exec_lo, s12
	s_cbranch_execnz .LBB71_46
; %bb.47:                               ;   in Loop: Header=BB71_3 Depth=1
	s_or_b32 exec_lo, exec_lo, s12
.LBB71_48:                              ;   in Loop: Header=BB71_3 Depth=1
	s_delay_alu instid0(SALU_CYCLE_1)
	s_or_b32 exec_lo, exec_lo, s11
	v_mov_b64_e32 v[26:27], v[24:25]
                                        ; implicit-def: $vgpr0
.LBB71_49:                              ;   in Loop: Header=BB71_3 Depth=1
	s_or_saveexec_b32 s0, s10
	v_mov_b32_e32 v3, 0
	s_xor_b32 exec_lo, exec_lo, s0
	s_cbranch_execz .LBB71_51
; %bb.50:                               ;   in Loop: Header=BB71_3 Depth=1
	global_load_b64 v[22:23], v[24:25], off
	v_add_nc_u32_e32 v3, -8, v0
.LBB71_51:                              ;   in Loop: Header=BB71_3 Depth=1
	s_wait_xcnt 0x0
	s_or_b32 exec_lo, exec_lo, s0
	s_delay_alu instid0(SALU_CYCLE_1) | instskip(NEXT) | instid1(VALU_DEP_1)
	s_mov_b32 s0, exec_lo
	v_cmpx_gt_u32_e32 8, v3
	s_xor_b32 s4, exec_lo, s0
	s_cbranch_execz .LBB71_57
; %bb.52:                               ;   in Loop: Header=BB71_3 Depth=1
	v_mov_b64_e32 v[24:25], 0
	s_mov_b32 s5, exec_lo
	v_cmpx_ne_u32_e32 0, v3
	s_cbranch_execz .LBB71_56
; %bb.53:                               ;   in Loop: Header=BB71_3 Depth=1
	v_mov_b64_e32 v[24:25], 0
	s_mov_b64 s[0:1], 0
	s_mov_b32 s10, 0
.LBB71_54:                              ;   Parent Loop BB71_3 Depth=1
                                        ; =>  This Inner Loop Header: Depth=2
	global_load_u8 v0, v[26:27], off
	v_dual_mov_b32 v29, s7 :: v_dual_add_nc_u32 v3, -1, v3
	s_wait_xcnt 0x0
	v_add_nc_u64_e32 v[26:27], 1, v[26:27]
	s_delay_alu instid0(VALU_DEP_2) | instskip(SKIP_3) | instid1(VALU_DEP_1)
	v_cmp_eq_u32_e32 vcc_lo, 0, v3
	s_or_b32 s10, vcc_lo, s10
	s_wait_loadcnt 0x0
	v_and_b32_e32 v28, 0xffff, v0
	v_lshlrev_b64_e32 v[28:29], s0, v[28:29]
	s_add_nc_u64 s[0:1], s[0:1], 8
	s_delay_alu instid0(VALU_DEP_1) | instskip(NEXT) | instid1(VALU_DEP_2)
	v_or_b32_e32 v25, v29, v25
	v_or_b32_e32 v24, v28, v24
	s_and_not1_b32 exec_lo, exec_lo, s10
	s_cbranch_execnz .LBB71_54
; %bb.55:                               ;   in Loop: Header=BB71_3 Depth=1
	s_or_b32 exec_lo, exec_lo, s10
.LBB71_56:                              ;   in Loop: Header=BB71_3 Depth=1
	s_delay_alu instid0(SALU_CYCLE_1)
	s_or_b32 exec_lo, exec_lo, s5
                                        ; implicit-def: $vgpr26_vgpr27
.LBB71_57:                              ;   in Loop: Header=BB71_3 Depth=1
	s_and_not1_saveexec_b32 s0, s4
	s_cbranch_execz .LBB71_59
; %bb.58:                               ;   in Loop: Header=BB71_3 Depth=1
	global_load_b64 v[24:25], v[26:27], off
.LBB71_59:                              ;   in Loop: Header=BB71_3 Depth=1
	s_wait_xcnt 0x0
	s_or_b32 exec_lo, exec_lo, s0
	v_readfirstlane_b32 s0, v30
	v_mov_b64_e32 v[38:39], 0
	s_delay_alu instid0(VALU_DEP_2)
	v_cmp_eq_u32_e64 s0, s0, v30
	s_and_saveexec_b32 s1, s0
	s_cbranch_execz .LBB71_65
; %bb.60:                               ;   in Loop: Header=BB71_3 Depth=1
	s_wait_kmcnt 0x0
	global_load_b64 v[28:29], v11, s[2:3] offset:24 scope:SCOPE_SYS
	s_wait_loadcnt 0x0
	global_inv scope:SCOPE_SYS
	s_clause 0x1
	global_load_b64 v[26:27], v11, s[2:3] offset:40
	global_load_b64 v[38:39], v11, s[2:3]
	s_mov_b32 s4, exec_lo
	s_wait_loadcnt 0x1
	v_and_b32_e32 v26, v26, v28
	v_and_b32_e32 v27, v27, v29
	s_delay_alu instid0(VALU_DEP_1) | instskip(SKIP_1) | instid1(VALU_DEP_1)
	v_mul_u64_e32 v[26:27], 24, v[26:27]
	s_wait_loadcnt 0x0
	v_add_nc_u64_e32 v[26:27], v[38:39], v[26:27]
	global_load_b64 v[26:27], v[26:27], off scope:SCOPE_SYS
	s_wait_xcnt 0x0
	s_wait_loadcnt 0x0
	global_atomic_cmpswap_b64 v[38:39], v11, v[26:29], s[2:3] offset:24 th:TH_ATOMIC_RETURN scope:SCOPE_SYS
	s_wait_loadcnt 0x0
	global_inv scope:SCOPE_SYS
	s_wait_xcnt 0x0
	v_cmpx_ne_u64_e64 v[38:39], v[28:29]
	s_cbranch_execz .LBB71_64
; %bb.61:                               ;   in Loop: Header=BB71_3 Depth=1
	s_mov_b32 s5, 0
.LBB71_62:                              ;   Parent Loop BB71_3 Depth=1
                                        ; =>  This Inner Loop Header: Depth=2
	s_sleep 1
	s_clause 0x1
	global_load_b64 v[26:27], v11, s[2:3] offset:40
	global_load_b64 v[48:49], v11, s[2:3]
	v_mov_b64_e32 v[28:29], v[38:39]
	s_wait_loadcnt 0x1
	s_delay_alu instid0(VALU_DEP_1) | instskip(SKIP_1) | instid1(VALU_DEP_1)
	v_and_b32_e32 v0, v26, v28
	s_wait_loadcnt 0x0
	v_mad_nc_u64_u32 v[38:39], v0, 24, v[48:49]
	s_delay_alu instid0(VALU_DEP_3) | instskip(NEXT) | instid1(VALU_DEP_1)
	v_and_b32_e32 v0, v27, v29
	v_mad_u32 v39, v0, 24, v39
	global_load_b64 v[26:27], v[38:39], off scope:SCOPE_SYS
	s_wait_xcnt 0x0
	s_wait_loadcnt 0x0
	global_atomic_cmpswap_b64 v[38:39], v11, v[26:29], s[2:3] offset:24 th:TH_ATOMIC_RETURN scope:SCOPE_SYS
	s_wait_loadcnt 0x0
	global_inv scope:SCOPE_SYS
	v_cmp_eq_u64_e32 vcc_lo, v[38:39], v[28:29]
	s_or_b32 s5, vcc_lo, s5
	s_wait_xcnt 0x0
	s_and_not1_b32 exec_lo, exec_lo, s5
	s_cbranch_execnz .LBB71_62
; %bb.63:                               ;   in Loop: Header=BB71_3 Depth=1
	s_or_b32 exec_lo, exec_lo, s5
.LBB71_64:                              ;   in Loop: Header=BB71_3 Depth=1
	s_delay_alu instid0(SALU_CYCLE_1)
	s_or_b32 exec_lo, exec_lo, s4
.LBB71_65:                              ;   in Loop: Header=BB71_3 Depth=1
	s_delay_alu instid0(SALU_CYCLE_1)
	s_or_b32 exec_lo, exec_lo, s1
	s_wait_kmcnt 0x0
	s_clause 0x1
	global_load_b64 v[48:49], v11, s[2:3] offset:40
	global_load_b128 v[26:29], v11, s[2:3]
	v_readfirstlane_b32 s4, v38
	v_readfirstlane_b32 s5, v39
	s_mov_b32 s1, exec_lo
	s_wait_loadcnt 0x1
	v_and_b32_e32 v48, s4, v48
	v_and_b32_e32 v49, s5, v49
	s_delay_alu instid0(VALU_DEP_1) | instskip(SKIP_1) | instid1(VALU_DEP_1)
	v_mul_u64_e32 v[38:39], 24, v[48:49]
	s_wait_loadcnt 0x0
	v_add_nc_u64_e32 v[38:39], v[26:27], v[38:39]
	s_wait_xcnt 0x0
	s_and_saveexec_b32 s10, s0
	s_cbranch_execz .LBB71_67
; %bb.66:                               ;   in Loop: Header=BB71_3 Depth=1
	v_mov_b32_e32 v10, s1
	global_store_b128 v[38:39], v[10:13], off offset:8
.LBB71_67:                              ;   in Loop: Header=BB71_3 Depth=1
	s_wait_xcnt 0x0
	s_or_b32 exec_lo, exec_lo, s10
	v_cmp_gt_u64_e32 vcc_lo, 57, v[4:5]
	v_lshlrev_b64_e32 v[48:49], 12, v[48:49]
	v_and_b32_e32 v3, 0xffffff1f, v6
	v_lshl_add_u32 v6, v36, 2, 28
	v_dual_lshlrev_b32 v10, 6, v30 :: v_dual_cndmask_b32 v0, 0, v32, vcc_lo
	s_delay_alu instid0(VALU_DEP_4) | instskip(NEXT) | instid1(VALU_DEP_2)
	v_add_nc_u64_e32 v[28:29], v[28:29], v[48:49]
	v_or_b32_e32 v0, v3, v0
	s_delay_alu instid0(VALU_DEP_2) | instskip(NEXT) | instid1(VALU_DEP_3)
	v_readfirstlane_b32 s10, v28
	v_readfirstlane_b32 s11, v29
	s_delay_alu instid0(VALU_DEP_3)
	v_and_or_b32 v6, 0x1e0, v6, v0
	s_clause 0x3
	global_store_b128 v10, v[6:9], s[10:11]
	global_store_b128 v10, v[14:17], s[10:11] offset:16
	global_store_b128 v10, v[18:21], s[10:11] offset:32
	;; [unrolled: 1-line block ×3, first 2 shown]
	s_wait_xcnt 0x0
	s_and_saveexec_b32 s1, s0
	s_cbranch_execz .LBB71_75
; %bb.68:                               ;   in Loop: Header=BB71_3 Depth=1
	s_clause 0x1
	global_load_b64 v[18:19], v11, s[2:3] offset:32 scope:SCOPE_SYS
	global_load_b64 v[6:7], v11, s[2:3] offset:40
	s_mov_b32 s10, exec_lo
	v_dual_mov_b32 v16, s4 :: v_dual_mov_b32 v17, s5
	s_wait_loadcnt 0x0
	v_and_b32_e32 v7, s5, v7
	v_and_b32_e32 v6, s4, v6
	s_delay_alu instid0(VALU_DEP_1) | instskip(NEXT) | instid1(VALU_DEP_1)
	v_mul_u64_e32 v[6:7], 24, v[6:7]
	v_add_nc_u64_e32 v[14:15], v[26:27], v[6:7]
	global_store_b64 v[14:15], v[18:19], off
	global_wb scope:SCOPE_SYS
	s_wait_storecnt 0x0
	s_wait_xcnt 0x0
	global_atomic_cmpswap_b64 v[8:9], v11, v[16:19], s[2:3] offset:32 th:TH_ATOMIC_RETURN scope:SCOPE_SYS
	s_wait_loadcnt 0x0
	v_cmpx_ne_u64_e64 v[8:9], v[18:19]
	s_cbranch_execz .LBB71_71
; %bb.69:                               ;   in Loop: Header=BB71_3 Depth=1
	s_mov_b32 s11, 0
.LBB71_70:                              ;   Parent Loop BB71_3 Depth=1
                                        ; =>  This Inner Loop Header: Depth=2
	v_dual_mov_b32 v6, s4 :: v_dual_mov_b32 v7, s5
	s_sleep 1
	global_store_b64 v[14:15], v[8:9], off
	global_wb scope:SCOPE_SYS
	s_wait_storecnt 0x0
	s_wait_xcnt 0x0
	global_atomic_cmpswap_b64 v[6:7], v11, v[6:9], s[2:3] offset:32 th:TH_ATOMIC_RETURN scope:SCOPE_SYS
	s_wait_loadcnt 0x0
	v_cmp_eq_u64_e32 vcc_lo, v[6:7], v[8:9]
	v_mov_b64_e32 v[8:9], v[6:7]
	s_or_b32 s11, vcc_lo, s11
	s_delay_alu instid0(SALU_CYCLE_1)
	s_and_not1_b32 exec_lo, exec_lo, s11
	s_cbranch_execnz .LBB71_70
.LBB71_71:                              ;   in Loop: Header=BB71_3 Depth=1
	s_or_b32 exec_lo, exec_lo, s10
	global_load_b64 v[6:7], v11, s[2:3] offset:16
	s_mov_b32 s11, exec_lo
	s_mov_b32 s10, exec_lo
	v_mbcnt_lo_u32_b32 v0, s11, 0
	s_wait_xcnt 0x0
	s_delay_alu instid0(VALU_DEP_1)
	v_cmpx_eq_u32_e32 0, v0
	s_cbranch_execz .LBB71_73
; %bb.72:                               ;   in Loop: Header=BB71_3 Depth=1
	s_bcnt1_i32_b32 s11, s11
	s_delay_alu instid0(SALU_CYCLE_1)
	v_dual_mov_b32 v9, v11 :: v_dual_mov_b32 v8, s11
	global_wb scope:SCOPE_SYS
	s_wait_loadcnt 0x0
	s_wait_storecnt 0x0
	global_atomic_add_u64 v[6:7], v[8:9], off offset:8 scope:SCOPE_SYS
.LBB71_73:                              ;   in Loop: Header=BB71_3 Depth=1
	s_wait_xcnt 0x0
	s_or_b32 exec_lo, exec_lo, s10
	s_wait_loadcnt 0x0
	global_load_b64 v[8:9], v[6:7], off offset:16
	s_wait_loadcnt 0x0
	v_cmp_eq_u64_e32 vcc_lo, 0, v[8:9]
	s_cbranch_vccnz .LBB71_75
; %bb.74:                               ;   in Loop: Header=BB71_3 Depth=1
	global_load_b32 v6, v[6:7], off offset:24
	s_wait_xcnt 0x0
	v_mov_b32_e32 v7, v11
	s_wait_loadcnt 0x0
	v_readfirstlane_b32 s10, v6
	global_wb scope:SCOPE_SYS
	s_wait_storecnt 0x0
	global_store_b64 v[8:9], v[6:7], off scope:SCOPE_SYS
	s_and_b32 m0, s10, 0xffffff
	s_sendmsg sendmsg(MSG_INTERRUPT)
.LBB71_75:                              ;   in Loop: Header=BB71_3 Depth=1
	s_wait_xcnt 0x0
	s_or_b32 exec_lo, exec_lo, s1
	v_add_nc_u64_e32 v[6:7], v[28:29], v[10:11]
	s_branch .LBB71_79
.LBB71_76:                              ;   in Loop: Header=BB71_79 Depth=2
	s_wait_xcnt 0x0
	s_or_b32 exec_lo, exec_lo, s1
	s_delay_alu instid0(VALU_DEP_1)
	v_readfirstlane_b32 s1, v0
	s_cmp_eq_u32 s1, 0
	s_cbranch_scc1 .LBB71_78
; %bb.77:                               ;   in Loop: Header=BB71_79 Depth=2
	s_sleep 1
	s_cbranch_execnz .LBB71_79
	s_branch .LBB71_81
.LBB71_78:                              ;   in Loop: Header=BB71_3 Depth=1
	s_branch .LBB71_81
.LBB71_79:                              ;   Parent Loop BB71_3 Depth=1
                                        ; =>  This Inner Loop Header: Depth=2
	v_mov_b32_e32 v0, 1
	s_and_saveexec_b32 s1, s0
	s_cbranch_execz .LBB71_76
; %bb.80:                               ;   in Loop: Header=BB71_79 Depth=2
	global_load_b32 v0, v[38:39], off offset:20 scope:SCOPE_SYS
	s_wait_loadcnt 0x0
	global_inv scope:SCOPE_SYS
	v_and_b32_e32 v0, 1, v0
	s_branch .LBB71_76
.LBB71_81:                              ;   in Loop: Header=BB71_3 Depth=1
	global_load_b64 v[6:7], v[6:7], off
	s_wait_xcnt 0x0
	s_and_saveexec_b32 s10, s0
	s_cbranch_execz .LBB71_2
; %bb.82:                               ;   in Loop: Header=BB71_3 Depth=1
	s_clause 0x2
	global_load_b64 v[8:9], v11, s[2:3] offset:40
	global_load_b64 v[18:19], v11, s[2:3] offset:24 scope:SCOPE_SYS
	global_load_b64 v[14:15], v11, s[2:3]
	s_wait_loadcnt 0x2
	v_readfirstlane_b32 s12, v8
	v_readfirstlane_b32 s13, v9
	s_add_nc_u64 s[0:1], s[12:13], 1
	s_delay_alu instid0(SALU_CYCLE_1) | instskip(NEXT) | instid1(SALU_CYCLE_1)
	s_add_nc_u64 s[4:5], s[0:1], s[4:5]
	s_cmp_eq_u64 s[4:5], 0
	s_cselect_b32 s1, s1, s5
	s_cselect_b32 s0, s0, s4
	s_delay_alu instid0(SALU_CYCLE_1) | instskip(SKIP_1) | instid1(SALU_CYCLE_1)
	v_dual_mov_b32 v17, s1 :: v_dual_mov_b32 v16, s0
	s_and_b64 s[4:5], s[0:1], s[12:13]
	s_mul_u64 s[4:5], s[4:5], 24
	s_wait_loadcnt 0x0
	v_add_nc_u64_e32 v[8:9], s[4:5], v[14:15]
	global_store_b64 v[8:9], v[18:19], off
	global_wb scope:SCOPE_SYS
	s_wait_storecnt 0x0
	s_wait_xcnt 0x0
	global_atomic_cmpswap_b64 v[16:17], v11, v[16:19], s[2:3] offset:24 th:TH_ATOMIC_RETURN scope:SCOPE_SYS
	s_wait_loadcnt 0x0
	v_cmp_ne_u64_e32 vcc_lo, v[16:17], v[18:19]
	s_and_b32 exec_lo, exec_lo, vcc_lo
	s_cbranch_execz .LBB71_2
; %bb.83:                               ;   in Loop: Header=BB71_3 Depth=1
	s_mov_b32 s4, 0
.LBB71_84:                              ;   Parent Loop BB71_3 Depth=1
                                        ; =>  This Inner Loop Header: Depth=2
	v_dual_mov_b32 v14, s0 :: v_dual_mov_b32 v15, s1
	s_sleep 1
	global_store_b64 v[8:9], v[16:17], off
	global_wb scope:SCOPE_SYS
	s_wait_storecnt 0x0
	s_wait_xcnt 0x0
	global_atomic_cmpswap_b64 v[14:15], v11, v[14:17], s[2:3] offset:24 th:TH_ATOMIC_RETURN scope:SCOPE_SYS
	s_wait_loadcnt 0x0
	v_cmp_eq_u64_e32 vcc_lo, v[14:15], v[16:17]
	v_mov_b64_e32 v[16:17], v[14:15]
	s_or_b32 s4, vcc_lo, s4
	s_delay_alu instid0(SALU_CYCLE_1)
	s_and_not1_b32 exec_lo, exec_lo, s4
	s_cbranch_execnz .LBB71_84
	s_branch .LBB71_2
.LBB71_85:
	s_or_b32 exec_lo, exec_lo, s6
.LBB71_86:
	s_wait_loadcnt 0x0
	v_dual_mov_b32 v0, v6 :: v_dual_mov_b32 v1, v7
	s_wait_kmcnt 0x0
	s_set_pc_i64 s[30:31]
.LBB71_87:
                                        ; implicit-def: $vgpr6_vgpr7
	s_cbranch_execz .LBB71_86
; %bb.88:
	s_load_b64 s[2:3], s[8:9], 0x50
	v_readfirstlane_b32 s0, v30
	s_wait_loadcnt 0x0
	v_mov_b64_e32 v[6:7], 0
	s_delay_alu instid0(VALU_DEP_2)
	v_cmp_eq_u32_e64 s0, s0, v30
	s_and_saveexec_b32 s1, s0
	s_cbranch_execz .LBB71_94
; %bb.89:
	v_mov_b32_e32 v0, 0
	s_mov_b32 s4, exec_lo
	s_wait_kmcnt 0x0
	global_load_b64 v[8:9], v0, s[2:3] offset:24 scope:SCOPE_SYS
	s_wait_loadcnt 0x0
	global_inv scope:SCOPE_SYS
	s_clause 0x1
	global_load_b64 v[4:5], v0, s[2:3] offset:40
	global_load_b64 v[6:7], v0, s[2:3]
	s_wait_loadcnt 0x1
	v_and_b32_e32 v4, v4, v8
	v_and_b32_e32 v5, v5, v9
	s_delay_alu instid0(VALU_DEP_1) | instskip(SKIP_1) | instid1(VALU_DEP_1)
	v_mul_u64_e32 v[4:5], 24, v[4:5]
	s_wait_loadcnt 0x0
	v_add_nc_u64_e32 v[4:5], v[6:7], v[4:5]
	global_load_b64 v[6:7], v[4:5], off scope:SCOPE_SYS
	s_wait_xcnt 0x0
	s_wait_loadcnt 0x0
	global_atomic_cmpswap_b64 v[6:7], v0, v[6:9], s[2:3] offset:24 th:TH_ATOMIC_RETURN scope:SCOPE_SYS
	s_wait_loadcnt 0x0
	global_inv scope:SCOPE_SYS
	s_wait_xcnt 0x0
	v_cmpx_ne_u64_e64 v[6:7], v[8:9]
	s_cbranch_execz .LBB71_93
; %bb.90:
	s_mov_b32 s5, 0
.LBB71_91:                              ; =>This Inner Loop Header: Depth=1
	s_sleep 1
	s_clause 0x1
	global_load_b64 v[4:5], v0, s[2:3] offset:40
	global_load_b64 v[10:11], v0, s[2:3]
	v_mov_b64_e32 v[8:9], v[6:7]
	s_wait_loadcnt 0x1
	s_delay_alu instid0(VALU_DEP_1) | instskip(SKIP_1) | instid1(VALU_DEP_1)
	v_and_b32_e32 v3, v4, v8
	s_wait_loadcnt 0x0
	v_mad_nc_u64_u32 v[6:7], v3, 24, v[10:11]
	s_delay_alu instid0(VALU_DEP_3) | instskip(NEXT) | instid1(VALU_DEP_1)
	v_and_b32_e32 v3, v5, v9
	v_mad_u32 v7, v3, 24, v7
	global_load_b64 v[6:7], v[6:7], off scope:SCOPE_SYS
	s_wait_xcnt 0x0
	s_wait_loadcnt 0x0
	global_atomic_cmpswap_b64 v[6:7], v0, v[6:9], s[2:3] offset:24 th:TH_ATOMIC_RETURN scope:SCOPE_SYS
	s_wait_loadcnt 0x0
	global_inv scope:SCOPE_SYS
	v_cmp_eq_u64_e32 vcc_lo, v[6:7], v[8:9]
	s_or_b32 s5, vcc_lo, s5
	s_wait_xcnt 0x0
	s_and_not1_b32 exec_lo, exec_lo, s5
	s_cbranch_execnz .LBB71_91
; %bb.92:
	s_or_b32 exec_lo, exec_lo, s5
.LBB71_93:
	s_delay_alu instid0(SALU_CYCLE_1)
	s_or_b32 exec_lo, exec_lo, s4
.LBB71_94:
	s_delay_alu instid0(SALU_CYCLE_1)
	s_or_b32 exec_lo, exec_lo, s1
	v_readfirstlane_b32 s4, v6
	v_mov_b32_e32 v5, 0
	v_readfirstlane_b32 s5, v7
	s_mov_b32 s1, exec_lo
	s_wait_kmcnt 0x0
	s_clause 0x1
	global_load_b64 v[12:13], v5, s[2:3] offset:40
	global_load_b128 v[8:11], v5, s[2:3]
	s_wait_loadcnt 0x1
	v_and_b32_e32 v14, s4, v12
	v_and_b32_e32 v15, s5, v13
	s_delay_alu instid0(VALU_DEP_1) | instskip(SKIP_1) | instid1(VALU_DEP_1)
	v_mul_u64_e32 v[6:7], 24, v[14:15]
	s_wait_loadcnt 0x0
	v_add_nc_u64_e32 v[12:13], v[8:9], v[6:7]
	s_wait_xcnt 0x0
	s_and_saveexec_b32 s6, s0
	s_cbranch_execz .LBB71_96
; %bb.95:
	v_mov_b64_e32 v[6:7], 0x100000002
	v_mov_b32_e32 v4, s1
	global_store_b128 v[12:13], v[4:7], off offset:8
.LBB71_96:
	s_wait_xcnt 0x0
	s_or_b32 exec_lo, exec_lo, s6
	v_lshlrev_b64_e32 v[6:7], 12, v[14:15]
	s_mov_b32 s8, 0
	v_and_or_b32 v0, 0xffffff1f, v2, 32
	s_mov_b32 s10, s8
	s_mov_b32 s11, s8
	;; [unrolled: 1-line block ×3, first 2 shown]
	v_mov_b64_e32 v[16:17], s[10:11]
	v_add_nc_u64_e32 v[6:7], v[10:11], v[6:7]
	v_mov_b64_e32 v[14:15], s[8:9]
	v_dual_lshlrev_b32 v4, 6, v30 :: v_dual_mov_b32 v2, v5
	v_mov_b32_e32 v3, v5
	s_delay_alu instid0(VALU_DEP_4)
	v_readfirstlane_b32 s6, v6
	v_readfirstlane_b32 s7, v7
	s_clause 0x3
	global_store_b128 v4, v[0:3], s[6:7]
	global_store_b128 v4, v[14:17], s[6:7] offset:16
	global_store_b128 v4, v[14:17], s[6:7] offset:32
	;; [unrolled: 1-line block ×3, first 2 shown]
	s_wait_xcnt 0x0
	s_and_saveexec_b32 s1, s0
	s_cbranch_execz .LBB71_104
; %bb.97:
	v_dual_mov_b32 v10, 0 :: v_dual_mov_b32 v15, s5
	s_mov_b32 s6, exec_lo
	s_clause 0x1
	global_load_b64 v[16:17], v10, s[2:3] offset:32 scope:SCOPE_SYS
	global_load_b64 v[0:1], v10, s[2:3] offset:40
	s_wait_loadcnt 0x0
	v_dual_mov_b32 v14, s4 :: v_dual_bitop2_b32 v1, s5, v1 bitop3:0x40
	v_and_b32_e32 v0, s4, v0
	s_delay_alu instid0(VALU_DEP_1) | instskip(NEXT) | instid1(VALU_DEP_1)
	v_mul_u64_e32 v[0:1], 24, v[0:1]
	v_add_nc_u64_e32 v[8:9], v[8:9], v[0:1]
	global_store_b64 v[8:9], v[16:17], off
	global_wb scope:SCOPE_SYS
	s_wait_storecnt 0x0
	s_wait_xcnt 0x0
	global_atomic_cmpswap_b64 v[2:3], v10, v[14:17], s[2:3] offset:32 th:TH_ATOMIC_RETURN scope:SCOPE_SYS
	s_wait_loadcnt 0x0
	v_cmpx_ne_u64_e64 v[2:3], v[16:17]
	s_cbranch_execz .LBB71_100
; %bb.98:
	s_mov_b32 s7, 0
.LBB71_99:                              ; =>This Inner Loop Header: Depth=1
	v_dual_mov_b32 v0, s4 :: v_dual_mov_b32 v1, s5
	s_sleep 1
	global_store_b64 v[8:9], v[2:3], off
	global_wb scope:SCOPE_SYS
	s_wait_storecnt 0x0
	s_wait_xcnt 0x0
	global_atomic_cmpswap_b64 v[0:1], v10, v[0:3], s[2:3] offset:32 th:TH_ATOMIC_RETURN scope:SCOPE_SYS
	s_wait_loadcnt 0x0
	v_cmp_eq_u64_e32 vcc_lo, v[0:1], v[2:3]
	v_mov_b64_e32 v[2:3], v[0:1]
	s_or_b32 s7, vcc_lo, s7
	s_delay_alu instid0(SALU_CYCLE_1)
	s_and_not1_b32 exec_lo, exec_lo, s7
	s_cbranch_execnz .LBB71_99
.LBB71_100:
	s_or_b32 exec_lo, exec_lo, s6
	v_mov_b32_e32 v3, 0
	s_mov_b32 s7, exec_lo
	s_mov_b32 s6, exec_lo
	v_mbcnt_lo_u32_b32 v2, s7, 0
	global_load_b64 v[0:1], v3, s[2:3] offset:16
	s_wait_xcnt 0x0
	v_cmpx_eq_u32_e32 0, v2
	s_cbranch_execz .LBB71_102
; %bb.101:
	s_bcnt1_i32_b32 s7, s7
	s_delay_alu instid0(SALU_CYCLE_1)
	v_mov_b32_e32 v2, s7
	global_wb scope:SCOPE_SYS
	s_wait_loadcnt 0x0
	s_wait_storecnt 0x0
	global_atomic_add_u64 v[0:1], v[2:3], off offset:8 scope:SCOPE_SYS
.LBB71_102:
	s_wait_xcnt 0x0
	s_or_b32 exec_lo, exec_lo, s6
	s_wait_loadcnt 0x0
	global_load_b64 v[2:3], v[0:1], off offset:16
	s_wait_loadcnt 0x0
	v_cmp_eq_u64_e32 vcc_lo, 0, v[2:3]
	s_cbranch_vccnz .LBB71_104
; %bb.103:
	global_load_b32 v0, v[0:1], off offset:24
	s_wait_xcnt 0x0
	v_mov_b32_e32 v1, 0
	s_wait_loadcnt 0x0
	v_readfirstlane_b32 s6, v0
	global_wb scope:SCOPE_SYS
	s_wait_storecnt 0x0
	global_store_b64 v[2:3], v[0:1], off scope:SCOPE_SYS
	s_and_b32 m0, s6, 0xffffff
	s_sendmsg sendmsg(MSG_INTERRUPT)
.LBB71_104:
	s_wait_xcnt 0x0
	s_or_b32 exec_lo, exec_lo, s1
	v_add_nc_u64_e32 v[0:1], v[6:7], v[4:5]
	s_branch .LBB71_108
.LBB71_105:                             ;   in Loop: Header=BB71_108 Depth=1
	s_wait_xcnt 0x0
	s_or_b32 exec_lo, exec_lo, s1
	s_delay_alu instid0(VALU_DEP_1)
	v_readfirstlane_b32 s1, v2
	s_cmp_eq_u32 s1, 0
	s_cbranch_scc1 .LBB71_107
; %bb.106:                              ;   in Loop: Header=BB71_108 Depth=1
	s_sleep 1
	s_cbranch_execnz .LBB71_108
	s_branch .LBB71_110
.LBB71_107:
	s_branch .LBB71_110
.LBB71_108:                             ; =>This Inner Loop Header: Depth=1
	v_mov_b32_e32 v2, 1
	s_and_saveexec_b32 s1, s0
	s_cbranch_execz .LBB71_105
; %bb.109:                              ;   in Loop: Header=BB71_108 Depth=1
	global_load_b32 v2, v[12:13], off offset:20 scope:SCOPE_SYS
	s_wait_loadcnt 0x0
	global_inv scope:SCOPE_SYS
	v_and_b32_e32 v2, 1, v2
	s_branch .LBB71_105
.LBB71_110:
	global_load_b64 v[6:7], v[0:1], off
	s_wait_xcnt 0x0
	s_and_saveexec_b32 s6, s0
	s_cbranch_execz .LBB71_114
; %bb.111:
	v_mov_b32_e32 v8, 0
	s_clause 0x2
	global_load_b64 v[0:1], v8, s[2:3] offset:40
	global_load_b64 v[12:13], v8, s[2:3] offset:24 scope:SCOPE_SYS
	global_load_b64 v[2:3], v8, s[2:3]
	s_wait_loadcnt 0x2
	v_readfirstlane_b32 s8, v0
	v_readfirstlane_b32 s9, v1
	s_add_nc_u64 s[0:1], s[8:9], 1
	s_delay_alu instid0(SALU_CYCLE_1) | instskip(NEXT) | instid1(SALU_CYCLE_1)
	s_add_nc_u64 s[4:5], s[0:1], s[4:5]
	s_cmp_eq_u64 s[4:5], 0
	s_cselect_b32 s1, s1, s5
	s_cselect_b32 s0, s0, s4
	v_mov_b32_e32 v11, s1
	s_and_b64 s[4:5], s[0:1], s[8:9]
	v_mov_b32_e32 v10, s0
	s_mul_u64 s[4:5], s[4:5], 24
	s_wait_loadcnt 0x0
	v_add_nc_u64_e32 v[4:5], s[4:5], v[2:3]
	global_store_b64 v[4:5], v[12:13], off
	global_wb scope:SCOPE_SYS
	s_wait_storecnt 0x0
	s_wait_xcnt 0x0
	global_atomic_cmpswap_b64 v[2:3], v8, v[10:13], s[2:3] offset:24 th:TH_ATOMIC_RETURN scope:SCOPE_SYS
	s_wait_loadcnt 0x0
	v_cmp_ne_u64_e32 vcc_lo, v[2:3], v[12:13]
	s_and_b32 exec_lo, exec_lo, vcc_lo
	s_cbranch_execz .LBB71_114
; %bb.112:
	s_mov_b32 s4, 0
.LBB71_113:                             ; =>This Inner Loop Header: Depth=1
	v_dual_mov_b32 v0, s0 :: v_dual_mov_b32 v1, s1
	s_sleep 1
	global_store_b64 v[4:5], v[2:3], off
	global_wb scope:SCOPE_SYS
	s_wait_storecnt 0x0
	s_wait_xcnt 0x0
	global_atomic_cmpswap_b64 v[0:1], v8, v[0:3], s[2:3] offset:24 th:TH_ATOMIC_RETURN scope:SCOPE_SYS
	s_wait_loadcnt 0x0
	v_cmp_eq_u64_e32 vcc_lo, v[0:1], v[2:3]
	v_mov_b64_e32 v[2:3], v[0:1]
	s_or_b32 s4, vcc_lo, s4
	s_delay_alu instid0(SALU_CYCLE_1)
	s_and_not1_b32 exec_lo, exec_lo, s4
	s_cbranch_execnz .LBB71_113
.LBB71_114:
	s_or_b32 exec_lo, exec_lo, s6
	s_wait_loadcnt 0x0
	v_dual_mov_b32 v0, v6 :: v_dual_mov_b32 v1, v7
	s_wait_kmcnt 0x0
	s_set_pc_i64 s[30:31]
.Lfunc_end71:
	.size	__ockl_printf_append_string_n, .Lfunc_end71-__ockl_printf_append_string_n
                                        ; -- End function
	.set .L__ockl_printf_append_string_n.num_vgpr, 50
	.set .L__ockl_printf_append_string_n.num_agpr, 0
	.set .L__ockl_printf_append_string_n.numbered_sgpr, 32
	.set .L__ockl_printf_append_string_n.num_named_barrier, 0
	.set .L__ockl_printf_append_string_n.private_seg_size, 0
	.set .L__ockl_printf_append_string_n.uses_vcc, 1
	.set .L__ockl_printf_append_string_n.uses_flat_scratch, 0
	.set .L__ockl_printf_append_string_n.has_dyn_sized_stack, 0
	.set .L__ockl_printf_append_string_n.has_recursion, 0
	.set .L__ockl_printf_append_string_n.has_indirect_call, 0
	.section	.AMDGPU.csdata,"",@progbits
; Function info:
; codeLenInByte = 4348
; TotalNumSgprs: 34
; NumVgprs: 50
; ScratchSize: 0
; MemoryBound: 0
	.text
	.p2align	2                               ; -- Begin function __ockl_printf_append_args
	.type	__ockl_printf_append_args,@function
__ockl_printf_append_args:              ; @__ockl_printf_append_args
; %bb.0:
	s_wait_loadcnt_dscnt 0x0
	s_wait_kmcnt 0x0
	s_load_b64 s[2:3], s[8:9], 0x50
	v_mbcnt_lo_u32_b32 v5, -1, 0
	v_mov_b64_e32 v[12:13], 0
	s_delay_alu instid0(VALU_DEP_2) | instskip(NEXT) | instid1(VALU_DEP_1)
	v_readfirstlane_b32 s0, v5
	v_cmp_eq_u32_e64 s0, s0, v5
	s_and_saveexec_b32 s1, s0
	s_cbranch_execz .LBB72_6
; %bb.1:
	v_mov_b32_e32 v6, 0
	s_mov_b32 s4, exec_lo
	s_wait_kmcnt 0x0
	global_load_b64 v[10:11], v6, s[2:3] offset:24 scope:SCOPE_SYS
	s_wait_loadcnt 0x0
	global_inv scope:SCOPE_SYS
	s_clause 0x1
	global_load_b64 v[8:9], v6, s[2:3] offset:40
	global_load_b64 v[12:13], v6, s[2:3]
	s_wait_loadcnt 0x1
	v_and_b32_e32 v8, v8, v10
	v_and_b32_e32 v9, v9, v11
	s_delay_alu instid0(VALU_DEP_1) | instskip(SKIP_1) | instid1(VALU_DEP_1)
	v_mul_u64_e32 v[8:9], 24, v[8:9]
	s_wait_loadcnt 0x0
	v_add_nc_u64_e32 v[8:9], v[12:13], v[8:9]
	global_load_b64 v[8:9], v[8:9], off scope:SCOPE_SYS
	s_wait_xcnt 0x0
	s_wait_loadcnt 0x0
	global_atomic_cmpswap_b64 v[12:13], v6, v[8:11], s[2:3] offset:24 th:TH_ATOMIC_RETURN scope:SCOPE_SYS
	s_wait_loadcnt 0x0
	global_inv scope:SCOPE_SYS
	s_wait_xcnt 0x0
	v_cmpx_ne_u64_e64 v[12:13], v[10:11]
	s_cbranch_execz .LBB72_5
; %bb.2:
	s_mov_b32 s5, 0
.LBB72_3:                               ; =>This Inner Loop Header: Depth=1
	s_sleep 1
	s_clause 0x1
	global_load_b64 v[8:9], v6, s[2:3] offset:40
	global_load_b64 v[14:15], v6, s[2:3]
	v_mov_b64_e32 v[10:11], v[12:13]
	s_wait_loadcnt 0x1
	s_delay_alu instid0(VALU_DEP_1) | instskip(SKIP_1) | instid1(VALU_DEP_1)
	v_and_b32_e32 v7, v8, v10
	s_wait_loadcnt 0x0
	v_mad_nc_u64_u32 v[12:13], v7, 24, v[14:15]
	s_delay_alu instid0(VALU_DEP_3) | instskip(NEXT) | instid1(VALU_DEP_1)
	v_and_b32_e32 v7, v9, v11
	v_mad_u32 v13, v7, 24, v13
	global_load_b64 v[8:9], v[12:13], off scope:SCOPE_SYS
	s_wait_xcnt 0x0
	s_wait_loadcnt 0x0
	global_atomic_cmpswap_b64 v[12:13], v6, v[8:11], s[2:3] offset:24 th:TH_ATOMIC_RETURN scope:SCOPE_SYS
	s_wait_loadcnt 0x0
	global_inv scope:SCOPE_SYS
	v_cmp_eq_u64_e32 vcc_lo, v[12:13], v[10:11]
	s_or_b32 s5, vcc_lo, s5
	s_wait_xcnt 0x0
	s_and_not1_b32 exec_lo, exec_lo, s5
	s_cbranch_execnz .LBB72_3
; %bb.4:
	s_or_b32 exec_lo, exec_lo, s5
.LBB72_5:
	s_delay_alu instid0(SALU_CYCLE_1)
	s_or_b32 exec_lo, exec_lo, s4
.LBB72_6:
	s_delay_alu instid0(SALU_CYCLE_1)
	s_or_b32 exec_lo, exec_lo, s1
	v_readfirstlane_b32 s4, v12
	v_mov_b32_e32 v11, 0
	v_readfirstlane_b32 s5, v13
	s_mov_b32 s1, exec_lo
	s_wait_kmcnt 0x0
	s_clause 0x1
	global_load_b64 v[14:15], v11, s[2:3] offset:40
	global_load_b128 v[6:9], v11, s[2:3]
	s_wait_loadcnt 0x1
	v_and_b32_e32 v16, s4, v14
	v_and_b32_e32 v17, s5, v15
	s_delay_alu instid0(VALU_DEP_1) | instskip(SKIP_1) | instid1(VALU_DEP_1)
	v_mul_u64_e32 v[12:13], 24, v[16:17]
	s_wait_loadcnt 0x0
	v_add_nc_u64_e32 v[14:15], v[6:7], v[12:13]
	s_wait_xcnt 0x0
	s_and_saveexec_b32 s6, s0
	s_cbranch_execz .LBB72_8
; %bb.7:
	v_mov_b64_e32 v[12:13], 0x100000002
	v_mov_b32_e32 v10, s1
	global_store_b128 v[14:15], v[10:13], off offset:8
.LBB72_8:
	s_wait_xcnt 0x0
	s_or_b32 exec_lo, exec_lo, s6
	v_lshlrev_b64_e32 v[10:11], 12, v[16:17]
	v_or_b32_e32 v12, 2, v0
	v_cmp_eq_u32_e32 vcc_lo, 0, v4
	s_mov_b32 s8, 0
	v_lshlrev_b32_e32 v4, 6, v5
	s_mov_b32 s9, s8
	s_mov_b32 s10, s8
	v_add_nc_u64_e32 v[8:9], v[8:9], v[10:11]
	v_cndmask_b32_e32 v0, v12, v0, vcc_lo
	s_mov_b32 s11, s8
	s_delay_alu instid0(VALU_DEP_1) | instskip(NEXT) | instid1(VALU_DEP_3)
	v_and_or_b32 v0, 0xffffff1f, v0, 32
	v_readfirstlane_b32 s6, v8
	s_delay_alu instid0(VALU_DEP_4)
	v_readfirstlane_b32 s7, v9
	v_mov_b64_e32 v[8:9], s[8:9]
	v_mov_b64_e32 v[10:11], s[10:11]
	s_clause 0x3
	global_store_b128 v4, v[0:3], s[6:7]
	global_store_b128 v4, v[8:11], s[6:7] offset:16
	global_store_b128 v4, v[8:11], s[6:7] offset:32
	;; [unrolled: 1-line block ×3, first 2 shown]
	s_wait_xcnt 0x0
	s_and_saveexec_b32 s1, s0
	s_cbranch_execz .LBB72_16
; %bb.9:
	v_dual_mov_b32 v8, 0 :: v_dual_mov_b32 v11, s5
	s_mov_b32 s6, exec_lo
	s_clause 0x1
	global_load_b64 v[12:13], v8, s[2:3] offset:32 scope:SCOPE_SYS
	global_load_b64 v[0:1], v8, s[2:3] offset:40
	s_wait_loadcnt 0x0
	v_dual_mov_b32 v10, s4 :: v_dual_bitop2_b32 v1, s5, v1 bitop3:0x40
	v_and_b32_e32 v0, s4, v0
	s_delay_alu instid0(VALU_DEP_1) | instskip(NEXT) | instid1(VALU_DEP_1)
	v_mul_u64_e32 v[0:1], 24, v[0:1]
	v_add_nc_u64_e32 v[4:5], v[6:7], v[0:1]
	global_store_b64 v[4:5], v[12:13], off
	global_wb scope:SCOPE_SYS
	s_wait_storecnt 0x0
	s_wait_xcnt 0x0
	global_atomic_cmpswap_b64 v[2:3], v8, v[10:13], s[2:3] offset:32 th:TH_ATOMIC_RETURN scope:SCOPE_SYS
	s_wait_loadcnt 0x0
	v_cmpx_ne_u64_e64 v[2:3], v[12:13]
	s_cbranch_execz .LBB72_12
; %bb.10:
	s_mov_b32 s7, 0
.LBB72_11:                              ; =>This Inner Loop Header: Depth=1
	v_dual_mov_b32 v0, s4 :: v_dual_mov_b32 v1, s5
	s_sleep 1
	global_store_b64 v[4:5], v[2:3], off
	global_wb scope:SCOPE_SYS
	s_wait_storecnt 0x0
	s_wait_xcnt 0x0
	global_atomic_cmpswap_b64 v[0:1], v8, v[0:3], s[2:3] offset:32 th:TH_ATOMIC_RETURN scope:SCOPE_SYS
	s_wait_loadcnt 0x0
	v_cmp_eq_u64_e32 vcc_lo, v[0:1], v[2:3]
	v_mov_b64_e32 v[2:3], v[0:1]
	s_or_b32 s7, vcc_lo, s7
	s_delay_alu instid0(SALU_CYCLE_1)
	s_and_not1_b32 exec_lo, exec_lo, s7
	s_cbranch_execnz .LBB72_11
.LBB72_12:
	s_or_b32 exec_lo, exec_lo, s6
	v_mov_b32_e32 v3, 0
	s_mov_b32 s7, exec_lo
	s_mov_b32 s6, exec_lo
	v_mbcnt_lo_u32_b32 v2, s7, 0
	global_load_b64 v[0:1], v3, s[2:3] offset:16
	s_wait_xcnt 0x0
	v_cmpx_eq_u32_e32 0, v2
	s_cbranch_execz .LBB72_14
; %bb.13:
	s_bcnt1_i32_b32 s7, s7
	s_delay_alu instid0(SALU_CYCLE_1)
	v_mov_b32_e32 v2, s7
	global_wb scope:SCOPE_SYS
	s_wait_loadcnt 0x0
	s_wait_storecnt 0x0
	global_atomic_add_u64 v[0:1], v[2:3], off offset:8 scope:SCOPE_SYS
.LBB72_14:
	s_wait_xcnt 0x0
	s_or_b32 exec_lo, exec_lo, s6
	s_wait_loadcnt 0x0
	global_load_b64 v[2:3], v[0:1], off offset:16
	s_wait_loadcnt 0x0
	v_cmp_eq_u64_e32 vcc_lo, 0, v[2:3]
	s_cbranch_vccnz .LBB72_16
; %bb.15:
	global_load_b32 v0, v[0:1], off offset:24
	s_wait_xcnt 0x0
	v_mov_b32_e32 v1, 0
	s_wait_loadcnt 0x0
	v_readfirstlane_b32 s6, v0
	global_wb scope:SCOPE_SYS
	s_wait_storecnt 0x0
	global_store_b64 v[2:3], v[0:1], off scope:SCOPE_SYS
	s_and_b32 m0, s6, 0xffffff
	s_sendmsg sendmsg(MSG_INTERRUPT)
.LBB72_16:
	s_wait_xcnt 0x0
	s_or_b32 exec_lo, exec_lo, s1
	s_branch .LBB72_20
.LBB72_17:                              ;   in Loop: Header=BB72_20 Depth=1
	s_wait_xcnt 0x0
	s_or_b32 exec_lo, exec_lo, s1
	s_delay_alu instid0(VALU_DEP_1)
	v_readfirstlane_b32 s1, v0
	s_cmp_eq_u32 s1, 0
	s_cbranch_scc1 .LBB72_19
; %bb.18:                               ;   in Loop: Header=BB72_20 Depth=1
	s_sleep 1
	s_cbranch_execnz .LBB72_20
	s_branch .LBB72_22
.LBB72_19:
	s_branch .LBB72_22
.LBB72_20:                              ; =>This Inner Loop Header: Depth=1
	v_mov_b32_e32 v0, 1
	s_and_saveexec_b32 s1, s0
	s_cbranch_execz .LBB72_17
; %bb.21:                               ;   in Loop: Header=BB72_20 Depth=1
	global_load_b32 v0, v[14:15], off offset:20 scope:SCOPE_SYS
	s_wait_loadcnt 0x0
	global_inv scope:SCOPE_SYS
	v_and_b32_e32 v0, 1, v0
	s_branch .LBB72_17
.LBB72_22:
	s_and_saveexec_b32 s6, s0
	s_cbranch_execz .LBB72_26
; %bb.23:
	v_mov_b32_e32 v6, 0
	s_clause 0x2
	global_load_b64 v[0:1], v6, s[2:3] offset:40
	global_load_b64 v[10:11], v6, s[2:3] offset:24 scope:SCOPE_SYS
	global_load_b64 v[2:3], v6, s[2:3]
	s_wait_loadcnt 0x2
	v_readfirstlane_b32 s8, v0
	v_readfirstlane_b32 s9, v1
	s_add_nc_u64 s[0:1], s[8:9], 1
	s_delay_alu instid0(SALU_CYCLE_1) | instskip(NEXT) | instid1(SALU_CYCLE_1)
	s_add_nc_u64 s[4:5], s[0:1], s[4:5]
	s_cmp_eq_u64 s[4:5], 0
	s_cselect_b32 s1, s1, s5
	s_cselect_b32 s0, s0, s4
	v_mov_b32_e32 v9, s1
	s_and_b64 s[4:5], s[0:1], s[8:9]
	v_mov_b32_e32 v8, s0
	s_mul_u64 s[4:5], s[4:5], 24
	s_wait_loadcnt 0x0
	v_add_nc_u64_e32 v[4:5], s[4:5], v[2:3]
	global_store_b64 v[4:5], v[10:11], off
	global_wb scope:SCOPE_SYS
	s_wait_storecnt 0x0
	s_wait_xcnt 0x0
	global_atomic_cmpswap_b64 v[2:3], v6, v[8:11], s[2:3] offset:24 th:TH_ATOMIC_RETURN scope:SCOPE_SYS
	s_wait_loadcnt 0x0
	v_cmp_ne_u64_e32 vcc_lo, v[2:3], v[10:11]
	s_and_b32 exec_lo, exec_lo, vcc_lo
	s_cbranch_execz .LBB72_26
; %bb.24:
	s_mov_b32 s4, 0
.LBB72_25:                              ; =>This Inner Loop Header: Depth=1
	v_dual_mov_b32 v0, s0 :: v_dual_mov_b32 v1, s1
	s_sleep 1
	global_store_b64 v[4:5], v[2:3], off
	global_wb scope:SCOPE_SYS
	s_wait_storecnt 0x0
	s_wait_xcnt 0x0
	global_atomic_cmpswap_b64 v[0:1], v6, v[0:3], s[2:3] offset:24 th:TH_ATOMIC_RETURN scope:SCOPE_SYS
	s_wait_loadcnt 0x0
	v_cmp_eq_u64_e32 vcc_lo, v[0:1], v[2:3]
	v_mov_b64_e32 v[2:3], v[0:1]
	s_or_b32 s4, vcc_lo, s4
	s_delay_alu instid0(SALU_CYCLE_1)
	s_and_not1_b32 exec_lo, exec_lo, s4
	s_cbranch_execnz .LBB72_25
.LBB72_26:
	s_or_b32 exec_lo, exec_lo, s6
	s_wait_loadcnt 0x0
	s_wait_kmcnt 0x0
	s_set_pc_i64 s[30:31]
.Lfunc_end72:
	.size	__ockl_printf_append_args, .Lfunc_end72-__ockl_printf_append_args
                                        ; -- End function
	.set .L__ockl_printf_append_args.num_vgpr, 18
	.set .L__ockl_printf_append_args.num_agpr, 0
	.set .L__ockl_printf_append_args.numbered_sgpr, 32
	.set .L__ockl_printf_append_args.num_named_barrier, 0
	.set .L__ockl_printf_append_args.private_seg_size, 0
	.set .L__ockl_printf_append_args.uses_vcc, 1
	.set .L__ockl_printf_append_args.uses_flat_scratch, 0
	.set .L__ockl_printf_append_args.has_dyn_sized_stack, 0
	.set .L__ockl_printf_append_args.has_recursion, 0
	.set .L__ockl_printf_append_args.has_indirect_call, 0
	.section	.AMDGPU.csdata,"",@progbits
; Function info:
; codeLenInByte = 1436
; TotalNumSgprs: 34
; NumVgprs: 18
; ScratchSize: 0
; MemoryBound: 0
	.text
	.p2align	2                               ; -- Begin function _ZL14no_device_codePKciS0_iS0_
	.type	_ZL14no_device_codePKciS0_iS0_,@function
_ZL14no_device_codePKciS0_iS0_:         ; @_ZL14no_device_codePKciS0_iS0_
; %bb.0:
	s_wait_loadcnt_dscnt 0x0
	s_wait_kmcnt 0x0
	s_mov_b32 s20, s33
	s_mov_b32 s33, s32
	s_or_saveexec_b32 s0, -1
	scratch_store_b32 off, v40, s33         ; 4-byte Folded Spill
	s_wait_xcnt 0x0
	s_mov_b32 exec_lo, s0
	v_writelane_b32 v40, s30, 0
	s_add_co_i32 s32, s32, 16
	v_writelane_b32 v40, s31, 1
	s_load_b64 s[2:3], s[8:9], 0x50
	v_mbcnt_lo_u32_b32 v29, -1, 0
	v_mov_b64_e32 v[2:3], 0
	s_delay_alu instid0(VALU_DEP_2) | instskip(NEXT) | instid1(VALU_DEP_1)
	v_readfirstlane_b32 s0, v29
	v_cmp_eq_u32_e64 s0, s0, v29
	s_and_saveexec_b32 s1, s0
	s_cbranch_execz .LBB73_6
; %bb.1:
	v_mov_b32_e32 v0, 0
	s_mov_b32 s4, exec_lo
	s_wait_kmcnt 0x0
	global_load_b64 v[4:5], v0, s[2:3] offset:24 scope:SCOPE_SYS
	s_wait_loadcnt 0x0
	global_inv scope:SCOPE_SYS
	s_clause 0x1
	global_load_b64 v[2:3], v0, s[2:3] offset:40
	global_load_b64 v[6:7], v0, s[2:3]
	s_wait_loadcnt 0x1
	v_and_b32_e32 v2, v2, v4
	v_and_b32_e32 v3, v3, v5
	s_delay_alu instid0(VALU_DEP_1) | instskip(SKIP_1) | instid1(VALU_DEP_1)
	v_mul_u64_e32 v[2:3], 24, v[2:3]
	s_wait_loadcnt 0x0
	v_add_nc_u64_e32 v[2:3], v[6:7], v[2:3]
	global_load_b64 v[2:3], v[2:3], off scope:SCOPE_SYS
	s_wait_xcnt 0x0
	s_wait_loadcnt 0x0
	global_atomic_cmpswap_b64 v[2:3], v0, v[2:5], s[2:3] offset:24 th:TH_ATOMIC_RETURN scope:SCOPE_SYS
	s_wait_loadcnt 0x0
	global_inv scope:SCOPE_SYS
	s_wait_xcnt 0x0
	v_cmpx_ne_u64_e64 v[2:3], v[4:5]
	s_cbranch_execz .LBB73_5
; %bb.2:
	s_mov_b32 s5, 0
.LBB73_3:                               ; =>This Inner Loop Header: Depth=1
	s_sleep 1
	s_clause 0x1
	global_load_b64 v[6:7], v0, s[2:3] offset:40
	global_load_b64 v[8:9], v0, s[2:3]
	v_mov_b64_e32 v[4:5], v[2:3]
	s_wait_loadcnt 0x1
	s_delay_alu instid0(VALU_DEP_1) | instskip(SKIP_1) | instid1(VALU_DEP_1)
	v_and_b32_e32 v1, v6, v4
	s_wait_loadcnt 0x0
	v_mad_nc_u64_u32 v[2:3], v1, 24, v[8:9]
	s_delay_alu instid0(VALU_DEP_3) | instskip(NEXT) | instid1(VALU_DEP_1)
	v_and_b32_e32 v1, v7, v5
	v_mad_u32 v3, v1, 24, v3
	global_load_b64 v[2:3], v[2:3], off scope:SCOPE_SYS
	s_wait_xcnt 0x0
	s_wait_loadcnt 0x0
	global_atomic_cmpswap_b64 v[2:3], v0, v[2:5], s[2:3] offset:24 th:TH_ATOMIC_RETURN scope:SCOPE_SYS
	s_wait_loadcnt 0x0
	global_inv scope:SCOPE_SYS
	v_cmp_eq_u64_e32 vcc_lo, v[2:3], v[4:5]
	s_or_b32 s5, vcc_lo, s5
	s_wait_xcnt 0x0
	s_and_not1_b32 exec_lo, exec_lo, s5
	s_cbranch_execnz .LBB73_3
; %bb.4:
	s_or_b32 exec_lo, exec_lo, s5
.LBB73_5:
	s_delay_alu instid0(SALU_CYCLE_1)
	s_or_b32 exec_lo, exec_lo, s4
.LBB73_6:
	s_delay_alu instid0(SALU_CYCLE_1)
	s_or_b32 exec_lo, exec_lo, s1
	v_readfirstlane_b32 s4, v2
	v_mov_b32_e32 v1, 0
	v_readfirstlane_b32 s5, v3
	s_mov_b32 s1, exec_lo
	s_wait_kmcnt 0x0
	s_clause 0x1
	global_load_b64 v[8:9], v1, s[2:3] offset:40
	global_load_b128 v[4:7], v1, s[2:3]
	s_wait_loadcnt 0x1
	v_and_b32_e32 v10, s4, v8
	v_and_b32_e32 v11, s5, v9
	s_delay_alu instid0(VALU_DEP_1) | instskip(SKIP_1) | instid1(VALU_DEP_1)
	v_mul_u64_e32 v[2:3], 24, v[10:11]
	s_wait_loadcnt 0x0
	v_add_nc_u64_e32 v[8:9], v[4:5], v[2:3]
	s_wait_xcnt 0x0
	s_and_saveexec_b32 s6, s0
	s_cbranch_execz .LBB73_8
; %bb.7:
	v_mov_b64_e32 v[2:3], 0x100000002
	v_mov_b32_e32 v0, s1
	global_store_b128 v[8:9], v[0:3], off offset:8
.LBB73_8:
	s_wait_xcnt 0x0
	s_or_b32 exec_lo, exec_lo, s6
	v_lshlrev_b64_e32 v[2:3], 12, v[10:11]
	s_mov_b32 s12, 0
	v_dual_lshlrev_b32 v0, 6, v29 :: v_dual_mov_b32 v10, 33
	s_mov_b32 s14, s12
	s_mov_b32 s15, s12
	;; [unrolled: 1-line block ×3, first 2 shown]
	s_delay_alu instid0(VALU_DEP_2)
	v_add_nc_u64_e32 v[6:7], v[6:7], v[2:3]
	v_mov_b64_e32 v[16:17], s[14:15]
	v_mov_b64_e32 v[14:15], s[12:13]
	v_dual_mov_b32 v11, v1 :: v_dual_mov_b32 v12, v1
	v_mov_b32_e32 v13, v1
	v_readfirstlane_b32 s6, v6
	v_readfirstlane_b32 s7, v7
	s_clause 0x3
	global_store_b128 v0, v[10:13], s[6:7]
	global_store_b128 v0, v[14:17], s[6:7] offset:16
	global_store_b128 v0, v[14:17], s[6:7] offset:32
	;; [unrolled: 1-line block ×3, first 2 shown]
	s_wait_xcnt 0x0
	s_and_saveexec_b32 s1, s0
	s_cbranch_execz .LBB73_16
; %bb.9:
	v_dual_mov_b32 v12, 0 :: v_dual_mov_b32 v15, s5
	s_mov_b32 s6, exec_lo
	s_clause 0x1
	global_load_b64 v[16:17], v12, s[2:3] offset:32 scope:SCOPE_SYS
	global_load_b64 v[2:3], v12, s[2:3] offset:40
	s_wait_loadcnt 0x0
	v_dual_mov_b32 v14, s4 :: v_dual_bitop2_b32 v3, s5, v3 bitop3:0x40
	v_and_b32_e32 v2, s4, v2
	s_delay_alu instid0(VALU_DEP_1) | instskip(NEXT) | instid1(VALU_DEP_1)
	v_mul_u64_e32 v[2:3], 24, v[2:3]
	v_add_nc_u64_e32 v[10:11], v[4:5], v[2:3]
	global_store_b64 v[10:11], v[16:17], off
	global_wb scope:SCOPE_SYS
	s_wait_storecnt 0x0
	s_wait_xcnt 0x0
	global_atomic_cmpswap_b64 v[4:5], v12, v[14:17], s[2:3] offset:32 th:TH_ATOMIC_RETURN scope:SCOPE_SYS
	s_wait_loadcnt 0x0
	v_cmpx_ne_u64_e64 v[4:5], v[16:17]
	s_cbranch_execz .LBB73_12
; %bb.10:
	s_mov_b32 s7, 0
.LBB73_11:                              ; =>This Inner Loop Header: Depth=1
	v_dual_mov_b32 v2, s4 :: v_dual_mov_b32 v3, s5
	s_sleep 1
	global_store_b64 v[10:11], v[4:5], off
	global_wb scope:SCOPE_SYS
	s_wait_storecnt 0x0
	s_wait_xcnt 0x0
	global_atomic_cmpswap_b64 v[2:3], v12, v[2:5], s[2:3] offset:32 th:TH_ATOMIC_RETURN scope:SCOPE_SYS
	s_wait_loadcnt 0x0
	v_cmp_eq_u64_e32 vcc_lo, v[2:3], v[4:5]
	v_mov_b64_e32 v[4:5], v[2:3]
	s_or_b32 s7, vcc_lo, s7
	s_delay_alu instid0(SALU_CYCLE_1)
	s_and_not1_b32 exec_lo, exec_lo, s7
	s_cbranch_execnz .LBB73_11
.LBB73_12:
	s_or_b32 exec_lo, exec_lo, s6
	v_mov_b32_e32 v5, 0
	s_mov_b32 s7, exec_lo
	s_mov_b32 s6, exec_lo
	v_mbcnt_lo_u32_b32 v4, s7, 0
	global_load_b64 v[2:3], v5, s[2:3] offset:16
	s_wait_xcnt 0x0
	v_cmpx_eq_u32_e32 0, v4
	s_cbranch_execz .LBB73_14
; %bb.13:
	s_bcnt1_i32_b32 s7, s7
	s_delay_alu instid0(SALU_CYCLE_1)
	v_mov_b32_e32 v4, s7
	global_wb scope:SCOPE_SYS
	s_wait_loadcnt 0x0
	s_wait_storecnt 0x0
	global_atomic_add_u64 v[2:3], v[4:5], off offset:8 scope:SCOPE_SYS
.LBB73_14:
	s_wait_xcnt 0x0
	s_or_b32 exec_lo, exec_lo, s6
	s_wait_loadcnt 0x0
	global_load_b64 v[4:5], v[2:3], off offset:16
	s_wait_loadcnt 0x0
	v_cmp_eq_u64_e32 vcc_lo, 0, v[4:5]
	s_cbranch_vccnz .LBB73_16
; %bb.15:
	global_load_b32 v2, v[2:3], off offset:24
	s_wait_xcnt 0x0
	v_mov_b32_e32 v3, 0
	s_wait_loadcnt 0x0
	v_readfirstlane_b32 s6, v2
	global_wb scope:SCOPE_SYS
	s_wait_storecnt 0x0
	global_store_b64 v[4:5], v[2:3], off scope:SCOPE_SYS
	s_and_b32 m0, s6, 0xffffff
	s_sendmsg sendmsg(MSG_INTERRUPT)
.LBB73_16:
	s_wait_xcnt 0x0
	s_or_b32 exec_lo, exec_lo, s1
	v_add_nc_u64_e32 v[2:3], v[6:7], v[0:1]
	s_branch .LBB73_20
.LBB73_17:                              ;   in Loop: Header=BB73_20 Depth=1
	s_wait_xcnt 0x0
	s_or_b32 exec_lo, exec_lo, s1
	s_delay_alu instid0(VALU_DEP_1)
	v_readfirstlane_b32 s1, v1
	s_cmp_eq_u32 s1, 0
	s_cbranch_scc1 .LBB73_19
; %bb.18:                               ;   in Loop: Header=BB73_20 Depth=1
	s_sleep 1
	s_cbranch_execnz .LBB73_20
	s_branch .LBB73_22
.LBB73_19:
	s_branch .LBB73_22
.LBB73_20:                              ; =>This Inner Loop Header: Depth=1
	v_mov_b32_e32 v1, 1
	s_and_saveexec_b32 s1, s0
	s_cbranch_execz .LBB73_17
; %bb.21:                               ;   in Loop: Header=BB73_20 Depth=1
	global_load_b32 v1, v[8:9], off offset:20 scope:SCOPE_SYS
	s_wait_loadcnt 0x0
	global_inv scope:SCOPE_SYS
	v_and_b32_e32 v1, 1, v1
	s_branch .LBB73_17
.LBB73_22:
	global_load_b64 v[6:7], v[2:3], off
	s_wait_xcnt 0x0
	s_and_saveexec_b32 s6, s0
	s_cbranch_execz .LBB73_26
; %bb.23:
	v_mov_b32_e32 v1, 0
	s_clause 0x2
	global_load_b64 v[2:3], v1, s[2:3] offset:40
	global_load_b64 v[12:13], v1, s[2:3] offset:24 scope:SCOPE_SYS
	global_load_b64 v[4:5], v1, s[2:3]
	s_wait_loadcnt 0x2
	v_readfirstlane_b32 s10, v2
	v_readfirstlane_b32 s11, v3
	s_add_nc_u64 s[0:1], s[10:11], 1
	s_delay_alu instid0(SALU_CYCLE_1) | instskip(NEXT) | instid1(SALU_CYCLE_1)
	s_add_nc_u64 s[4:5], s[0:1], s[4:5]
	s_cmp_eq_u64 s[4:5], 0
	s_cselect_b32 s1, s1, s5
	s_cselect_b32 s0, s0, s4
	v_mov_b32_e32 v11, s1
	s_and_b64 s[4:5], s[0:1], s[10:11]
	v_mov_b32_e32 v10, s0
	s_mul_u64 s[4:5], s[4:5], 24
	s_wait_loadcnt 0x0
	v_add_nc_u64_e32 v[8:9], s[4:5], v[4:5]
	global_store_b64 v[8:9], v[12:13], off
	global_wb scope:SCOPE_SYS
	s_wait_storecnt 0x0
	s_wait_xcnt 0x0
	global_atomic_cmpswap_b64 v[4:5], v1, v[10:13], s[2:3] offset:24 th:TH_ATOMIC_RETURN scope:SCOPE_SYS
	s_wait_loadcnt 0x0
	v_cmp_ne_u64_e32 vcc_lo, v[4:5], v[12:13]
	s_and_b32 exec_lo, exec_lo, vcc_lo
	s_cbranch_execz .LBB73_26
; %bb.24:
	s_mov_b32 s4, 0
.LBB73_25:                              ; =>This Inner Loop Header: Depth=1
	v_dual_mov_b32 v2, s0 :: v_dual_mov_b32 v3, s1
	s_sleep 1
	global_store_b64 v[8:9], v[4:5], off
	global_wb scope:SCOPE_SYS
	s_wait_storecnt 0x0
	s_wait_xcnt 0x0
	global_atomic_cmpswap_b64 v[2:3], v1, v[2:5], s[2:3] offset:24 th:TH_ATOMIC_RETURN scope:SCOPE_SYS
	s_wait_loadcnt 0x0
	v_cmp_eq_u64_e32 vcc_lo, v[2:3], v[4:5]
	v_mov_b64_e32 v[4:5], v[2:3]
	s_or_b32 s4, vcc_lo, s4
	s_delay_alu instid0(SALU_CYCLE_1)
	s_and_not1_b32 exec_lo, exec_lo, s4
	s_cbranch_execnz .LBB73_25
.LBB73_26:
	s_or_b32 exec_lo, exec_lo, s6
	s_get_pc_i64 s[4:5]
	s_add_nc_u64 s[4:5], s[4:5], .str.5@rel64+4
	s_delay_alu instid0(SALU_CYCLE_1)
	s_cmp_lg_u64 s[4:5], 0
	s_cbranch_scc0 .LBB73_104
; %bb.27:
	v_mov_b64_e32 v[10:11], 0x100000002
	s_wait_loadcnt 0x0
	v_dual_mov_b32 v9, 0 :: v_dual_bitop2_b32 v28, 2, v6 bitop3:0x40
	v_dual_mov_b32 v3, v7 :: v_dual_bitop2_b32 v2, -3, v6 bitop3:0x40
	s_mov_b64 s[6:7], 0x4d
	s_branch .LBB73_29
.LBB73_28:                              ;   in Loop: Header=BB73_29 Depth=1
	s_or_b32 exec_lo, exec_lo, s14
	s_sub_nc_u64 s[6:7], s[6:7], s[10:11]
	s_add_nc_u64 s[4:5], s[4:5], s[10:11]
	s_cmp_lg_u64 s[6:7], 0
	s_cbranch_scc0 .LBB73_105
.LBB73_29:                              ; =>This Loop Header: Depth=1
                                        ;     Child Loop BB73_32 Depth 2
                                        ;     Child Loop BB73_39 Depth 2
	;; [unrolled: 1-line block ×11, first 2 shown]
	v_min_u64 v[4:5], s[6:7], 56
	v_cmp_gt_u64_e64 s0, s[6:7], 7
	s_and_b32 vcc_lo, exec_lo, s0
	v_readfirstlane_b32 s10, v4
	v_readfirstlane_b32 s11, v5
	s_cbranch_vccnz .LBB73_34
; %bb.30:                               ;   in Loop: Header=BB73_29 Depth=1
	v_mov_b64_e32 v[4:5], 0
	s_cmp_eq_u64 s[6:7], 0
	s_cbranch_scc1 .LBB73_33
; %bb.31:                               ;   in Loop: Header=BB73_29 Depth=1
	s_mov_b64 s[0:1], 0
	s_mov_b64 s[12:13], 0
.LBB73_32:                              ;   Parent Loop BB73_29 Depth=1
                                        ; =>  This Inner Loop Header: Depth=2
	s_wait_xcnt 0x0
	s_add_nc_u64 s[14:15], s[4:5], s[12:13]
	s_add_nc_u64 s[12:13], s[12:13], 1
	global_load_u8 v1, v9, s[14:15]
	s_cmp_lg_u32 s10, s12
	s_wait_loadcnt 0x0
	v_and_b32_e32 v8, 0xffff, v1
	s_delay_alu instid0(VALU_DEP_1) | instskip(SKIP_1) | instid1(VALU_DEP_1)
	v_lshlrev_b64_e32 v[12:13], s0, v[8:9]
	s_add_nc_u64 s[0:1], s[0:1], 8
	v_or_b32_e32 v4, v12, v4
	s_delay_alu instid0(VALU_DEP_2)
	v_or_b32_e32 v5, v13, v5
	s_cbranch_scc1 .LBB73_32
.LBB73_33:                              ;   in Loop: Header=BB73_29 Depth=1
	s_mov_b64 s[12:13], s[4:5]
	s_mov_b32 s16, 0
	s_cbranch_execz .LBB73_35
	s_branch .LBB73_36
.LBB73_34:                              ;   in Loop: Header=BB73_29 Depth=1
	s_add_nc_u64 s[12:13], s[4:5], 8
	s_mov_b32 s16, 0
.LBB73_35:                              ;   in Loop: Header=BB73_29 Depth=1
	global_load_b64 v[4:5], v9, s[4:5]
	s_add_co_i32 s16, s10, -8
.LBB73_36:                              ;   in Loop: Header=BB73_29 Depth=1
	s_delay_alu instid0(SALU_CYCLE_1)
	s_cmp_gt_u32 s16, 7
	s_cbranch_scc1 .LBB73_41
; %bb.37:                               ;   in Loop: Header=BB73_29 Depth=1
	v_mov_b64_e32 v[12:13], 0
	s_cmp_eq_u32 s16, 0
	s_cbranch_scc1 .LBB73_40
; %bb.38:                               ;   in Loop: Header=BB73_29 Depth=1
	s_mov_b64 s[0:1], 0
	s_wait_xcnt 0x0
	s_mov_b64 s[14:15], 0
.LBB73_39:                              ;   Parent Loop BB73_29 Depth=1
                                        ; =>  This Inner Loop Header: Depth=2
	s_wait_xcnt 0x0
	s_add_nc_u64 s[18:19], s[12:13], s[14:15]
	s_add_nc_u64 s[14:15], s[14:15], 1
	global_load_u8 v1, v9, s[18:19]
	s_cmp_lg_u32 s16, s14
	s_wait_loadcnt 0x0
	v_and_b32_e32 v8, 0xffff, v1
	s_delay_alu instid0(VALU_DEP_1) | instskip(SKIP_1) | instid1(VALU_DEP_1)
	v_lshlrev_b64_e32 v[14:15], s0, v[8:9]
	s_add_nc_u64 s[0:1], s[0:1], 8
	v_or_b32_e32 v12, v14, v12
	s_delay_alu instid0(VALU_DEP_2)
	v_or_b32_e32 v13, v15, v13
	s_cbranch_scc1 .LBB73_39
.LBB73_40:                              ;   in Loop: Header=BB73_29 Depth=1
	s_wait_xcnt 0x0
	s_mov_b64 s[0:1], s[12:13]
	s_mov_b32 s17, 0
	s_cbranch_execz .LBB73_42
	s_branch .LBB73_43
.LBB73_41:                              ;   in Loop: Header=BB73_29 Depth=1
	s_add_nc_u64 s[0:1], s[12:13], 8
	s_wait_xcnt 0x0
                                        ; implicit-def: $vgpr12_vgpr13
	s_mov_b32 s17, 0
.LBB73_42:                              ;   in Loop: Header=BB73_29 Depth=1
	global_load_b64 v[12:13], v9, s[12:13]
	s_add_co_i32 s17, s16, -8
.LBB73_43:                              ;   in Loop: Header=BB73_29 Depth=1
	s_delay_alu instid0(SALU_CYCLE_1)
	s_cmp_gt_u32 s17, 7
	s_cbranch_scc1 .LBB73_48
; %bb.44:                               ;   in Loop: Header=BB73_29 Depth=1
	v_mov_b64_e32 v[14:15], 0
	s_cmp_eq_u32 s17, 0
	s_cbranch_scc1 .LBB73_47
; %bb.45:                               ;   in Loop: Header=BB73_29 Depth=1
	s_wait_xcnt 0x0
	s_mov_b64 s[12:13], 0
	s_mov_b64 s[14:15], 0
.LBB73_46:                              ;   Parent Loop BB73_29 Depth=1
                                        ; =>  This Inner Loop Header: Depth=2
	s_wait_xcnt 0x0
	s_add_nc_u64 s[18:19], s[0:1], s[14:15]
	s_add_nc_u64 s[14:15], s[14:15], 1
	global_load_u8 v1, v9, s[18:19]
	s_cmp_lg_u32 s17, s14
	s_wait_loadcnt 0x0
	v_and_b32_e32 v8, 0xffff, v1
	s_delay_alu instid0(VALU_DEP_1) | instskip(SKIP_1) | instid1(VALU_DEP_1)
	v_lshlrev_b64_e32 v[16:17], s12, v[8:9]
	s_add_nc_u64 s[12:13], s[12:13], 8
	v_or_b32_e32 v14, v16, v14
	s_delay_alu instid0(VALU_DEP_2)
	v_or_b32_e32 v15, v17, v15
	s_cbranch_scc1 .LBB73_46
.LBB73_47:                              ;   in Loop: Header=BB73_29 Depth=1
	s_wait_xcnt 0x0
	s_mov_b64 s[12:13], s[0:1]
	s_mov_b32 s16, 0
	s_cbranch_execz .LBB73_49
	s_branch .LBB73_50
.LBB73_48:                              ;   in Loop: Header=BB73_29 Depth=1
	s_wait_xcnt 0x0
	s_add_nc_u64 s[12:13], s[0:1], 8
	s_mov_b32 s16, 0
.LBB73_49:                              ;   in Loop: Header=BB73_29 Depth=1
	global_load_b64 v[14:15], v9, s[0:1]
	s_add_co_i32 s16, s17, -8
.LBB73_50:                              ;   in Loop: Header=BB73_29 Depth=1
	s_delay_alu instid0(SALU_CYCLE_1)
	s_cmp_gt_u32 s16, 7
	s_cbranch_scc1 .LBB73_55
; %bb.51:                               ;   in Loop: Header=BB73_29 Depth=1
	v_mov_b64_e32 v[16:17], 0
	s_cmp_eq_u32 s16, 0
	s_cbranch_scc1 .LBB73_54
; %bb.52:                               ;   in Loop: Header=BB73_29 Depth=1
	s_wait_xcnt 0x0
	s_mov_b64 s[0:1], 0
	s_mov_b64 s[14:15], 0
.LBB73_53:                              ;   Parent Loop BB73_29 Depth=1
                                        ; =>  This Inner Loop Header: Depth=2
	s_wait_xcnt 0x0
	s_add_nc_u64 s[18:19], s[12:13], s[14:15]
	s_add_nc_u64 s[14:15], s[14:15], 1
	global_load_u8 v1, v9, s[18:19]
	s_cmp_lg_u32 s16, s14
	s_wait_loadcnt 0x0
	v_and_b32_e32 v8, 0xffff, v1
	s_delay_alu instid0(VALU_DEP_1) | instskip(SKIP_1) | instid1(VALU_DEP_1)
	v_lshlrev_b64_e32 v[18:19], s0, v[8:9]
	s_add_nc_u64 s[0:1], s[0:1], 8
	v_or_b32_e32 v16, v18, v16
	s_delay_alu instid0(VALU_DEP_2)
	v_or_b32_e32 v17, v19, v17
	s_cbranch_scc1 .LBB73_53
.LBB73_54:                              ;   in Loop: Header=BB73_29 Depth=1
	s_wait_xcnt 0x0
	s_mov_b64 s[0:1], s[12:13]
	s_mov_b32 s17, 0
	s_cbranch_execz .LBB73_56
	s_branch .LBB73_57
.LBB73_55:                              ;   in Loop: Header=BB73_29 Depth=1
	s_wait_xcnt 0x0
	s_add_nc_u64 s[0:1], s[12:13], 8
                                        ; implicit-def: $vgpr16_vgpr17
	s_mov_b32 s17, 0
.LBB73_56:                              ;   in Loop: Header=BB73_29 Depth=1
	global_load_b64 v[16:17], v9, s[12:13]
	s_add_co_i32 s17, s16, -8
.LBB73_57:                              ;   in Loop: Header=BB73_29 Depth=1
	s_delay_alu instid0(SALU_CYCLE_1)
	s_cmp_gt_u32 s17, 7
	s_cbranch_scc1 .LBB73_62
; %bb.58:                               ;   in Loop: Header=BB73_29 Depth=1
	v_mov_b64_e32 v[18:19], 0
	s_cmp_eq_u32 s17, 0
	s_cbranch_scc1 .LBB73_61
; %bb.59:                               ;   in Loop: Header=BB73_29 Depth=1
	s_wait_xcnt 0x0
	s_mov_b64 s[12:13], 0
	s_mov_b64 s[14:15], 0
.LBB73_60:                              ;   Parent Loop BB73_29 Depth=1
                                        ; =>  This Inner Loop Header: Depth=2
	s_wait_xcnt 0x0
	s_add_nc_u64 s[18:19], s[0:1], s[14:15]
	s_add_nc_u64 s[14:15], s[14:15], 1
	global_load_u8 v1, v9, s[18:19]
	s_cmp_lg_u32 s17, s14
	s_wait_loadcnt 0x0
	v_and_b32_e32 v8, 0xffff, v1
	s_delay_alu instid0(VALU_DEP_1) | instskip(SKIP_1) | instid1(VALU_DEP_1)
	v_lshlrev_b64_e32 v[20:21], s12, v[8:9]
	s_add_nc_u64 s[12:13], s[12:13], 8
	v_or_b32_e32 v18, v20, v18
	s_delay_alu instid0(VALU_DEP_2)
	v_or_b32_e32 v19, v21, v19
	s_cbranch_scc1 .LBB73_60
.LBB73_61:                              ;   in Loop: Header=BB73_29 Depth=1
	s_wait_xcnt 0x0
	s_mov_b64 s[12:13], s[0:1]
	s_mov_b32 s16, 0
	s_cbranch_execz .LBB73_63
	s_branch .LBB73_64
.LBB73_62:                              ;   in Loop: Header=BB73_29 Depth=1
	s_wait_xcnt 0x0
	s_add_nc_u64 s[12:13], s[0:1], 8
	s_mov_b32 s16, 0
.LBB73_63:                              ;   in Loop: Header=BB73_29 Depth=1
	global_load_b64 v[18:19], v9, s[0:1]
	s_add_co_i32 s16, s17, -8
.LBB73_64:                              ;   in Loop: Header=BB73_29 Depth=1
	s_delay_alu instid0(SALU_CYCLE_1)
	s_cmp_gt_u32 s16, 7
	s_cbranch_scc1 .LBB73_69
; %bb.65:                               ;   in Loop: Header=BB73_29 Depth=1
	v_mov_b64_e32 v[20:21], 0
	s_cmp_eq_u32 s16, 0
	s_cbranch_scc1 .LBB73_68
; %bb.66:                               ;   in Loop: Header=BB73_29 Depth=1
	s_wait_xcnt 0x0
	s_mov_b64 s[0:1], 0
	s_mov_b64 s[14:15], 0
.LBB73_67:                              ;   Parent Loop BB73_29 Depth=1
                                        ; =>  This Inner Loop Header: Depth=2
	s_wait_xcnt 0x0
	s_add_nc_u64 s[18:19], s[12:13], s[14:15]
	s_add_nc_u64 s[14:15], s[14:15], 1
	global_load_u8 v1, v9, s[18:19]
	s_cmp_lg_u32 s16, s14
	s_wait_loadcnt 0x0
	v_and_b32_e32 v8, 0xffff, v1
	s_delay_alu instid0(VALU_DEP_1) | instskip(SKIP_1) | instid1(VALU_DEP_1)
	v_lshlrev_b64_e32 v[22:23], s0, v[8:9]
	s_add_nc_u64 s[0:1], s[0:1], 8
	v_or_b32_e32 v20, v22, v20
	s_delay_alu instid0(VALU_DEP_2)
	v_or_b32_e32 v21, v23, v21
	s_cbranch_scc1 .LBB73_67
.LBB73_68:                              ;   in Loop: Header=BB73_29 Depth=1
	s_wait_xcnt 0x0
	s_mov_b64 s[0:1], s[12:13]
	s_mov_b32 s17, 0
	s_cbranch_execz .LBB73_70
	s_branch .LBB73_71
.LBB73_69:                              ;   in Loop: Header=BB73_29 Depth=1
	s_wait_xcnt 0x0
	s_add_nc_u64 s[0:1], s[12:13], 8
                                        ; implicit-def: $vgpr20_vgpr21
	s_mov_b32 s17, 0
.LBB73_70:                              ;   in Loop: Header=BB73_29 Depth=1
	global_load_b64 v[20:21], v9, s[12:13]
	s_add_co_i32 s17, s16, -8
.LBB73_71:                              ;   in Loop: Header=BB73_29 Depth=1
	s_delay_alu instid0(SALU_CYCLE_1)
	s_cmp_gt_u32 s17, 7
	s_cbranch_scc1 .LBB73_76
; %bb.72:                               ;   in Loop: Header=BB73_29 Depth=1
	v_mov_b64_e32 v[22:23], 0
	s_cmp_eq_u32 s17, 0
	s_cbranch_scc1 .LBB73_75
; %bb.73:                               ;   in Loop: Header=BB73_29 Depth=1
	s_wait_xcnt 0x0
	s_mov_b64 s[12:13], 0
	s_mov_b64 s[14:15], s[0:1]
.LBB73_74:                              ;   Parent Loop BB73_29 Depth=1
                                        ; =>  This Inner Loop Header: Depth=2
	global_load_u8 v1, v9, s[14:15]
	s_add_co_i32 s17, s17, -1
	s_wait_xcnt 0x0
	s_add_nc_u64 s[14:15], s[14:15], 1
	s_cmp_lg_u32 s17, 0
	s_wait_loadcnt 0x0
	v_and_b32_e32 v8, 0xffff, v1
	s_delay_alu instid0(VALU_DEP_1) | instskip(SKIP_1) | instid1(VALU_DEP_1)
	v_lshlrev_b64_e32 v[24:25], s12, v[8:9]
	s_add_nc_u64 s[12:13], s[12:13], 8
	v_or_b32_e32 v22, v24, v22
	s_delay_alu instid0(VALU_DEP_2)
	v_or_b32_e32 v23, v25, v23
	s_cbranch_scc1 .LBB73_74
.LBB73_75:                              ;   in Loop: Header=BB73_29 Depth=1
	s_wait_xcnt 0x0
	s_cbranch_execz .LBB73_77
	s_branch .LBB73_78
.LBB73_76:                              ;   in Loop: Header=BB73_29 Depth=1
	s_wait_xcnt 0x0
.LBB73_77:                              ;   in Loop: Header=BB73_29 Depth=1
	global_load_b64 v[22:23], v9, s[0:1]
.LBB73_78:                              ;   in Loop: Header=BB73_29 Depth=1
	s_wait_xcnt 0x0
	v_readfirstlane_b32 s0, v29
	v_mov_b64_e32 v[30:31], 0
	s_delay_alu instid0(VALU_DEP_2)
	v_cmp_eq_u32_e64 s0, s0, v29
	s_and_saveexec_b32 s1, s0
	s_cbranch_execz .LBB73_84
; %bb.79:                               ;   in Loop: Header=BB73_29 Depth=1
	global_load_b64 v[26:27], v9, s[2:3] offset:24 scope:SCOPE_SYS
	s_wait_loadcnt 0x0
	global_inv scope:SCOPE_SYS
	s_clause 0x1
	global_load_b64 v[24:25], v9, s[2:3] offset:40
	global_load_b64 v[30:31], v9, s[2:3]
	s_mov_b32 s12, exec_lo
	s_wait_loadcnt 0x1
	v_and_b32_e32 v24, v24, v26
	v_and_b32_e32 v25, v25, v27
	s_delay_alu instid0(VALU_DEP_1) | instskip(SKIP_1) | instid1(VALU_DEP_1)
	v_mul_u64_e32 v[24:25], 24, v[24:25]
	s_wait_loadcnt 0x0
	v_add_nc_u64_e32 v[24:25], v[30:31], v[24:25]
	global_load_b64 v[24:25], v[24:25], off scope:SCOPE_SYS
	s_wait_xcnt 0x0
	s_wait_loadcnt 0x0
	global_atomic_cmpswap_b64 v[30:31], v9, v[24:27], s[2:3] offset:24 th:TH_ATOMIC_RETURN scope:SCOPE_SYS
	s_wait_loadcnt 0x0
	global_inv scope:SCOPE_SYS
	s_wait_xcnt 0x0
	v_cmpx_ne_u64_e64 v[30:31], v[26:27]
	s_cbranch_execz .LBB73_83
; %bb.80:                               ;   in Loop: Header=BB73_29 Depth=1
	s_mov_b32 s13, 0
.LBB73_81:                              ;   Parent Loop BB73_29 Depth=1
                                        ; =>  This Inner Loop Header: Depth=2
	s_sleep 1
	s_clause 0x1
	global_load_b64 v[24:25], v9, s[2:3] offset:40
	global_load_b64 v[32:33], v9, s[2:3]
	v_mov_b64_e32 v[26:27], v[30:31]
	s_wait_loadcnt 0x1
	s_delay_alu instid0(VALU_DEP_1) | instskip(SKIP_1) | instid1(VALU_DEP_1)
	v_and_b32_e32 v1, v24, v26
	s_wait_loadcnt 0x0
	v_mad_nc_u64_u32 v[30:31], v1, 24, v[32:33]
	s_delay_alu instid0(VALU_DEP_3) | instskip(NEXT) | instid1(VALU_DEP_1)
	v_and_b32_e32 v1, v25, v27
	v_mad_u32 v31, v1, 24, v31
	global_load_b64 v[24:25], v[30:31], off scope:SCOPE_SYS
	s_wait_xcnt 0x0
	s_wait_loadcnt 0x0
	global_atomic_cmpswap_b64 v[30:31], v9, v[24:27], s[2:3] offset:24 th:TH_ATOMIC_RETURN scope:SCOPE_SYS
	s_wait_loadcnt 0x0
	global_inv scope:SCOPE_SYS
	v_cmp_eq_u64_e32 vcc_lo, v[30:31], v[26:27]
	s_or_b32 s13, vcc_lo, s13
	s_wait_xcnt 0x0
	s_and_not1_b32 exec_lo, exec_lo, s13
	s_cbranch_execnz .LBB73_81
; %bb.82:                               ;   in Loop: Header=BB73_29 Depth=1
	s_or_b32 exec_lo, exec_lo, s13
.LBB73_83:                              ;   in Loop: Header=BB73_29 Depth=1
	s_delay_alu instid0(SALU_CYCLE_1)
	s_or_b32 exec_lo, exec_lo, s12
.LBB73_84:                              ;   in Loop: Header=BB73_29 Depth=1
	s_delay_alu instid0(SALU_CYCLE_1)
	s_or_b32 exec_lo, exec_lo, s1
	s_clause 0x1
	global_load_b64 v[32:33], v9, s[2:3] offset:40
	global_load_b128 v[24:27], v9, s[2:3]
	v_readfirstlane_b32 s12, v30
	v_readfirstlane_b32 s13, v31
	s_mov_b32 s1, exec_lo
	s_wait_loadcnt 0x1
	v_and_b32_e32 v32, s12, v32
	v_and_b32_e32 v33, s13, v33
	s_delay_alu instid0(VALU_DEP_1) | instskip(SKIP_1) | instid1(VALU_DEP_1)
	v_mul_u64_e32 v[30:31], 24, v[32:33]
	s_wait_loadcnt 0x0
	v_add_nc_u64_e32 v[30:31], v[24:25], v[30:31]
	s_wait_xcnt 0x0
	s_and_saveexec_b32 s14, s0
	s_cbranch_execz .LBB73_86
; %bb.85:                               ;   in Loop: Header=BB73_29 Depth=1
	v_mov_b32_e32 v8, s1
	global_store_b128 v[30:31], v[8:11], off offset:8
.LBB73_86:                              ;   in Loop: Header=BB73_29 Depth=1
	s_wait_xcnt 0x0
	s_or_b32 exec_lo, exec_lo, s14
	v_cmp_lt_u64_e64 vcc_lo, s[6:7], 57
	v_lshlrev_b64_e32 v[32:33], 12, v[32:33]
	v_and_b32_e32 v2, 0xffffff1f, v2
	s_lshl_b32 s1, s10, 2
	s_delay_alu instid0(SALU_CYCLE_1) | instskip(SKIP_1) | instid1(VALU_DEP_3)
	s_add_co_i32 s1, s1, 28
	v_cndmask_b32_e32 v1, 0, v28, vcc_lo
	v_add_nc_u64_e32 v[26:27], v[26:27], v[32:33]
	s_delay_alu instid0(VALU_DEP_2) | instskip(NEXT) | instid1(VALU_DEP_2)
	v_or_b32_e32 v1, v2, v1
	v_readfirstlane_b32 s14, v26
	s_delay_alu instid0(VALU_DEP_3) | instskip(NEXT) | instid1(VALU_DEP_3)
	v_readfirstlane_b32 s15, v27
	v_and_or_b32 v2, 0x1e0, s1, v1
	s_clause 0x3
	global_store_b128 v0, v[2:5], s[14:15]
	global_store_b128 v0, v[12:15], s[14:15] offset:16
	global_store_b128 v0, v[16:19], s[14:15] offset:32
	;; [unrolled: 1-line block ×3, first 2 shown]
	s_wait_xcnt 0x0
	s_and_saveexec_b32 s1, s0
	s_cbranch_execz .LBB73_94
; %bb.87:                               ;   in Loop: Header=BB73_29 Depth=1
	s_clause 0x1
	global_load_b64 v[16:17], v9, s[2:3] offset:32 scope:SCOPE_SYS
	global_load_b64 v[2:3], v9, s[2:3] offset:40
	s_mov_b32 s14, exec_lo
	v_dual_mov_b32 v14, s12 :: v_dual_mov_b32 v15, s13
	s_wait_loadcnt 0x0
	v_and_b32_e32 v3, s13, v3
	v_and_b32_e32 v2, s12, v2
	s_delay_alu instid0(VALU_DEP_1) | instskip(NEXT) | instid1(VALU_DEP_1)
	v_mul_u64_e32 v[2:3], 24, v[2:3]
	v_add_nc_u64_e32 v[12:13], v[24:25], v[2:3]
	global_store_b64 v[12:13], v[16:17], off
	global_wb scope:SCOPE_SYS
	s_wait_storecnt 0x0
	s_wait_xcnt 0x0
	global_atomic_cmpswap_b64 v[4:5], v9, v[14:17], s[2:3] offset:32 th:TH_ATOMIC_RETURN scope:SCOPE_SYS
	s_wait_loadcnt 0x0
	v_cmpx_ne_u64_e64 v[4:5], v[16:17]
	s_cbranch_execz .LBB73_90
; %bb.88:                               ;   in Loop: Header=BB73_29 Depth=1
	s_mov_b32 s15, 0
.LBB73_89:                              ;   Parent Loop BB73_29 Depth=1
                                        ; =>  This Inner Loop Header: Depth=2
	v_dual_mov_b32 v2, s12 :: v_dual_mov_b32 v3, s13
	s_sleep 1
	global_store_b64 v[12:13], v[4:5], off
	global_wb scope:SCOPE_SYS
	s_wait_storecnt 0x0
	s_wait_xcnt 0x0
	global_atomic_cmpswap_b64 v[2:3], v9, v[2:5], s[2:3] offset:32 th:TH_ATOMIC_RETURN scope:SCOPE_SYS
	s_wait_loadcnt 0x0
	v_cmp_eq_u64_e32 vcc_lo, v[2:3], v[4:5]
	v_mov_b64_e32 v[4:5], v[2:3]
	s_or_b32 s15, vcc_lo, s15
	s_delay_alu instid0(SALU_CYCLE_1)
	s_and_not1_b32 exec_lo, exec_lo, s15
	s_cbranch_execnz .LBB73_89
.LBB73_90:                              ;   in Loop: Header=BB73_29 Depth=1
	s_or_b32 exec_lo, exec_lo, s14
	global_load_b64 v[2:3], v9, s[2:3] offset:16
	s_mov_b32 s15, exec_lo
	s_mov_b32 s14, exec_lo
	v_mbcnt_lo_u32_b32 v1, s15, 0
	s_wait_xcnt 0x0
	s_delay_alu instid0(VALU_DEP_1)
	v_cmpx_eq_u32_e32 0, v1
	s_cbranch_execz .LBB73_92
; %bb.91:                               ;   in Loop: Header=BB73_29 Depth=1
	s_bcnt1_i32_b32 s15, s15
	s_delay_alu instid0(SALU_CYCLE_1)
	v_mov_b32_e32 v8, s15
	global_wb scope:SCOPE_SYS
	s_wait_loadcnt 0x0
	s_wait_storecnt 0x0
	global_atomic_add_u64 v[2:3], v[8:9], off offset:8 scope:SCOPE_SYS
.LBB73_92:                              ;   in Loop: Header=BB73_29 Depth=1
	s_wait_xcnt 0x0
	s_or_b32 exec_lo, exec_lo, s14
	s_wait_loadcnt 0x0
	global_load_b64 v[4:5], v[2:3], off offset:16
	s_wait_loadcnt 0x0
	v_cmp_eq_u64_e32 vcc_lo, 0, v[4:5]
	s_cbranch_vccnz .LBB73_94
; %bb.93:                               ;   in Loop: Header=BB73_29 Depth=1
	global_load_b32 v8, v[2:3], off offset:24
	s_wait_loadcnt 0x0
	v_readfirstlane_b32 s14, v8
	global_wb scope:SCOPE_SYS
	s_wait_storecnt 0x0
	s_wait_xcnt 0x0
	global_store_b64 v[4:5], v[8:9], off scope:SCOPE_SYS
	s_and_b32 m0, s14, 0xffffff
	s_sendmsg sendmsg(MSG_INTERRUPT)
.LBB73_94:                              ;   in Loop: Header=BB73_29 Depth=1
	s_wait_xcnt 0x0
	s_or_b32 exec_lo, exec_lo, s1
	v_mov_b32_e32 v1, v9
	s_delay_alu instid0(VALU_DEP_1)
	v_add_nc_u64_e32 v[2:3], v[26:27], v[0:1]
	s_branch .LBB73_98
.LBB73_95:                              ;   in Loop: Header=BB73_98 Depth=2
	s_wait_xcnt 0x0
	s_or_b32 exec_lo, exec_lo, s1
	s_delay_alu instid0(VALU_DEP_1)
	v_readfirstlane_b32 s1, v1
	s_cmp_eq_u32 s1, 0
	s_cbranch_scc1 .LBB73_97
; %bb.96:                               ;   in Loop: Header=BB73_98 Depth=2
	s_sleep 1
	s_cbranch_execnz .LBB73_98
	s_branch .LBB73_100
.LBB73_97:                              ;   in Loop: Header=BB73_29 Depth=1
	s_branch .LBB73_100
.LBB73_98:                              ;   Parent Loop BB73_29 Depth=1
                                        ; =>  This Inner Loop Header: Depth=2
	v_mov_b32_e32 v1, 1
	s_and_saveexec_b32 s1, s0
	s_cbranch_execz .LBB73_95
; %bb.99:                               ;   in Loop: Header=BB73_98 Depth=2
	global_load_b32 v1, v[30:31], off offset:20 scope:SCOPE_SYS
	s_wait_loadcnt 0x0
	global_inv scope:SCOPE_SYS
	v_and_b32_e32 v1, 1, v1
	s_branch .LBB73_95
.LBB73_100:                             ;   in Loop: Header=BB73_29 Depth=1
	global_load_b64 v[2:3], v[2:3], off
	s_wait_xcnt 0x0
	s_and_saveexec_b32 s14, s0
	s_cbranch_execz .LBB73_28
; %bb.101:                              ;   in Loop: Header=BB73_29 Depth=1
	s_clause 0x2
	global_load_b64 v[4:5], v9, s[2:3] offset:40
	global_load_b64 v[16:17], v9, s[2:3] offset:24 scope:SCOPE_SYS
	global_load_b64 v[12:13], v9, s[2:3]
	s_wait_loadcnt 0x2
	v_readfirstlane_b32 s16, v4
	v_readfirstlane_b32 s17, v5
	s_add_nc_u64 s[0:1], s[16:17], 1
	s_delay_alu instid0(SALU_CYCLE_1) | instskip(NEXT) | instid1(SALU_CYCLE_1)
	s_add_nc_u64 s[12:13], s[0:1], s[12:13]
	s_cmp_eq_u64 s[12:13], 0
	s_cselect_b32 s1, s1, s13
	s_cselect_b32 s0, s0, s12
	s_delay_alu instid0(SALU_CYCLE_1) | instskip(SKIP_1) | instid1(SALU_CYCLE_1)
	v_dual_mov_b32 v15, s1 :: v_dual_mov_b32 v14, s0
	s_and_b64 s[12:13], s[0:1], s[16:17]
	s_mul_u64 s[12:13], s[12:13], 24
	s_wait_loadcnt 0x0
	v_add_nc_u64_e32 v[4:5], s[12:13], v[12:13]
	global_store_b64 v[4:5], v[16:17], off
	global_wb scope:SCOPE_SYS
	s_wait_storecnt 0x0
	s_wait_xcnt 0x0
	global_atomic_cmpswap_b64 v[14:15], v9, v[14:17], s[2:3] offset:24 th:TH_ATOMIC_RETURN scope:SCOPE_SYS
	s_wait_loadcnt 0x0
	v_cmp_ne_u64_e32 vcc_lo, v[14:15], v[16:17]
	s_and_b32 exec_lo, exec_lo, vcc_lo
	s_cbranch_execz .LBB73_28
; %bb.102:                              ;   in Loop: Header=BB73_29 Depth=1
	s_mov_b32 s12, 0
.LBB73_103:                             ;   Parent Loop BB73_29 Depth=1
                                        ; =>  This Inner Loop Header: Depth=2
	v_dual_mov_b32 v12, s0 :: v_dual_mov_b32 v13, s1
	s_sleep 1
	global_store_b64 v[4:5], v[14:15], off
	global_wb scope:SCOPE_SYS
	s_wait_storecnt 0x0
	s_wait_xcnt 0x0
	global_atomic_cmpswap_b64 v[12:13], v9, v[12:15], s[2:3] offset:24 th:TH_ATOMIC_RETURN scope:SCOPE_SYS
	s_wait_loadcnt 0x0
	v_cmp_eq_u64_e32 vcc_lo, v[12:13], v[14:15]
	v_mov_b64_e32 v[14:15], v[12:13]
	s_or_b32 s12, vcc_lo, s12
	s_delay_alu instid0(SALU_CYCLE_1)
	s_and_not1_b32 exec_lo, exec_lo, s12
	s_cbranch_execnz .LBB73_103
	s_branch .LBB73_28
.LBB73_104:
                                        ; implicit-def: $vgpr2_vgpr3
	s_cbranch_execnz .LBB73_106
	s_branch .LBB73_133
.LBB73_105:
	s_branch .LBB73_133
.LBB73_106:
	v_readfirstlane_b32 s0, v29
	v_mov_b64_e32 v[8:9], 0
	s_delay_alu instid0(VALU_DEP_2)
	v_cmp_eq_u32_e64 s0, s0, v29
	s_and_saveexec_b32 s1, s0
	s_cbranch_execz .LBB73_112
; %bb.107:
	v_mov_b32_e32 v1, 0
	s_mov_b32 s4, exec_lo
	global_load_b64 v[4:5], v1, s[2:3] offset:24 scope:SCOPE_SYS
	s_wait_loadcnt 0x0
	global_inv scope:SCOPE_SYS
	s_clause 0x1
	global_load_b64 v[2:3], v1, s[2:3] offset:40
	global_load_b64 v[8:9], v1, s[2:3]
	s_wait_loadcnt 0x1
	v_and_b32_e32 v2, v2, v4
	v_and_b32_e32 v3, v3, v5
	s_delay_alu instid0(VALU_DEP_1) | instskip(SKIP_1) | instid1(VALU_DEP_1)
	v_mul_u64_e32 v[2:3], 24, v[2:3]
	s_wait_loadcnt 0x0
	v_add_nc_u64_e32 v[2:3], v[8:9], v[2:3]
	global_load_b64 v[2:3], v[2:3], off scope:SCOPE_SYS
	s_wait_xcnt 0x0
	s_wait_loadcnt 0x0
	global_atomic_cmpswap_b64 v[8:9], v1, v[2:5], s[2:3] offset:24 th:TH_ATOMIC_RETURN scope:SCOPE_SYS
	s_wait_loadcnt 0x0
	global_inv scope:SCOPE_SYS
	s_wait_xcnt 0x0
	v_cmpx_ne_u64_e64 v[8:9], v[4:5]
	s_cbranch_execz .LBB73_111
; %bb.108:
	s_mov_b32 s5, 0
.LBB73_109:                             ; =>This Inner Loop Header: Depth=1
	s_sleep 1
	s_clause 0x1
	global_load_b64 v[2:3], v1, s[2:3] offset:40
	global_load_b64 v[10:11], v1, s[2:3]
	v_mov_b64_e32 v[4:5], v[8:9]
	s_wait_loadcnt 0x1
	s_delay_alu instid0(VALU_DEP_1) | instskip(SKIP_1) | instid1(VALU_DEP_1)
	v_and_b32_e32 v2, v2, v4
	s_wait_loadcnt 0x0
	v_mad_nc_u64_u32 v[8:9], v2, 24, v[10:11]
	s_delay_alu instid0(VALU_DEP_3) | instskip(NEXT) | instid1(VALU_DEP_1)
	v_and_b32_e32 v2, v3, v5
	v_mad_u32 v9, v2, 24, v9
	global_load_b64 v[2:3], v[8:9], off scope:SCOPE_SYS
	s_wait_xcnt 0x0
	s_wait_loadcnt 0x0
	global_atomic_cmpswap_b64 v[8:9], v1, v[2:5], s[2:3] offset:24 th:TH_ATOMIC_RETURN scope:SCOPE_SYS
	s_wait_loadcnt 0x0
	global_inv scope:SCOPE_SYS
	v_cmp_eq_u64_e32 vcc_lo, v[8:9], v[4:5]
	s_or_b32 s5, vcc_lo, s5
	s_wait_xcnt 0x0
	s_and_not1_b32 exec_lo, exec_lo, s5
	s_cbranch_execnz .LBB73_109
; %bb.110:
	s_or_b32 exec_lo, exec_lo, s5
.LBB73_111:
	s_delay_alu instid0(SALU_CYCLE_1)
	s_or_b32 exec_lo, exec_lo, s4
.LBB73_112:
	s_delay_alu instid0(SALU_CYCLE_1)
	s_or_b32 exec_lo, exec_lo, s1
	v_readfirstlane_b32 s4, v8
	v_mov_b32_e32 v1, 0
	v_readfirstlane_b32 s5, v9
	s_mov_b32 s1, exec_lo
	global_load_b64 v[10:11], v1, s[2:3] offset:40
	s_wait_loadcnt 0x1
	global_load_b128 v[2:5], v1, s[2:3]
	s_wait_loadcnt 0x1
	v_and_b32_e32 v8, s4, v10
	v_and_b32_e32 v9, s5, v11
	s_delay_alu instid0(VALU_DEP_1) | instskip(SKIP_1) | instid1(VALU_DEP_1)
	v_mul_u64_e32 v[10:11], 24, v[8:9]
	s_wait_loadcnt 0x0
	v_add_nc_u64_e32 v[10:11], v[2:3], v[10:11]
	s_wait_xcnt 0x0
	s_and_saveexec_b32 s6, s0
	s_cbranch_execz .LBB73_114
; %bb.113:
	v_mov_b64_e32 v[14:15], 0x100000002
	v_dual_mov_b32 v12, s1 :: v_dual_mov_b32 v13, v1
	global_store_b128 v[10:11], v[12:15], off offset:8
.LBB73_114:
	s_wait_xcnt 0x0
	s_or_b32 exec_lo, exec_lo, s6
	v_lshlrev_b64_e32 v[8:9], 12, v[8:9]
	s_mov_b32 s12, 0
	v_and_or_b32 v6, 0xffffff1f, v6, 32
	s_mov_b32 s14, s12
	s_mov_b32 s15, s12
	;; [unrolled: 1-line block ×3, first 2 shown]
	v_mov_b64_e32 v[16:17], s[14:15]
	v_add_nc_u64_e32 v[12:13], v[4:5], v[8:9]
	v_mov_b64_e32 v[14:15], s[12:13]
	v_dual_mov_b32 v8, v1 :: v_dual_mov_b32 v9, v1
	s_delay_alu instid0(VALU_DEP_3) | instskip(NEXT) | instid1(VALU_DEP_4)
	v_readfirstlane_b32 s6, v12
	v_readfirstlane_b32 s7, v13
	s_clause 0x3
	global_store_b128 v0, v[6:9], s[6:7]
	global_store_b128 v0, v[14:17], s[6:7] offset:16
	global_store_b128 v0, v[14:17], s[6:7] offset:32
	;; [unrolled: 1-line block ×3, first 2 shown]
	s_wait_xcnt 0x0
	s_and_saveexec_b32 s1, s0
	s_cbranch_execz .LBB73_122
; %bb.115:
	v_dual_mov_b32 v8, 0 :: v_dual_mov_b32 v15, s5
	s_mov_b32 s6, exec_lo
	s_clause 0x1
	global_load_b64 v[16:17], v8, s[2:3] offset:32 scope:SCOPE_SYS
	global_load_b64 v[4:5], v8, s[2:3] offset:40
	s_wait_loadcnt 0x0
	v_dual_mov_b32 v14, s4 :: v_dual_bitop2_b32 v5, s5, v5 bitop3:0x40
	v_and_b32_e32 v4, s4, v4
	s_delay_alu instid0(VALU_DEP_1) | instskip(NEXT) | instid1(VALU_DEP_1)
	v_mul_u64_e32 v[4:5], 24, v[4:5]
	v_add_nc_u64_e32 v[6:7], v[2:3], v[4:5]
	global_store_b64 v[6:7], v[16:17], off
	global_wb scope:SCOPE_SYS
	s_wait_storecnt 0x0
	s_wait_xcnt 0x0
	global_atomic_cmpswap_b64 v[4:5], v8, v[14:17], s[2:3] offset:32 th:TH_ATOMIC_RETURN scope:SCOPE_SYS
	s_wait_loadcnt 0x0
	v_cmpx_ne_u64_e64 v[4:5], v[16:17]
	s_cbranch_execz .LBB73_118
; %bb.116:
	s_mov_b32 s7, 0
.LBB73_117:                             ; =>This Inner Loop Header: Depth=1
	v_dual_mov_b32 v2, s4 :: v_dual_mov_b32 v3, s5
	s_sleep 1
	global_store_b64 v[6:7], v[4:5], off
	global_wb scope:SCOPE_SYS
	s_wait_storecnt 0x0
	s_wait_xcnt 0x0
	global_atomic_cmpswap_b64 v[2:3], v8, v[2:5], s[2:3] offset:32 th:TH_ATOMIC_RETURN scope:SCOPE_SYS
	s_wait_loadcnt 0x0
	v_cmp_eq_u64_e32 vcc_lo, v[2:3], v[4:5]
	v_mov_b64_e32 v[4:5], v[2:3]
	s_or_b32 s7, vcc_lo, s7
	s_delay_alu instid0(SALU_CYCLE_1)
	s_and_not1_b32 exec_lo, exec_lo, s7
	s_cbranch_execnz .LBB73_117
.LBB73_118:
	s_or_b32 exec_lo, exec_lo, s6
	v_mov_b32_e32 v5, 0
	s_mov_b32 s7, exec_lo
	s_mov_b32 s6, exec_lo
	v_mbcnt_lo_u32_b32 v4, s7, 0
	global_load_b64 v[2:3], v5, s[2:3] offset:16
	s_wait_xcnt 0x0
	v_cmpx_eq_u32_e32 0, v4
	s_cbranch_execz .LBB73_120
; %bb.119:
	s_bcnt1_i32_b32 s7, s7
	s_delay_alu instid0(SALU_CYCLE_1)
	v_mov_b32_e32 v4, s7
	global_wb scope:SCOPE_SYS
	s_wait_loadcnt 0x0
	s_wait_storecnt 0x0
	global_atomic_add_u64 v[2:3], v[4:5], off offset:8 scope:SCOPE_SYS
.LBB73_120:
	s_wait_xcnt 0x0
	s_or_b32 exec_lo, exec_lo, s6
	s_wait_loadcnt 0x0
	global_load_b64 v[4:5], v[2:3], off offset:16
	s_wait_loadcnt 0x0
	v_cmp_eq_u64_e32 vcc_lo, 0, v[4:5]
	s_cbranch_vccnz .LBB73_122
; %bb.121:
	global_load_b32 v2, v[2:3], off offset:24
	s_wait_xcnt 0x0
	v_mov_b32_e32 v3, 0
	s_wait_loadcnt 0x0
	v_readfirstlane_b32 s6, v2
	global_wb scope:SCOPE_SYS
	s_wait_storecnt 0x0
	global_store_b64 v[4:5], v[2:3], off scope:SCOPE_SYS
	s_and_b32 m0, s6, 0xffffff
	s_sendmsg sendmsg(MSG_INTERRUPT)
.LBB73_122:
	s_wait_xcnt 0x0
	s_or_b32 exec_lo, exec_lo, s1
	v_add_nc_u64_e32 v[2:3], v[12:13], v[0:1]
	s_branch .LBB73_126
.LBB73_123:                             ;   in Loop: Header=BB73_126 Depth=1
	s_wait_xcnt 0x0
	s_or_b32 exec_lo, exec_lo, s1
	s_delay_alu instid0(VALU_DEP_1)
	v_readfirstlane_b32 s1, v1
	s_cmp_eq_u32 s1, 0
	s_cbranch_scc1 .LBB73_125
; %bb.124:                              ;   in Loop: Header=BB73_126 Depth=1
	s_sleep 1
	s_cbranch_execnz .LBB73_126
	s_branch .LBB73_128
.LBB73_125:
	s_branch .LBB73_128
.LBB73_126:                             ; =>This Inner Loop Header: Depth=1
	v_mov_b32_e32 v1, 1
	s_and_saveexec_b32 s1, s0
	s_cbranch_execz .LBB73_123
; %bb.127:                              ;   in Loop: Header=BB73_126 Depth=1
	global_load_b32 v1, v[10:11], off offset:20 scope:SCOPE_SYS
	s_wait_loadcnt 0x0
	global_inv scope:SCOPE_SYS
	v_and_b32_e32 v1, 1, v1
	s_branch .LBB73_123
.LBB73_128:
	global_load_b64 v[2:3], v[2:3], off
	s_wait_xcnt 0x0
	s_and_saveexec_b32 s6, s0
	s_cbranch_execz .LBB73_132
; %bb.129:
	v_mov_b32_e32 v1, 0
	s_clause 0x2
	global_load_b64 v[4:5], v1, s[2:3] offset:40
	global_load_b64 v[12:13], v1, s[2:3] offset:24 scope:SCOPE_SYS
	global_load_b64 v[6:7], v1, s[2:3]
	s_wait_loadcnt 0x2
	v_readfirstlane_b32 s10, v4
	v_readfirstlane_b32 s11, v5
	s_add_nc_u64 s[0:1], s[10:11], 1
	s_delay_alu instid0(SALU_CYCLE_1) | instskip(NEXT) | instid1(SALU_CYCLE_1)
	s_add_nc_u64 s[4:5], s[0:1], s[4:5]
	s_cmp_eq_u64 s[4:5], 0
	s_cselect_b32 s1, s1, s5
	s_cselect_b32 s0, s0, s4
	v_mov_b32_e32 v11, s1
	s_and_b64 s[4:5], s[0:1], s[10:11]
	v_mov_b32_e32 v10, s0
	s_mul_u64 s[4:5], s[4:5], 24
	s_wait_loadcnt 0x0
	v_add_nc_u64_e32 v[8:9], s[4:5], v[6:7]
	global_store_b64 v[8:9], v[12:13], off
	global_wb scope:SCOPE_SYS
	s_wait_storecnt 0x0
	s_wait_xcnt 0x0
	global_atomic_cmpswap_b64 v[6:7], v1, v[10:13], s[2:3] offset:24 th:TH_ATOMIC_RETURN scope:SCOPE_SYS
	s_wait_loadcnt 0x0
	v_cmp_ne_u64_e32 vcc_lo, v[6:7], v[12:13]
	s_and_b32 exec_lo, exec_lo, vcc_lo
	s_cbranch_execz .LBB73_132
; %bb.130:
	s_mov_b32 s4, 0
.LBB73_131:                             ; =>This Inner Loop Header: Depth=1
	v_dual_mov_b32 v4, s0 :: v_dual_mov_b32 v5, s1
	s_sleep 1
	global_store_b64 v[8:9], v[6:7], off
	global_wb scope:SCOPE_SYS
	s_wait_storecnt 0x0
	s_wait_xcnt 0x0
	global_atomic_cmpswap_b64 v[4:5], v1, v[4:7], s[2:3] offset:24 th:TH_ATOMIC_RETURN scope:SCOPE_SYS
	s_wait_loadcnt 0x0
	v_cmp_eq_u64_e32 vcc_lo, v[4:5], v[6:7]
	v_mov_b64_e32 v[6:7], v[4:5]
	s_or_b32 s4, vcc_lo, s4
	s_delay_alu instid0(SALU_CYCLE_1)
	s_and_not1_b32 exec_lo, exec_lo, s4
	s_cbranch_execnz .LBB73_131
.LBB73_132:
	s_or_b32 exec_lo, exec_lo, s6
.LBB73_133:
	s_get_pc_i64 s[4:5]
	s_add_nc_u64 s[4:5], s[4:5], .str.3@rel64+4
	s_mov_b64 s[6:7], 0
	s_cmp_lg_u64 s[4:5], 0
	s_cselect_b32 s10, -1, 0
	s_cmp_eq_u64 s[4:5], 0
	s_cbranch_scc1 .LBB73_137
; %bb.134:
	s_get_pc_i64 s[0:1]
	s_add_nc_u64 s[0:1], s[0:1], .str.3@rel64+3
.LBB73_135:                             ; =>This Inner Loop Header: Depth=1
	s_load_u8 s6, s[0:1], 0x1
	s_wait_xcnt 0x0
	s_add_nc_u64 s[0:1], s[0:1], 1
	s_wait_kmcnt 0x0
	s_cmp_lg_u32 s6, 0
	s_cbranch_scc1 .LBB73_135
; %bb.136:
	s_get_pc_i64 s[6:7]
	s_add_nc_u64 s[6:7], s[6:7], .str.3@rel64+4
	s_delay_alu instid0(SALU_CYCLE_1) | instskip(NEXT) | instid1(SALU_CYCLE_1)
	s_sub_nc_u64 s[0:1], s[0:1], s[6:7]
	s_add_nc_u64 s[6:7], s[0:1], 1
.LBB73_137:
	s_and_b32 vcc_lo, exec_lo, s10
	s_cbranch_vccz .LBB73_215
; %bb.138:
	v_mov_b64_e32 v[10:11], 0x100000002
	s_wait_loadcnt 0x0
	v_dual_mov_b32 v9, 0 :: v_dual_bitop2_b32 v28, 2, v2 bitop3:0x40
	v_dual_mov_b32 v5, v3 :: v_dual_bitop2_b32 v4, -3, v2 bitop3:0x40
	s_branch .LBB73_140
.LBB73_139:                             ;   in Loop: Header=BB73_140 Depth=1
	s_or_b32 exec_lo, exec_lo, s14
	s_sub_nc_u64 s[6:7], s[6:7], s[10:11]
	s_add_nc_u64 s[4:5], s[4:5], s[10:11]
	s_cmp_lg_u64 s[6:7], 0
	s_cbranch_scc0 .LBB73_216
.LBB73_140:                             ; =>This Loop Header: Depth=1
                                        ;     Child Loop BB73_143 Depth 2
                                        ;     Child Loop BB73_150 Depth 2
	;; [unrolled: 1-line block ×11, first 2 shown]
	v_min_u64 v[6:7], s[6:7], 56
	v_cmp_gt_u64_e64 s0, s[6:7], 7
	s_and_b32 vcc_lo, exec_lo, s0
	v_readfirstlane_b32 s10, v6
	v_readfirstlane_b32 s11, v7
	s_cbranch_vccnz .LBB73_145
; %bb.141:                              ;   in Loop: Header=BB73_140 Depth=1
	v_mov_b64_e32 v[6:7], 0
	s_cmp_eq_u64 s[6:7], 0
	s_cbranch_scc1 .LBB73_144
; %bb.142:                              ;   in Loop: Header=BB73_140 Depth=1
	s_mov_b64 s[0:1], 0
	s_mov_b64 s[12:13], 0
.LBB73_143:                             ;   Parent Loop BB73_140 Depth=1
                                        ; =>  This Inner Loop Header: Depth=2
	s_wait_xcnt 0x0
	s_add_nc_u64 s[14:15], s[4:5], s[12:13]
	s_add_nc_u64 s[12:13], s[12:13], 1
	global_load_u8 v1, v9, s[14:15]
	s_cmp_lg_u32 s10, s12
	s_wait_loadcnt 0x0
	v_and_b32_e32 v8, 0xffff, v1
	s_delay_alu instid0(VALU_DEP_1) | instskip(SKIP_1) | instid1(VALU_DEP_1)
	v_lshlrev_b64_e32 v[12:13], s0, v[8:9]
	s_add_nc_u64 s[0:1], s[0:1], 8
	v_or_b32_e32 v6, v12, v6
	s_delay_alu instid0(VALU_DEP_2)
	v_or_b32_e32 v7, v13, v7
	s_cbranch_scc1 .LBB73_143
.LBB73_144:                             ;   in Loop: Header=BB73_140 Depth=1
	s_mov_b64 s[12:13], s[4:5]
	s_mov_b32 s16, 0
	s_cbranch_execz .LBB73_146
	s_branch .LBB73_147
.LBB73_145:                             ;   in Loop: Header=BB73_140 Depth=1
	s_add_nc_u64 s[12:13], s[4:5], 8
	s_mov_b32 s16, 0
.LBB73_146:                             ;   in Loop: Header=BB73_140 Depth=1
	global_load_b64 v[6:7], v9, s[4:5]
	s_add_co_i32 s16, s10, -8
.LBB73_147:                             ;   in Loop: Header=BB73_140 Depth=1
	s_delay_alu instid0(SALU_CYCLE_1)
	s_cmp_gt_u32 s16, 7
	s_cbranch_scc1 .LBB73_152
; %bb.148:                              ;   in Loop: Header=BB73_140 Depth=1
	v_mov_b64_e32 v[12:13], 0
	s_cmp_eq_u32 s16, 0
	s_cbranch_scc1 .LBB73_151
; %bb.149:                              ;   in Loop: Header=BB73_140 Depth=1
	s_mov_b64 s[0:1], 0
	s_wait_xcnt 0x0
	s_mov_b64 s[14:15], 0
.LBB73_150:                             ;   Parent Loop BB73_140 Depth=1
                                        ; =>  This Inner Loop Header: Depth=2
	s_wait_xcnt 0x0
	s_add_nc_u64 s[18:19], s[12:13], s[14:15]
	s_add_nc_u64 s[14:15], s[14:15], 1
	global_load_u8 v1, v9, s[18:19]
	s_cmp_lg_u32 s16, s14
	s_wait_loadcnt 0x0
	v_and_b32_e32 v8, 0xffff, v1
	s_delay_alu instid0(VALU_DEP_1) | instskip(SKIP_1) | instid1(VALU_DEP_1)
	v_lshlrev_b64_e32 v[14:15], s0, v[8:9]
	s_add_nc_u64 s[0:1], s[0:1], 8
	v_or_b32_e32 v12, v14, v12
	s_delay_alu instid0(VALU_DEP_2)
	v_or_b32_e32 v13, v15, v13
	s_cbranch_scc1 .LBB73_150
.LBB73_151:                             ;   in Loop: Header=BB73_140 Depth=1
	s_wait_xcnt 0x0
	s_mov_b64 s[0:1], s[12:13]
	s_mov_b32 s17, 0
	s_cbranch_execz .LBB73_153
	s_branch .LBB73_154
.LBB73_152:                             ;   in Loop: Header=BB73_140 Depth=1
	s_add_nc_u64 s[0:1], s[12:13], 8
	s_wait_xcnt 0x0
                                        ; implicit-def: $vgpr12_vgpr13
	s_mov_b32 s17, 0
.LBB73_153:                             ;   in Loop: Header=BB73_140 Depth=1
	global_load_b64 v[12:13], v9, s[12:13]
	s_add_co_i32 s17, s16, -8
.LBB73_154:                             ;   in Loop: Header=BB73_140 Depth=1
	s_delay_alu instid0(SALU_CYCLE_1)
	s_cmp_gt_u32 s17, 7
	s_cbranch_scc1 .LBB73_159
; %bb.155:                              ;   in Loop: Header=BB73_140 Depth=1
	v_mov_b64_e32 v[14:15], 0
	s_cmp_eq_u32 s17, 0
	s_cbranch_scc1 .LBB73_158
; %bb.156:                              ;   in Loop: Header=BB73_140 Depth=1
	s_wait_xcnt 0x0
	s_mov_b64 s[12:13], 0
	s_mov_b64 s[14:15], 0
.LBB73_157:                             ;   Parent Loop BB73_140 Depth=1
                                        ; =>  This Inner Loop Header: Depth=2
	s_wait_xcnt 0x0
	s_add_nc_u64 s[18:19], s[0:1], s[14:15]
	s_add_nc_u64 s[14:15], s[14:15], 1
	global_load_u8 v1, v9, s[18:19]
	s_cmp_lg_u32 s17, s14
	s_wait_loadcnt 0x0
	v_and_b32_e32 v8, 0xffff, v1
	s_delay_alu instid0(VALU_DEP_1) | instskip(SKIP_1) | instid1(VALU_DEP_1)
	v_lshlrev_b64_e32 v[16:17], s12, v[8:9]
	s_add_nc_u64 s[12:13], s[12:13], 8
	v_or_b32_e32 v14, v16, v14
	s_delay_alu instid0(VALU_DEP_2)
	v_or_b32_e32 v15, v17, v15
	s_cbranch_scc1 .LBB73_157
.LBB73_158:                             ;   in Loop: Header=BB73_140 Depth=1
	s_wait_xcnt 0x0
	s_mov_b64 s[12:13], s[0:1]
	s_mov_b32 s16, 0
	s_cbranch_execz .LBB73_160
	s_branch .LBB73_161
.LBB73_159:                             ;   in Loop: Header=BB73_140 Depth=1
	s_wait_xcnt 0x0
	s_add_nc_u64 s[12:13], s[0:1], 8
	s_mov_b32 s16, 0
.LBB73_160:                             ;   in Loop: Header=BB73_140 Depth=1
	global_load_b64 v[14:15], v9, s[0:1]
	s_add_co_i32 s16, s17, -8
.LBB73_161:                             ;   in Loop: Header=BB73_140 Depth=1
	s_delay_alu instid0(SALU_CYCLE_1)
	s_cmp_gt_u32 s16, 7
	s_cbranch_scc1 .LBB73_166
; %bb.162:                              ;   in Loop: Header=BB73_140 Depth=1
	v_mov_b64_e32 v[16:17], 0
	s_cmp_eq_u32 s16, 0
	s_cbranch_scc1 .LBB73_165
; %bb.163:                              ;   in Loop: Header=BB73_140 Depth=1
	s_wait_xcnt 0x0
	s_mov_b64 s[0:1], 0
	s_mov_b64 s[14:15], 0
.LBB73_164:                             ;   Parent Loop BB73_140 Depth=1
                                        ; =>  This Inner Loop Header: Depth=2
	s_wait_xcnt 0x0
	s_add_nc_u64 s[18:19], s[12:13], s[14:15]
	s_add_nc_u64 s[14:15], s[14:15], 1
	global_load_u8 v1, v9, s[18:19]
	s_cmp_lg_u32 s16, s14
	s_wait_loadcnt 0x0
	v_and_b32_e32 v8, 0xffff, v1
	s_delay_alu instid0(VALU_DEP_1) | instskip(SKIP_1) | instid1(VALU_DEP_1)
	v_lshlrev_b64_e32 v[18:19], s0, v[8:9]
	s_add_nc_u64 s[0:1], s[0:1], 8
	v_or_b32_e32 v16, v18, v16
	s_delay_alu instid0(VALU_DEP_2)
	v_or_b32_e32 v17, v19, v17
	s_cbranch_scc1 .LBB73_164
.LBB73_165:                             ;   in Loop: Header=BB73_140 Depth=1
	s_wait_xcnt 0x0
	s_mov_b64 s[0:1], s[12:13]
	s_mov_b32 s17, 0
	s_cbranch_execz .LBB73_167
	s_branch .LBB73_168
.LBB73_166:                             ;   in Loop: Header=BB73_140 Depth=1
	s_wait_xcnt 0x0
	s_add_nc_u64 s[0:1], s[12:13], 8
                                        ; implicit-def: $vgpr16_vgpr17
	s_mov_b32 s17, 0
.LBB73_167:                             ;   in Loop: Header=BB73_140 Depth=1
	global_load_b64 v[16:17], v9, s[12:13]
	s_add_co_i32 s17, s16, -8
.LBB73_168:                             ;   in Loop: Header=BB73_140 Depth=1
	s_delay_alu instid0(SALU_CYCLE_1)
	s_cmp_gt_u32 s17, 7
	s_cbranch_scc1 .LBB73_173
; %bb.169:                              ;   in Loop: Header=BB73_140 Depth=1
	v_mov_b64_e32 v[18:19], 0
	s_cmp_eq_u32 s17, 0
	s_cbranch_scc1 .LBB73_172
; %bb.170:                              ;   in Loop: Header=BB73_140 Depth=1
	s_wait_xcnt 0x0
	s_mov_b64 s[12:13], 0
	s_mov_b64 s[14:15], 0
.LBB73_171:                             ;   Parent Loop BB73_140 Depth=1
                                        ; =>  This Inner Loop Header: Depth=2
	s_wait_xcnt 0x0
	s_add_nc_u64 s[18:19], s[0:1], s[14:15]
	s_add_nc_u64 s[14:15], s[14:15], 1
	global_load_u8 v1, v9, s[18:19]
	s_cmp_lg_u32 s17, s14
	s_wait_loadcnt 0x0
	v_and_b32_e32 v8, 0xffff, v1
	s_delay_alu instid0(VALU_DEP_1) | instskip(SKIP_1) | instid1(VALU_DEP_1)
	v_lshlrev_b64_e32 v[20:21], s12, v[8:9]
	s_add_nc_u64 s[12:13], s[12:13], 8
	v_or_b32_e32 v18, v20, v18
	s_delay_alu instid0(VALU_DEP_2)
	v_or_b32_e32 v19, v21, v19
	s_cbranch_scc1 .LBB73_171
.LBB73_172:                             ;   in Loop: Header=BB73_140 Depth=1
	s_wait_xcnt 0x0
	s_mov_b64 s[12:13], s[0:1]
	s_mov_b32 s16, 0
	s_cbranch_execz .LBB73_174
	s_branch .LBB73_175
.LBB73_173:                             ;   in Loop: Header=BB73_140 Depth=1
	s_wait_xcnt 0x0
	s_add_nc_u64 s[12:13], s[0:1], 8
	s_mov_b32 s16, 0
.LBB73_174:                             ;   in Loop: Header=BB73_140 Depth=1
	global_load_b64 v[18:19], v9, s[0:1]
	s_add_co_i32 s16, s17, -8
.LBB73_175:                             ;   in Loop: Header=BB73_140 Depth=1
	s_delay_alu instid0(SALU_CYCLE_1)
	s_cmp_gt_u32 s16, 7
	s_cbranch_scc1 .LBB73_180
; %bb.176:                              ;   in Loop: Header=BB73_140 Depth=1
	v_mov_b64_e32 v[20:21], 0
	s_cmp_eq_u32 s16, 0
	s_cbranch_scc1 .LBB73_179
; %bb.177:                              ;   in Loop: Header=BB73_140 Depth=1
	s_wait_xcnt 0x0
	s_mov_b64 s[0:1], 0
	s_mov_b64 s[14:15], 0
.LBB73_178:                             ;   Parent Loop BB73_140 Depth=1
                                        ; =>  This Inner Loop Header: Depth=2
	s_wait_xcnt 0x0
	s_add_nc_u64 s[18:19], s[12:13], s[14:15]
	s_add_nc_u64 s[14:15], s[14:15], 1
	global_load_u8 v1, v9, s[18:19]
	s_cmp_lg_u32 s16, s14
	s_wait_loadcnt 0x0
	v_and_b32_e32 v8, 0xffff, v1
	s_delay_alu instid0(VALU_DEP_1) | instskip(SKIP_1) | instid1(VALU_DEP_1)
	v_lshlrev_b64_e32 v[22:23], s0, v[8:9]
	s_add_nc_u64 s[0:1], s[0:1], 8
	v_or_b32_e32 v20, v22, v20
	s_delay_alu instid0(VALU_DEP_2)
	v_or_b32_e32 v21, v23, v21
	s_cbranch_scc1 .LBB73_178
.LBB73_179:                             ;   in Loop: Header=BB73_140 Depth=1
	s_wait_xcnt 0x0
	s_mov_b64 s[0:1], s[12:13]
	s_mov_b32 s17, 0
	s_cbranch_execz .LBB73_181
	s_branch .LBB73_182
.LBB73_180:                             ;   in Loop: Header=BB73_140 Depth=1
	s_wait_xcnt 0x0
	s_add_nc_u64 s[0:1], s[12:13], 8
                                        ; implicit-def: $vgpr20_vgpr21
	s_mov_b32 s17, 0
.LBB73_181:                             ;   in Loop: Header=BB73_140 Depth=1
	global_load_b64 v[20:21], v9, s[12:13]
	s_add_co_i32 s17, s16, -8
.LBB73_182:                             ;   in Loop: Header=BB73_140 Depth=1
	s_delay_alu instid0(SALU_CYCLE_1)
	s_cmp_gt_u32 s17, 7
	s_cbranch_scc1 .LBB73_187
; %bb.183:                              ;   in Loop: Header=BB73_140 Depth=1
	v_mov_b64_e32 v[22:23], 0
	s_cmp_eq_u32 s17, 0
	s_cbranch_scc1 .LBB73_186
; %bb.184:                              ;   in Loop: Header=BB73_140 Depth=1
	s_wait_xcnt 0x0
	s_mov_b64 s[12:13], 0
	s_mov_b64 s[14:15], s[0:1]
.LBB73_185:                             ;   Parent Loop BB73_140 Depth=1
                                        ; =>  This Inner Loop Header: Depth=2
	global_load_u8 v1, v9, s[14:15]
	s_add_co_i32 s17, s17, -1
	s_wait_xcnt 0x0
	s_add_nc_u64 s[14:15], s[14:15], 1
	s_cmp_lg_u32 s17, 0
	s_wait_loadcnt 0x0
	v_and_b32_e32 v8, 0xffff, v1
	s_delay_alu instid0(VALU_DEP_1) | instskip(SKIP_1) | instid1(VALU_DEP_1)
	v_lshlrev_b64_e32 v[24:25], s12, v[8:9]
	s_add_nc_u64 s[12:13], s[12:13], 8
	v_or_b32_e32 v22, v24, v22
	s_delay_alu instid0(VALU_DEP_2)
	v_or_b32_e32 v23, v25, v23
	s_cbranch_scc1 .LBB73_185
.LBB73_186:                             ;   in Loop: Header=BB73_140 Depth=1
	s_wait_xcnt 0x0
	s_cbranch_execz .LBB73_188
	s_branch .LBB73_189
.LBB73_187:                             ;   in Loop: Header=BB73_140 Depth=1
	s_wait_xcnt 0x0
.LBB73_188:                             ;   in Loop: Header=BB73_140 Depth=1
	global_load_b64 v[22:23], v9, s[0:1]
.LBB73_189:                             ;   in Loop: Header=BB73_140 Depth=1
	s_wait_xcnt 0x0
	v_readfirstlane_b32 s0, v29
	v_mov_b64_e32 v[30:31], 0
	s_delay_alu instid0(VALU_DEP_2)
	v_cmp_eq_u32_e64 s0, s0, v29
	s_and_saveexec_b32 s1, s0
	s_cbranch_execz .LBB73_195
; %bb.190:                              ;   in Loop: Header=BB73_140 Depth=1
	global_load_b64 v[26:27], v9, s[2:3] offset:24 scope:SCOPE_SYS
	s_wait_loadcnt 0x0
	global_inv scope:SCOPE_SYS
	s_clause 0x1
	global_load_b64 v[24:25], v9, s[2:3] offset:40
	global_load_b64 v[30:31], v9, s[2:3]
	s_mov_b32 s12, exec_lo
	s_wait_loadcnt 0x1
	v_and_b32_e32 v24, v24, v26
	v_and_b32_e32 v25, v25, v27
	s_delay_alu instid0(VALU_DEP_1) | instskip(SKIP_1) | instid1(VALU_DEP_1)
	v_mul_u64_e32 v[24:25], 24, v[24:25]
	s_wait_loadcnt 0x0
	v_add_nc_u64_e32 v[24:25], v[30:31], v[24:25]
	global_load_b64 v[24:25], v[24:25], off scope:SCOPE_SYS
	s_wait_xcnt 0x0
	s_wait_loadcnt 0x0
	global_atomic_cmpswap_b64 v[30:31], v9, v[24:27], s[2:3] offset:24 th:TH_ATOMIC_RETURN scope:SCOPE_SYS
	s_wait_loadcnt 0x0
	global_inv scope:SCOPE_SYS
	s_wait_xcnt 0x0
	v_cmpx_ne_u64_e64 v[30:31], v[26:27]
	s_cbranch_execz .LBB73_194
; %bb.191:                              ;   in Loop: Header=BB73_140 Depth=1
	s_mov_b32 s13, 0
.LBB73_192:                             ;   Parent Loop BB73_140 Depth=1
                                        ; =>  This Inner Loop Header: Depth=2
	s_sleep 1
	s_clause 0x1
	global_load_b64 v[24:25], v9, s[2:3] offset:40
	global_load_b64 v[32:33], v9, s[2:3]
	v_mov_b64_e32 v[26:27], v[30:31]
	s_wait_loadcnt 0x1
	s_delay_alu instid0(VALU_DEP_1) | instskip(SKIP_1) | instid1(VALU_DEP_1)
	v_and_b32_e32 v1, v24, v26
	s_wait_loadcnt 0x0
	v_mad_nc_u64_u32 v[30:31], v1, 24, v[32:33]
	s_delay_alu instid0(VALU_DEP_3) | instskip(NEXT) | instid1(VALU_DEP_1)
	v_and_b32_e32 v1, v25, v27
	v_mad_u32 v31, v1, 24, v31
	global_load_b64 v[24:25], v[30:31], off scope:SCOPE_SYS
	s_wait_xcnt 0x0
	s_wait_loadcnt 0x0
	global_atomic_cmpswap_b64 v[30:31], v9, v[24:27], s[2:3] offset:24 th:TH_ATOMIC_RETURN scope:SCOPE_SYS
	s_wait_loadcnt 0x0
	global_inv scope:SCOPE_SYS
	v_cmp_eq_u64_e32 vcc_lo, v[30:31], v[26:27]
	s_or_b32 s13, vcc_lo, s13
	s_wait_xcnt 0x0
	s_and_not1_b32 exec_lo, exec_lo, s13
	s_cbranch_execnz .LBB73_192
; %bb.193:                              ;   in Loop: Header=BB73_140 Depth=1
	s_or_b32 exec_lo, exec_lo, s13
.LBB73_194:                             ;   in Loop: Header=BB73_140 Depth=1
	s_delay_alu instid0(SALU_CYCLE_1)
	s_or_b32 exec_lo, exec_lo, s12
.LBB73_195:                             ;   in Loop: Header=BB73_140 Depth=1
	s_delay_alu instid0(SALU_CYCLE_1)
	s_or_b32 exec_lo, exec_lo, s1
	s_clause 0x1
	global_load_b64 v[32:33], v9, s[2:3] offset:40
	global_load_b128 v[24:27], v9, s[2:3]
	v_readfirstlane_b32 s12, v30
	v_readfirstlane_b32 s13, v31
	s_mov_b32 s1, exec_lo
	s_wait_loadcnt 0x1
	v_and_b32_e32 v32, s12, v32
	v_and_b32_e32 v33, s13, v33
	s_delay_alu instid0(VALU_DEP_1) | instskip(SKIP_1) | instid1(VALU_DEP_1)
	v_mul_u64_e32 v[30:31], 24, v[32:33]
	s_wait_loadcnt 0x0
	v_add_nc_u64_e32 v[30:31], v[24:25], v[30:31]
	s_wait_xcnt 0x0
	s_and_saveexec_b32 s14, s0
	s_cbranch_execz .LBB73_197
; %bb.196:                              ;   in Loop: Header=BB73_140 Depth=1
	v_mov_b32_e32 v8, s1
	global_store_b128 v[30:31], v[8:11], off offset:8
.LBB73_197:                             ;   in Loop: Header=BB73_140 Depth=1
	s_wait_xcnt 0x0
	s_or_b32 exec_lo, exec_lo, s14
	v_cmp_lt_u64_e64 vcc_lo, s[6:7], 57
	v_lshlrev_b64_e32 v[32:33], 12, v[32:33]
	v_and_b32_e32 v4, 0xffffff1f, v4
	s_lshl_b32 s1, s10, 2
	s_delay_alu instid0(SALU_CYCLE_1) | instskip(SKIP_1) | instid1(VALU_DEP_3)
	s_add_co_i32 s1, s1, 28
	v_cndmask_b32_e32 v1, 0, v28, vcc_lo
	v_add_nc_u64_e32 v[26:27], v[26:27], v[32:33]
	s_delay_alu instid0(VALU_DEP_2) | instskip(NEXT) | instid1(VALU_DEP_2)
	v_or_b32_e32 v1, v4, v1
	v_readfirstlane_b32 s14, v26
	s_delay_alu instid0(VALU_DEP_3) | instskip(NEXT) | instid1(VALU_DEP_3)
	v_readfirstlane_b32 s15, v27
	v_and_or_b32 v4, 0x1e0, s1, v1
	s_clause 0x3
	global_store_b128 v0, v[4:7], s[14:15]
	global_store_b128 v0, v[12:15], s[14:15] offset:16
	global_store_b128 v0, v[16:19], s[14:15] offset:32
	;; [unrolled: 1-line block ×3, first 2 shown]
	s_wait_xcnt 0x0
	s_and_saveexec_b32 s1, s0
	s_cbranch_execz .LBB73_205
; %bb.198:                              ;   in Loop: Header=BB73_140 Depth=1
	s_clause 0x1
	global_load_b64 v[16:17], v9, s[2:3] offset:32 scope:SCOPE_SYS
	global_load_b64 v[4:5], v9, s[2:3] offset:40
	s_mov_b32 s14, exec_lo
	v_dual_mov_b32 v14, s12 :: v_dual_mov_b32 v15, s13
	s_wait_loadcnt 0x0
	v_and_b32_e32 v5, s13, v5
	v_and_b32_e32 v4, s12, v4
	s_delay_alu instid0(VALU_DEP_1) | instskip(NEXT) | instid1(VALU_DEP_1)
	v_mul_u64_e32 v[4:5], 24, v[4:5]
	v_add_nc_u64_e32 v[12:13], v[24:25], v[4:5]
	global_store_b64 v[12:13], v[16:17], off
	global_wb scope:SCOPE_SYS
	s_wait_storecnt 0x0
	s_wait_xcnt 0x0
	global_atomic_cmpswap_b64 v[6:7], v9, v[14:17], s[2:3] offset:32 th:TH_ATOMIC_RETURN scope:SCOPE_SYS
	s_wait_loadcnt 0x0
	v_cmpx_ne_u64_e64 v[6:7], v[16:17]
	s_cbranch_execz .LBB73_201
; %bb.199:                              ;   in Loop: Header=BB73_140 Depth=1
	s_mov_b32 s15, 0
.LBB73_200:                             ;   Parent Loop BB73_140 Depth=1
                                        ; =>  This Inner Loop Header: Depth=2
	v_dual_mov_b32 v4, s12 :: v_dual_mov_b32 v5, s13
	s_sleep 1
	global_store_b64 v[12:13], v[6:7], off
	global_wb scope:SCOPE_SYS
	s_wait_storecnt 0x0
	s_wait_xcnt 0x0
	global_atomic_cmpswap_b64 v[4:5], v9, v[4:7], s[2:3] offset:32 th:TH_ATOMIC_RETURN scope:SCOPE_SYS
	s_wait_loadcnt 0x0
	v_cmp_eq_u64_e32 vcc_lo, v[4:5], v[6:7]
	v_mov_b64_e32 v[6:7], v[4:5]
	s_or_b32 s15, vcc_lo, s15
	s_delay_alu instid0(SALU_CYCLE_1)
	s_and_not1_b32 exec_lo, exec_lo, s15
	s_cbranch_execnz .LBB73_200
.LBB73_201:                             ;   in Loop: Header=BB73_140 Depth=1
	s_or_b32 exec_lo, exec_lo, s14
	global_load_b64 v[4:5], v9, s[2:3] offset:16
	s_mov_b32 s15, exec_lo
	s_mov_b32 s14, exec_lo
	v_mbcnt_lo_u32_b32 v1, s15, 0
	s_wait_xcnt 0x0
	s_delay_alu instid0(VALU_DEP_1)
	v_cmpx_eq_u32_e32 0, v1
	s_cbranch_execz .LBB73_203
; %bb.202:                              ;   in Loop: Header=BB73_140 Depth=1
	s_bcnt1_i32_b32 s15, s15
	s_delay_alu instid0(SALU_CYCLE_1)
	v_mov_b32_e32 v8, s15
	global_wb scope:SCOPE_SYS
	s_wait_loadcnt 0x0
	s_wait_storecnt 0x0
	global_atomic_add_u64 v[4:5], v[8:9], off offset:8 scope:SCOPE_SYS
.LBB73_203:                             ;   in Loop: Header=BB73_140 Depth=1
	s_wait_xcnt 0x0
	s_or_b32 exec_lo, exec_lo, s14
	s_wait_loadcnt 0x0
	global_load_b64 v[6:7], v[4:5], off offset:16
	s_wait_loadcnt 0x0
	v_cmp_eq_u64_e32 vcc_lo, 0, v[6:7]
	s_cbranch_vccnz .LBB73_205
; %bb.204:                              ;   in Loop: Header=BB73_140 Depth=1
	global_load_b32 v8, v[4:5], off offset:24
	s_wait_loadcnt 0x0
	v_readfirstlane_b32 s14, v8
	global_wb scope:SCOPE_SYS
	s_wait_storecnt 0x0
	s_wait_xcnt 0x0
	global_store_b64 v[6:7], v[8:9], off scope:SCOPE_SYS
	s_and_b32 m0, s14, 0xffffff
	s_sendmsg sendmsg(MSG_INTERRUPT)
.LBB73_205:                             ;   in Loop: Header=BB73_140 Depth=1
	s_wait_xcnt 0x0
	s_or_b32 exec_lo, exec_lo, s1
	v_mov_b32_e32 v1, v9
	s_delay_alu instid0(VALU_DEP_1)
	v_add_nc_u64_e32 v[4:5], v[26:27], v[0:1]
	s_branch .LBB73_209
.LBB73_206:                             ;   in Loop: Header=BB73_209 Depth=2
	s_wait_xcnt 0x0
	s_or_b32 exec_lo, exec_lo, s1
	s_delay_alu instid0(VALU_DEP_1)
	v_readfirstlane_b32 s1, v1
	s_cmp_eq_u32 s1, 0
	s_cbranch_scc1 .LBB73_208
; %bb.207:                              ;   in Loop: Header=BB73_209 Depth=2
	s_sleep 1
	s_cbranch_execnz .LBB73_209
	s_branch .LBB73_211
.LBB73_208:                             ;   in Loop: Header=BB73_140 Depth=1
	s_branch .LBB73_211
.LBB73_209:                             ;   Parent Loop BB73_140 Depth=1
                                        ; =>  This Inner Loop Header: Depth=2
	v_mov_b32_e32 v1, 1
	s_and_saveexec_b32 s1, s0
	s_cbranch_execz .LBB73_206
; %bb.210:                              ;   in Loop: Header=BB73_209 Depth=2
	global_load_b32 v1, v[30:31], off offset:20 scope:SCOPE_SYS
	s_wait_loadcnt 0x0
	global_inv scope:SCOPE_SYS
	v_and_b32_e32 v1, 1, v1
	s_branch .LBB73_206
.LBB73_211:                             ;   in Loop: Header=BB73_140 Depth=1
	global_load_b64 v[4:5], v[4:5], off
	s_wait_xcnt 0x0
	s_and_saveexec_b32 s14, s0
	s_cbranch_execz .LBB73_139
; %bb.212:                              ;   in Loop: Header=BB73_140 Depth=1
	s_clause 0x2
	global_load_b64 v[6:7], v9, s[2:3] offset:40
	global_load_b64 v[16:17], v9, s[2:3] offset:24 scope:SCOPE_SYS
	global_load_b64 v[12:13], v9, s[2:3]
	s_wait_loadcnt 0x2
	v_readfirstlane_b32 s16, v6
	v_readfirstlane_b32 s17, v7
	s_add_nc_u64 s[0:1], s[16:17], 1
	s_delay_alu instid0(SALU_CYCLE_1) | instskip(NEXT) | instid1(SALU_CYCLE_1)
	s_add_nc_u64 s[12:13], s[0:1], s[12:13]
	s_cmp_eq_u64 s[12:13], 0
	s_cselect_b32 s1, s1, s13
	s_cselect_b32 s0, s0, s12
	s_delay_alu instid0(SALU_CYCLE_1) | instskip(SKIP_1) | instid1(SALU_CYCLE_1)
	v_dual_mov_b32 v15, s1 :: v_dual_mov_b32 v14, s0
	s_and_b64 s[12:13], s[0:1], s[16:17]
	s_mul_u64 s[12:13], s[12:13], 24
	s_wait_loadcnt 0x0
	v_add_nc_u64_e32 v[6:7], s[12:13], v[12:13]
	global_store_b64 v[6:7], v[16:17], off
	global_wb scope:SCOPE_SYS
	s_wait_storecnt 0x0
	s_wait_xcnt 0x0
	global_atomic_cmpswap_b64 v[14:15], v9, v[14:17], s[2:3] offset:24 th:TH_ATOMIC_RETURN scope:SCOPE_SYS
	s_wait_loadcnt 0x0
	v_cmp_ne_u64_e32 vcc_lo, v[14:15], v[16:17]
	s_and_b32 exec_lo, exec_lo, vcc_lo
	s_cbranch_execz .LBB73_139
; %bb.213:                              ;   in Loop: Header=BB73_140 Depth=1
	s_mov_b32 s12, 0
.LBB73_214:                             ;   Parent Loop BB73_140 Depth=1
                                        ; =>  This Inner Loop Header: Depth=2
	v_dual_mov_b32 v12, s0 :: v_dual_mov_b32 v13, s1
	s_sleep 1
	global_store_b64 v[6:7], v[14:15], off
	global_wb scope:SCOPE_SYS
	s_wait_storecnt 0x0
	s_wait_xcnt 0x0
	global_atomic_cmpswap_b64 v[12:13], v9, v[12:15], s[2:3] offset:24 th:TH_ATOMIC_RETURN scope:SCOPE_SYS
	s_wait_loadcnt 0x0
	v_cmp_eq_u64_e32 vcc_lo, v[12:13], v[14:15]
	v_mov_b64_e32 v[14:15], v[12:13]
	s_or_b32 s12, vcc_lo, s12
	s_delay_alu instid0(SALU_CYCLE_1)
	s_and_not1_b32 exec_lo, exec_lo, s12
	s_cbranch_execnz .LBB73_214
	s_branch .LBB73_139
.LBB73_215:
                                        ; implicit-def: $vgpr4_vgpr5
	s_cbranch_execnz .LBB73_217
	s_branch .LBB73_244
.LBB73_216:
	s_branch .LBB73_244
.LBB73_217:
	v_readfirstlane_b32 s0, v29
	s_wait_loadcnt 0x0
	v_mov_b64_e32 v[4:5], 0
	s_delay_alu instid0(VALU_DEP_2)
	v_cmp_eq_u32_e64 s0, s0, v29
	s_and_saveexec_b32 s1, s0
	s_cbranch_execz .LBB73_223
; %bb.218:
	v_mov_b32_e32 v1, 0
	s_mov_b32 s4, exec_lo
	global_load_b64 v[6:7], v1, s[2:3] offset:24 scope:SCOPE_SYS
	s_wait_loadcnt 0x0
	global_inv scope:SCOPE_SYS
	s_clause 0x1
	global_load_b64 v[4:5], v1, s[2:3] offset:40
	global_load_b64 v[8:9], v1, s[2:3]
	s_wait_loadcnt 0x1
	v_and_b32_e32 v4, v4, v6
	v_and_b32_e32 v5, v5, v7
	s_delay_alu instid0(VALU_DEP_1) | instskip(SKIP_1) | instid1(VALU_DEP_1)
	v_mul_u64_e32 v[4:5], 24, v[4:5]
	s_wait_loadcnt 0x0
	v_add_nc_u64_e32 v[4:5], v[8:9], v[4:5]
	global_load_b64 v[4:5], v[4:5], off scope:SCOPE_SYS
	s_wait_xcnt 0x0
	s_wait_loadcnt 0x0
	global_atomic_cmpswap_b64 v[4:5], v1, v[4:7], s[2:3] offset:24 th:TH_ATOMIC_RETURN scope:SCOPE_SYS
	s_wait_loadcnt 0x0
	global_inv scope:SCOPE_SYS
	s_wait_xcnt 0x0
	v_cmpx_ne_u64_e64 v[4:5], v[6:7]
	s_cbranch_execz .LBB73_222
; %bb.219:
	s_mov_b32 s5, 0
.LBB73_220:                             ; =>This Inner Loop Header: Depth=1
	s_sleep 1
	s_clause 0x1
	global_load_b64 v[8:9], v1, s[2:3] offset:40
	global_load_b64 v[10:11], v1, s[2:3]
	v_mov_b64_e32 v[6:7], v[4:5]
	s_wait_loadcnt 0x1
	s_delay_alu instid0(VALU_DEP_1) | instskip(NEXT) | instid1(VALU_DEP_2)
	v_and_b32_e32 v4, v8, v6
	v_and_b32_e32 v8, v9, v7
	s_wait_loadcnt 0x0
	s_delay_alu instid0(VALU_DEP_2) | instskip(NEXT) | instid1(VALU_DEP_1)
	v_mad_nc_u64_u32 v[4:5], v4, 24, v[10:11]
	v_mad_u32 v5, v8, 24, v5
	global_load_b64 v[4:5], v[4:5], off scope:SCOPE_SYS
	s_wait_xcnt 0x0
	s_wait_loadcnt 0x0
	global_atomic_cmpswap_b64 v[4:5], v1, v[4:7], s[2:3] offset:24 th:TH_ATOMIC_RETURN scope:SCOPE_SYS
	s_wait_loadcnt 0x0
	global_inv scope:SCOPE_SYS
	v_cmp_eq_u64_e32 vcc_lo, v[4:5], v[6:7]
	s_or_b32 s5, vcc_lo, s5
	s_wait_xcnt 0x0
	s_and_not1_b32 exec_lo, exec_lo, s5
	s_cbranch_execnz .LBB73_220
; %bb.221:
	s_or_b32 exec_lo, exec_lo, s5
.LBB73_222:
	s_delay_alu instid0(SALU_CYCLE_1)
	s_or_b32 exec_lo, exec_lo, s4
.LBB73_223:
	s_delay_alu instid0(SALU_CYCLE_1)
	s_or_b32 exec_lo, exec_lo, s1
	v_readfirstlane_b32 s4, v4
	v_mov_b32_e32 v1, 0
	v_readfirstlane_b32 s5, v5
	s_mov_b32 s1, exec_lo
	s_clause 0x1
	global_load_b64 v[10:11], v1, s[2:3] offset:40
	global_load_b128 v[6:9], v1, s[2:3]
	s_wait_loadcnt 0x1
	v_and_b32_e32 v4, s4, v10
	v_and_b32_e32 v5, s5, v11
	s_delay_alu instid0(VALU_DEP_1) | instskip(SKIP_1) | instid1(VALU_DEP_1)
	v_mul_u64_e32 v[10:11], 24, v[4:5]
	s_wait_loadcnt 0x0
	v_add_nc_u64_e32 v[10:11], v[6:7], v[10:11]
	s_wait_xcnt 0x0
	s_and_saveexec_b32 s6, s0
	s_cbranch_execz .LBB73_225
; %bb.224:
	v_mov_b64_e32 v[14:15], 0x100000002
	v_dual_mov_b32 v12, s1 :: v_dual_mov_b32 v13, v1
	global_store_b128 v[10:11], v[12:15], off offset:8
.LBB73_225:
	s_wait_xcnt 0x0
	s_or_b32 exec_lo, exec_lo, s6
	v_lshlrev_b64_e32 v[4:5], 12, v[4:5]
	s_mov_b32 s12, 0
	v_and_or_b32 v2, 0xffffff1f, v2, 32
	s_mov_b32 s13, s12
	s_mov_b32 s14, s12
	;; [unrolled: 1-line block ×3, first 2 shown]
	v_mov_b64_e32 v[12:13], s[12:13]
	v_add_nc_u64_e32 v[8:9], v[8:9], v[4:5]
	v_mov_b64_e32 v[14:15], s[14:15]
	v_dual_mov_b32 v4, v1 :: v_dual_mov_b32 v5, v1
	s_delay_alu instid0(VALU_DEP_3) | instskip(NEXT) | instid1(VALU_DEP_4)
	v_readfirstlane_b32 s6, v8
	v_readfirstlane_b32 s7, v9
	s_clause 0x3
	global_store_b128 v0, v[2:5], s[6:7]
	global_store_b128 v0, v[12:15], s[6:7] offset:16
	global_store_b128 v0, v[12:15], s[6:7] offset:32
	;; [unrolled: 1-line block ×3, first 2 shown]
	s_wait_xcnt 0x0
	s_and_saveexec_b32 s1, s0
	s_cbranch_execz .LBB73_233
; %bb.226:
	v_dual_mov_b32 v12, 0 :: v_dual_mov_b32 v15, s5
	s_mov_b32 s6, exec_lo
	s_clause 0x1
	global_load_b64 v[16:17], v12, s[2:3] offset:32 scope:SCOPE_SYS
	global_load_b64 v[2:3], v12, s[2:3] offset:40
	s_wait_loadcnt 0x0
	v_dual_mov_b32 v14, s4 :: v_dual_bitop2_b32 v3, s5, v3 bitop3:0x40
	v_and_b32_e32 v2, s4, v2
	s_delay_alu instid0(VALU_DEP_1) | instskip(NEXT) | instid1(VALU_DEP_1)
	v_mul_u64_e32 v[2:3], 24, v[2:3]
	v_add_nc_u64_e32 v[6:7], v[6:7], v[2:3]
	global_store_b64 v[6:7], v[16:17], off
	global_wb scope:SCOPE_SYS
	s_wait_storecnt 0x0
	s_wait_xcnt 0x0
	global_atomic_cmpswap_b64 v[4:5], v12, v[14:17], s[2:3] offset:32 th:TH_ATOMIC_RETURN scope:SCOPE_SYS
	s_wait_loadcnt 0x0
	v_cmpx_ne_u64_e64 v[4:5], v[16:17]
	s_cbranch_execz .LBB73_229
; %bb.227:
	s_mov_b32 s7, 0
.LBB73_228:                             ; =>This Inner Loop Header: Depth=1
	v_dual_mov_b32 v2, s4 :: v_dual_mov_b32 v3, s5
	s_sleep 1
	global_store_b64 v[6:7], v[4:5], off
	global_wb scope:SCOPE_SYS
	s_wait_storecnt 0x0
	s_wait_xcnt 0x0
	global_atomic_cmpswap_b64 v[2:3], v12, v[2:5], s[2:3] offset:32 th:TH_ATOMIC_RETURN scope:SCOPE_SYS
	s_wait_loadcnt 0x0
	v_cmp_eq_u64_e32 vcc_lo, v[2:3], v[4:5]
	v_mov_b64_e32 v[4:5], v[2:3]
	s_or_b32 s7, vcc_lo, s7
	s_delay_alu instid0(SALU_CYCLE_1)
	s_and_not1_b32 exec_lo, exec_lo, s7
	s_cbranch_execnz .LBB73_228
.LBB73_229:
	s_or_b32 exec_lo, exec_lo, s6
	v_mov_b32_e32 v5, 0
	s_mov_b32 s7, exec_lo
	s_mov_b32 s6, exec_lo
	v_mbcnt_lo_u32_b32 v4, s7, 0
	global_load_b64 v[2:3], v5, s[2:3] offset:16
	s_wait_xcnt 0x0
	v_cmpx_eq_u32_e32 0, v4
	s_cbranch_execz .LBB73_231
; %bb.230:
	s_bcnt1_i32_b32 s7, s7
	s_delay_alu instid0(SALU_CYCLE_1)
	v_mov_b32_e32 v4, s7
	global_wb scope:SCOPE_SYS
	s_wait_loadcnt 0x0
	s_wait_storecnt 0x0
	global_atomic_add_u64 v[2:3], v[4:5], off offset:8 scope:SCOPE_SYS
.LBB73_231:
	s_wait_xcnt 0x0
	s_or_b32 exec_lo, exec_lo, s6
	s_wait_loadcnt 0x0
	global_load_b64 v[4:5], v[2:3], off offset:16
	s_wait_loadcnt 0x0
	v_cmp_eq_u64_e32 vcc_lo, 0, v[4:5]
	s_cbranch_vccnz .LBB73_233
; %bb.232:
	global_load_b32 v2, v[2:3], off offset:24
	s_wait_xcnt 0x0
	v_mov_b32_e32 v3, 0
	s_wait_loadcnt 0x0
	v_readfirstlane_b32 s6, v2
	global_wb scope:SCOPE_SYS
	s_wait_storecnt 0x0
	global_store_b64 v[4:5], v[2:3], off scope:SCOPE_SYS
	s_and_b32 m0, s6, 0xffffff
	s_sendmsg sendmsg(MSG_INTERRUPT)
.LBB73_233:
	s_wait_xcnt 0x0
	s_or_b32 exec_lo, exec_lo, s1
	v_add_nc_u64_e32 v[2:3], v[8:9], v[0:1]
	s_branch .LBB73_237
.LBB73_234:                             ;   in Loop: Header=BB73_237 Depth=1
	s_wait_xcnt 0x0
	s_or_b32 exec_lo, exec_lo, s1
	s_delay_alu instid0(VALU_DEP_1)
	v_readfirstlane_b32 s1, v1
	s_cmp_eq_u32 s1, 0
	s_cbranch_scc1 .LBB73_236
; %bb.235:                              ;   in Loop: Header=BB73_237 Depth=1
	s_sleep 1
	s_cbranch_execnz .LBB73_237
	s_branch .LBB73_239
.LBB73_236:
	s_branch .LBB73_239
.LBB73_237:                             ; =>This Inner Loop Header: Depth=1
	v_mov_b32_e32 v1, 1
	s_and_saveexec_b32 s1, s0
	s_cbranch_execz .LBB73_234
; %bb.238:                              ;   in Loop: Header=BB73_237 Depth=1
	global_load_b32 v1, v[10:11], off offset:20 scope:SCOPE_SYS
	s_wait_loadcnt 0x0
	global_inv scope:SCOPE_SYS
	v_and_b32_e32 v1, 1, v1
	s_branch .LBB73_234
.LBB73_239:
	global_load_b64 v[4:5], v[2:3], off
	s_wait_xcnt 0x0
	s_and_saveexec_b32 s6, s0
	s_cbranch_execz .LBB73_243
; %bb.240:
	v_mov_b32_e32 v1, 0
	s_clause 0x2
	global_load_b64 v[2:3], v1, s[2:3] offset:40
	global_load_b64 v[10:11], v1, s[2:3] offset:24 scope:SCOPE_SYS
	global_load_b64 v[6:7], v1, s[2:3]
	s_wait_loadcnt 0x2
	v_readfirstlane_b32 s10, v2
	v_readfirstlane_b32 s11, v3
	s_add_nc_u64 s[0:1], s[10:11], 1
	s_delay_alu instid0(SALU_CYCLE_1) | instskip(NEXT) | instid1(SALU_CYCLE_1)
	s_add_nc_u64 s[4:5], s[0:1], s[4:5]
	s_cmp_eq_u64 s[4:5], 0
	s_cselect_b32 s1, s1, s5
	s_cselect_b32 s0, s0, s4
	v_mov_b32_e32 v9, s1
	s_and_b64 s[4:5], s[0:1], s[10:11]
	v_mov_b32_e32 v8, s0
	s_mul_u64 s[4:5], s[4:5], 24
	s_wait_loadcnt 0x0
	v_add_nc_u64_e32 v[2:3], s[4:5], v[6:7]
	global_store_b64 v[2:3], v[10:11], off
	global_wb scope:SCOPE_SYS
	s_wait_storecnt 0x0
	s_wait_xcnt 0x0
	global_atomic_cmpswap_b64 v[8:9], v1, v[8:11], s[2:3] offset:24 th:TH_ATOMIC_RETURN scope:SCOPE_SYS
	s_wait_loadcnt 0x0
	v_cmp_ne_u64_e32 vcc_lo, v[8:9], v[10:11]
	s_and_b32 exec_lo, exec_lo, vcc_lo
	s_cbranch_execz .LBB73_243
; %bb.241:
	s_mov_b32 s4, 0
.LBB73_242:                             ; =>This Inner Loop Header: Depth=1
	v_dual_mov_b32 v6, s0 :: v_dual_mov_b32 v7, s1
	s_sleep 1
	global_store_b64 v[2:3], v[8:9], off
	global_wb scope:SCOPE_SYS
	s_wait_storecnt 0x0
	s_wait_xcnt 0x0
	global_atomic_cmpswap_b64 v[6:7], v1, v[6:9], s[2:3] offset:24 th:TH_ATOMIC_RETURN scope:SCOPE_SYS
	s_wait_loadcnt 0x0
	v_cmp_eq_u64_e32 vcc_lo, v[6:7], v[8:9]
	v_mov_b64_e32 v[8:9], v[6:7]
	s_or_b32 s4, vcc_lo, s4
	s_delay_alu instid0(SALU_CYCLE_1)
	s_and_not1_b32 exec_lo, exec_lo, s4
	s_cbranch_execnz .LBB73_242
.LBB73_243:
	s_or_b32 exec_lo, exec_lo, s6
.LBB73_244:
	v_readfirstlane_b32 s0, v29
	s_wait_loadcnt 0x0
	v_mov_b64_e32 v[2:3], 0
	s_delay_alu instid0(VALU_DEP_2)
	v_cmp_eq_u32_e64 s0, s0, v29
	s_and_saveexec_b32 s1, s0
	s_cbranch_execz .LBB73_250
; %bb.245:
	v_mov_b32_e32 v1, 0
	s_mov_b32 s4, exec_lo
	global_load_b64 v[8:9], v1, s[2:3] offset:24 scope:SCOPE_SYS
	s_wait_loadcnt 0x0
	global_inv scope:SCOPE_SYS
	s_clause 0x1
	global_load_b64 v[2:3], v1, s[2:3] offset:40
	global_load_b64 v[6:7], v1, s[2:3]
	s_wait_loadcnt 0x1
	v_and_b32_e32 v2, v2, v8
	v_and_b32_e32 v3, v3, v9
	s_delay_alu instid0(VALU_DEP_1) | instskip(SKIP_1) | instid1(VALU_DEP_1)
	v_mul_u64_e32 v[2:3], 24, v[2:3]
	s_wait_loadcnt 0x0
	v_add_nc_u64_e32 v[2:3], v[6:7], v[2:3]
	global_load_b64 v[6:7], v[2:3], off scope:SCOPE_SYS
	s_wait_xcnt 0x0
	s_wait_loadcnt 0x0
	global_atomic_cmpswap_b64 v[2:3], v1, v[6:9], s[2:3] offset:24 th:TH_ATOMIC_RETURN scope:SCOPE_SYS
	s_wait_loadcnt 0x0
	global_inv scope:SCOPE_SYS
	s_wait_xcnt 0x0
	v_cmpx_ne_u64_e64 v[2:3], v[8:9]
	s_cbranch_execz .LBB73_249
; %bb.246:
	s_mov_b32 s5, 0
.LBB73_247:                             ; =>This Inner Loop Header: Depth=1
	s_sleep 1
	s_clause 0x1
	global_load_b64 v[6:7], v1, s[2:3] offset:40
	global_load_b64 v[10:11], v1, s[2:3]
	v_mov_b64_e32 v[8:9], v[2:3]
	s_wait_loadcnt 0x1
	s_delay_alu instid0(VALU_DEP_1) | instskip(NEXT) | instid1(VALU_DEP_2)
	v_and_b32_e32 v2, v6, v8
	v_and_b32_e32 v6, v7, v9
	s_wait_loadcnt 0x0
	s_delay_alu instid0(VALU_DEP_2) | instskip(NEXT) | instid1(VALU_DEP_1)
	v_mad_nc_u64_u32 v[2:3], v2, 24, v[10:11]
	v_mad_u32 v3, v6, 24, v3
	global_load_b64 v[6:7], v[2:3], off scope:SCOPE_SYS
	s_wait_xcnt 0x0
	s_wait_loadcnt 0x0
	global_atomic_cmpswap_b64 v[2:3], v1, v[6:9], s[2:3] offset:24 th:TH_ATOMIC_RETURN scope:SCOPE_SYS
	s_wait_loadcnt 0x0
	global_inv scope:SCOPE_SYS
	v_cmp_eq_u64_e32 vcc_lo, v[2:3], v[8:9]
	s_or_b32 s5, vcc_lo, s5
	s_wait_xcnt 0x0
	s_and_not1_b32 exec_lo, exec_lo, s5
	s_cbranch_execnz .LBB73_247
; %bb.248:
	s_or_b32 exec_lo, exec_lo, s5
.LBB73_249:
	s_delay_alu instid0(SALU_CYCLE_1)
	s_or_b32 exec_lo, exec_lo, s4
.LBB73_250:
	s_delay_alu instid0(SALU_CYCLE_1)
	s_or_b32 exec_lo, exec_lo, s1
	v_readfirstlane_b32 s4, v2
	v_mov_b32_e32 v1, 0
	v_readfirstlane_b32 s5, v3
	s_mov_b32 s1, exec_lo
	s_clause 0x1
	global_load_b64 v[6:7], v1, s[2:3] offset:40
	global_load_b128 v[8:11], v1, s[2:3]
	s_wait_loadcnt 0x1
	v_and_b32_e32 v2, s4, v6
	v_and_b32_e32 v3, s5, v7
	s_delay_alu instid0(VALU_DEP_1) | instskip(SKIP_1) | instid1(VALU_DEP_1)
	v_mul_u64_e32 v[6:7], 24, v[2:3]
	s_wait_loadcnt 0x0
	v_add_nc_u64_e32 v[12:13], v[8:9], v[6:7]
	s_wait_xcnt 0x0
	s_and_saveexec_b32 s6, s0
	s_cbranch_execz .LBB73_252
; %bb.251:
	v_mov_b64_e32 v[16:17], 0x100000002
	v_dual_mov_b32 v14, s1 :: v_dual_mov_b32 v15, v1
	global_store_b128 v[12:13], v[14:17], off offset:8
.LBB73_252:
	s_wait_xcnt 0x0
	s_or_b32 exec_lo, exec_lo, s6
	v_lshlrev_b64_e32 v[2:3], 12, v[2:3]
	s_mov_b32 s12, 0
	v_and_or_b32 v4, 0xffffff1f, v4, 32
	s_mov_b32 s14, s12
	s_mov_b32 s15, s12
	s_mov_b32 s13, s12
	v_mov_b64_e32 v[16:17], s[14:15]
	v_add_nc_u64_e32 v[10:11], v[10:11], v[2:3]
	v_mov_b64_e32 v[14:15], s[12:13]
	v_dual_mov_b32 v6, 0x347 :: v_dual_mov_b32 v7, v1
	s_delay_alu instid0(VALU_DEP_3) | instskip(NEXT) | instid1(VALU_DEP_4)
	v_readfirstlane_b32 s6, v10
	v_readfirstlane_b32 s7, v11
	s_clause 0x3
	global_store_b128 v0, v[4:7], s[6:7]
	global_store_b128 v0, v[14:17], s[6:7] offset:16
	global_store_b128 v0, v[14:17], s[6:7] offset:32
	;; [unrolled: 1-line block ×3, first 2 shown]
	s_wait_xcnt 0x0
	s_and_saveexec_b32 s1, s0
	s_cbranch_execz .LBB73_260
; %bb.253:
	v_dual_mov_b32 v14, 0 :: v_dual_mov_b32 v17, s5
	s_mov_b32 s6, exec_lo
	s_clause 0x1
	global_load_b64 v[18:19], v14, s[2:3] offset:32 scope:SCOPE_SYS
	global_load_b64 v[2:3], v14, s[2:3] offset:40
	s_wait_loadcnt 0x0
	v_dual_mov_b32 v16, s4 :: v_dual_bitop2_b32 v3, s5, v3 bitop3:0x40
	v_and_b32_e32 v2, s4, v2
	s_delay_alu instid0(VALU_DEP_1) | instskip(NEXT) | instid1(VALU_DEP_1)
	v_mul_u64_e32 v[2:3], 24, v[2:3]
	v_add_nc_u64_e32 v[6:7], v[8:9], v[2:3]
	global_store_b64 v[6:7], v[18:19], off
	global_wb scope:SCOPE_SYS
	s_wait_storecnt 0x0
	s_wait_xcnt 0x0
	global_atomic_cmpswap_b64 v[4:5], v14, v[16:19], s[2:3] offset:32 th:TH_ATOMIC_RETURN scope:SCOPE_SYS
	s_wait_loadcnt 0x0
	v_cmpx_ne_u64_e64 v[4:5], v[18:19]
	s_cbranch_execz .LBB73_256
; %bb.254:
	s_mov_b32 s7, 0
.LBB73_255:                             ; =>This Inner Loop Header: Depth=1
	v_dual_mov_b32 v2, s4 :: v_dual_mov_b32 v3, s5
	s_sleep 1
	global_store_b64 v[6:7], v[4:5], off
	global_wb scope:SCOPE_SYS
	s_wait_storecnt 0x0
	s_wait_xcnt 0x0
	global_atomic_cmpswap_b64 v[2:3], v14, v[2:5], s[2:3] offset:32 th:TH_ATOMIC_RETURN scope:SCOPE_SYS
	s_wait_loadcnt 0x0
	v_cmp_eq_u64_e32 vcc_lo, v[2:3], v[4:5]
	v_mov_b64_e32 v[4:5], v[2:3]
	s_or_b32 s7, vcc_lo, s7
	s_delay_alu instid0(SALU_CYCLE_1)
	s_and_not1_b32 exec_lo, exec_lo, s7
	s_cbranch_execnz .LBB73_255
.LBB73_256:
	s_or_b32 exec_lo, exec_lo, s6
	v_mov_b32_e32 v5, 0
	s_mov_b32 s7, exec_lo
	s_mov_b32 s6, exec_lo
	v_mbcnt_lo_u32_b32 v4, s7, 0
	global_load_b64 v[2:3], v5, s[2:3] offset:16
	s_wait_xcnt 0x0
	v_cmpx_eq_u32_e32 0, v4
	s_cbranch_execz .LBB73_258
; %bb.257:
	s_bcnt1_i32_b32 s7, s7
	s_delay_alu instid0(SALU_CYCLE_1)
	v_mov_b32_e32 v4, s7
	global_wb scope:SCOPE_SYS
	s_wait_loadcnt 0x0
	s_wait_storecnt 0x0
	global_atomic_add_u64 v[2:3], v[4:5], off offset:8 scope:SCOPE_SYS
.LBB73_258:
	s_wait_xcnt 0x0
	s_or_b32 exec_lo, exec_lo, s6
	s_wait_loadcnt 0x0
	global_load_b64 v[4:5], v[2:3], off offset:16
	s_wait_loadcnt 0x0
	v_cmp_eq_u64_e32 vcc_lo, 0, v[4:5]
	s_cbranch_vccnz .LBB73_260
; %bb.259:
	global_load_b32 v2, v[2:3], off offset:24
	s_wait_xcnt 0x0
	v_mov_b32_e32 v3, 0
	s_wait_loadcnt 0x0
	v_readfirstlane_b32 s6, v2
	global_wb scope:SCOPE_SYS
	s_wait_storecnt 0x0
	global_store_b64 v[4:5], v[2:3], off scope:SCOPE_SYS
	s_and_b32 m0, s6, 0xffffff
	s_sendmsg sendmsg(MSG_INTERRUPT)
.LBB73_260:
	s_wait_xcnt 0x0
	s_or_b32 exec_lo, exec_lo, s1
	v_add_nc_u64_e32 v[0:1], v[10:11], v[0:1]
	s_branch .LBB73_264
.LBB73_261:                             ;   in Loop: Header=BB73_264 Depth=1
	s_wait_xcnt 0x0
	s_or_b32 exec_lo, exec_lo, s1
	s_delay_alu instid0(VALU_DEP_1)
	v_readfirstlane_b32 s1, v2
	s_cmp_eq_u32 s1, 0
	s_cbranch_scc1 .LBB73_263
; %bb.262:                              ;   in Loop: Header=BB73_264 Depth=1
	s_sleep 1
	s_cbranch_execnz .LBB73_264
	s_branch .LBB73_266
.LBB73_263:
	s_branch .LBB73_266
.LBB73_264:                             ; =>This Inner Loop Header: Depth=1
	v_mov_b32_e32 v2, 1
	s_and_saveexec_b32 s1, s0
	s_cbranch_execz .LBB73_261
; %bb.265:                              ;   in Loop: Header=BB73_264 Depth=1
	global_load_b32 v2, v[12:13], off offset:20 scope:SCOPE_SYS
	s_wait_loadcnt 0x0
	global_inv scope:SCOPE_SYS
	v_and_b32_e32 v2, 1, v2
	s_branch .LBB73_261
.LBB73_266:
	global_load_b64 v[0:1], v[0:1], off
	s_wait_xcnt 0x0
	s_and_saveexec_b32 s6, s0
	s_cbranch_execz .LBB73_270
; %bb.267:
	v_mov_b32_e32 v8, 0
	s_clause 0x2
	global_load_b64 v[2:3], v8, s[2:3] offset:40
	global_load_b64 v[12:13], v8, s[2:3] offset:24 scope:SCOPE_SYS
	global_load_b64 v[4:5], v8, s[2:3]
	s_wait_loadcnt 0x2
	v_readfirstlane_b32 s10, v2
	v_readfirstlane_b32 s11, v3
	s_add_nc_u64 s[0:1], s[10:11], 1
	s_delay_alu instid0(SALU_CYCLE_1) | instskip(NEXT) | instid1(SALU_CYCLE_1)
	s_add_nc_u64 s[4:5], s[0:1], s[4:5]
	s_cmp_eq_u64 s[4:5], 0
	s_cselect_b32 s1, s1, s5
	s_cselect_b32 s0, s0, s4
	v_mov_b32_e32 v11, s1
	s_and_b64 s[4:5], s[0:1], s[10:11]
	v_mov_b32_e32 v10, s0
	s_mul_u64 s[4:5], s[4:5], 24
	s_wait_loadcnt 0x0
	v_add_nc_u64_e32 v[6:7], s[4:5], v[4:5]
	global_store_b64 v[6:7], v[12:13], off
	global_wb scope:SCOPE_SYS
	s_wait_storecnt 0x0
	s_wait_xcnt 0x0
	global_atomic_cmpswap_b64 v[4:5], v8, v[10:13], s[2:3] offset:24 th:TH_ATOMIC_RETURN scope:SCOPE_SYS
	s_wait_loadcnt 0x0
	v_cmp_ne_u64_e32 vcc_lo, v[4:5], v[12:13]
	s_and_b32 exec_lo, exec_lo, vcc_lo
	s_cbranch_execz .LBB73_270
; %bb.268:
	s_mov_b32 s4, 0
.LBB73_269:                             ; =>This Inner Loop Header: Depth=1
	v_dual_mov_b32 v2, s0 :: v_dual_mov_b32 v3, s1
	s_sleep 1
	global_store_b64 v[6:7], v[4:5], off
	global_wb scope:SCOPE_SYS
	s_wait_storecnt 0x0
	s_wait_xcnt 0x0
	global_atomic_cmpswap_b64 v[2:3], v8, v[2:5], s[2:3] offset:24 th:TH_ATOMIC_RETURN scope:SCOPE_SYS
	s_wait_loadcnt 0x0
	v_cmp_eq_u64_e32 vcc_lo, v[2:3], v[4:5]
	v_mov_b64_e32 v[4:5], v[2:3]
	s_or_b32 s4, vcc_lo, s4
	s_delay_alu instid0(SALU_CYCLE_1)
	s_and_not1_b32 exec_lo, exec_lo, s4
	s_cbranch_execnz .LBB73_269
.LBB73_270:
	s_or_b32 exec_lo, exec_lo, s6
	s_get_pc_i64 s[0:1]
	s_add_nc_u64 s[0:1], s[0:1], __FUNCTION__._ZL15flash_attn_tileILi96ELi96ELi8ELi8ELb1EEvPKcS1_S1_S1_S1_PKiPfP15HIP_vector_typeIfLj2EEffffjfiS5_IjLj3EEiiiiiiiiiiiliiliiiiil@rel64+4
	s_get_pc_i64 s[2:3]
	s_add_nc_u64 s[2:3], s[2:3], __ockl_printf_append_string_n@rel64+4
	s_cmp_lg_u64 s[0:1], 0
	v_dual_mov_b32 v2, s0 :: v_dual_mov_b32 v3, s1
	s_cselect_b32 s4, 16, 0
	s_delay_alu instid0(SALU_CYCLE_1)
	v_dual_mov_b32 v5, 0 :: v_dual_mov_b32 v4, s4
	s_mov_b64 s[14:15], s[8:9]
	s_swap_pc_i64 s[30:31], s[2:3]
	v_dual_mov_b32 v2, 0x514 :: v_dual_mov_b32 v3, 0
	v_mov_b32_e32 v4, 1
	s_get_pc_i64 s[0:1]
	s_add_nc_u64 s[0:1], s[0:1], __ockl_printf_append_args@rel64+4
	s_mov_b64 s[8:9], s[14:15]
	s_swap_pc_i64 s[30:31], s[0:1]
	s_trap 2
.Lfunc_end73:
	.size	_ZL14no_device_codePKciS0_iS0_, .Lfunc_end73-_ZL14no_device_codePKciS0_iS0_
                                        ; -- End function
	.set .L_ZL14no_device_codePKciS0_iS0_.num_vgpr, max(41, .L__ockl_printf_append_string_n.num_vgpr, .L__ockl_printf_append_args.num_vgpr)
	.set .L_ZL14no_device_codePKciS0_iS0_.num_agpr, max(0, .L__ockl_printf_append_string_n.num_agpr, .L__ockl_printf_append_args.num_agpr)
	.set .L_ZL14no_device_codePKciS0_iS0_.numbered_sgpr, max(34, .L__ockl_printf_append_string_n.numbered_sgpr, .L__ockl_printf_append_args.numbered_sgpr)
	.set .L_ZL14no_device_codePKciS0_iS0_.num_named_barrier, max(0, .L__ockl_printf_append_string_n.num_named_barrier, .L__ockl_printf_append_args.num_named_barrier)
	.set .L_ZL14no_device_codePKciS0_iS0_.private_seg_size, 16+max(.L__ockl_printf_append_string_n.private_seg_size, .L__ockl_printf_append_args.private_seg_size)
	.set .L_ZL14no_device_codePKciS0_iS0_.uses_vcc, or(1, .L__ockl_printf_append_string_n.uses_vcc, .L__ockl_printf_append_args.uses_vcc)
	.set .L_ZL14no_device_codePKciS0_iS0_.uses_flat_scratch, or(0, .L__ockl_printf_append_string_n.uses_flat_scratch, .L__ockl_printf_append_args.uses_flat_scratch)
	.set .L_ZL14no_device_codePKciS0_iS0_.has_dyn_sized_stack, or(0, .L__ockl_printf_append_string_n.has_dyn_sized_stack, .L__ockl_printf_append_args.has_dyn_sized_stack)
	.set .L_ZL14no_device_codePKciS0_iS0_.has_recursion, or(0, .L__ockl_printf_append_string_n.has_recursion, .L__ockl_printf_append_args.has_recursion)
	.set .L_ZL14no_device_codePKciS0_iS0_.has_indirect_call, or(0, .L__ockl_printf_append_string_n.has_indirect_call, .L__ockl_printf_append_args.has_indirect_call)
	.section	.AMDGPU.csdata,"",@progbits
; Function info:
; codeLenInByte = 11008
; TotalNumSgprs: 36
; NumVgprs: 50
; ScratchSize: 16
; MemoryBound: 0
	.section	.text._ZL15flash_attn_tileILi96ELi96ELi8ELi8ELb1EEvPKcS1_S1_S1_S1_PKiPfP15HIP_vector_typeIfLj2EEffffjfiS5_IjLj3EEiiiiiiiiiiiliiliiiiil,"axG",@progbits,_ZL15flash_attn_tileILi96ELi96ELi8ELi8ELb1EEvPKcS1_S1_S1_S1_PKiPfP15HIP_vector_typeIfLj2EEffffjfiS5_IjLj3EEiiiiiiiiiiiliiliiiiil,comdat
	.globl	_ZL15flash_attn_tileILi96ELi96ELi8ELi8ELb1EEvPKcS1_S1_S1_S1_PKiPfP15HIP_vector_typeIfLj2EEffffjfiS5_IjLj3EEiiiiiiiiiiiliiliiiiil ; -- Begin function _ZL15flash_attn_tileILi96ELi96ELi8ELi8ELb1EEvPKcS1_S1_S1_S1_PKiPfP15HIP_vector_typeIfLj2EEffffjfiS5_IjLj3EEiiiiiiiiiiiliiliiiiil
	.p2align	8
	.type	_ZL15flash_attn_tileILi96ELi96ELi8ELi8ELb1EEvPKcS1_S1_S1_S1_PKiPfP15HIP_vector_typeIfLj2EEffffjfiS5_IjLj3EEiiiiiiiiiiiliiliiiiil,@function
_ZL15flash_attn_tileILi96ELi96ELi8ELi8ELb1EEvPKcS1_S1_S1_S1_PKiPfP15HIP_vector_typeIfLj2EEffffjfiS5_IjLj3EEiiiiiiiiiiiliiliiiiil: ; @_ZL15flash_attn_tileILi96ELi96ELi8ELi8ELb1EEvPKcS1_S1_S1_S1_PKiPfP15HIP_vector_typeIfLj2EEffffjfiS5_IjLj3EEiiiiiiiiiiiliiliiiiil
; %bb.0:
	s_get_pc_i64 s[2:3]
	s_add_nc_u64 s[2:3], s[2:3], _ZL14no_device_codePKciS0_iS0_@rel64+4
	s_add_nc_u64 s[8:9], s[0:1], 0xd0
	s_mov_b32 s32, 0
	s_swap_pc_i64 s[30:31], s[2:3]
	.section	.rodata,"a",@progbits
	.p2align	6, 0x0
	.amdhsa_kernel _ZL15flash_attn_tileILi96ELi96ELi8ELi8ELb1EEvPKcS1_S1_S1_S1_PKiPfP15HIP_vector_typeIfLj2EEffffjfiS5_IjLj3EEiiiiiiiiiiiliiliiiiil
		.amdhsa_group_segment_fixed_size 0
		.amdhsa_private_segment_fixed_size 16
		.amdhsa_kernarg_size 464
		.amdhsa_user_sgpr_count 2
		.amdhsa_user_sgpr_dispatch_ptr 0
		.amdhsa_user_sgpr_queue_ptr 0
		.amdhsa_user_sgpr_kernarg_segment_ptr 1
		.amdhsa_user_sgpr_dispatch_id 0
		.amdhsa_user_sgpr_kernarg_preload_length 0
		.amdhsa_user_sgpr_kernarg_preload_offset 0
		.amdhsa_user_sgpr_private_segment_size 0
		.amdhsa_wavefront_size32 1
		.amdhsa_uses_dynamic_stack 0
		.amdhsa_enable_private_segment 1
		.amdhsa_system_sgpr_workgroup_id_x 1
		.amdhsa_system_sgpr_workgroup_id_y 0
		.amdhsa_system_sgpr_workgroup_id_z 0
		.amdhsa_system_sgpr_workgroup_info 0
		.amdhsa_system_vgpr_workitem_id 0
		.amdhsa_next_free_vgpr 50
		.amdhsa_next_free_sgpr 34
		.amdhsa_named_barrier_count 0
		.amdhsa_reserve_vcc 1
		.amdhsa_float_round_mode_32 0
		.amdhsa_float_round_mode_16_64 0
		.amdhsa_float_denorm_mode_32 3
		.amdhsa_float_denorm_mode_16_64 3
		.amdhsa_fp16_overflow 0
		.amdhsa_memory_ordered 1
		.amdhsa_forward_progress 1
		.amdhsa_inst_pref_size 1
		.amdhsa_round_robin_scheduling 0
		.amdhsa_exception_fp_ieee_invalid_op 0
		.amdhsa_exception_fp_denorm_src 0
		.amdhsa_exception_fp_ieee_div_zero 0
		.amdhsa_exception_fp_ieee_overflow 0
		.amdhsa_exception_fp_ieee_underflow 0
		.amdhsa_exception_fp_ieee_inexact 0
		.amdhsa_exception_int_div_zero 0
	.end_amdhsa_kernel
	.section	.text._ZL15flash_attn_tileILi96ELi96ELi8ELi8ELb1EEvPKcS1_S1_S1_S1_PKiPfP15HIP_vector_typeIfLj2EEffffjfiS5_IjLj3EEiiiiiiiiiiiliiliiiiil,"axG",@progbits,_ZL15flash_attn_tileILi96ELi96ELi8ELi8ELb1EEvPKcS1_S1_S1_S1_PKiPfP15HIP_vector_typeIfLj2EEffffjfiS5_IjLj3EEiiiiiiiiiiiliiliiiiil,comdat
.Lfunc_end74:
	.size	_ZL15flash_attn_tileILi96ELi96ELi8ELi8ELb1EEvPKcS1_S1_S1_S1_PKiPfP15HIP_vector_typeIfLj2EEffffjfiS5_IjLj3EEiiiiiiiiiiiliiliiiiil, .Lfunc_end74-_ZL15flash_attn_tileILi96ELi96ELi8ELi8ELb1EEvPKcS1_S1_S1_S1_PKiPfP15HIP_vector_typeIfLj2EEffffjfiS5_IjLj3EEiiiiiiiiiiiliiliiiiil
                                        ; -- End function
	.set _ZL15flash_attn_tileILi96ELi96ELi8ELi8ELb1EEvPKcS1_S1_S1_S1_PKiPfP15HIP_vector_typeIfLj2EEffffjfiS5_IjLj3EEiiiiiiiiiiiliiliiiiil.num_vgpr, max(0, .L_ZL14no_device_codePKciS0_iS0_.num_vgpr)
	.set _ZL15flash_attn_tileILi96ELi96ELi8ELi8ELb1EEvPKcS1_S1_S1_S1_PKiPfP15HIP_vector_typeIfLj2EEffffjfiS5_IjLj3EEiiiiiiiiiiiliiliiiiil.num_agpr, max(0, .L_ZL14no_device_codePKciS0_iS0_.num_agpr)
	.set _ZL15flash_attn_tileILi96ELi96ELi8ELi8ELb1EEvPKcS1_S1_S1_S1_PKiPfP15HIP_vector_typeIfLj2EEffffjfiS5_IjLj3EEiiiiiiiiiiiliiliiiiil.numbered_sgpr, max(33, .L_ZL14no_device_codePKciS0_iS0_.numbered_sgpr)
	.set _ZL15flash_attn_tileILi96ELi96ELi8ELi8ELb1EEvPKcS1_S1_S1_S1_PKiPfP15HIP_vector_typeIfLj2EEffffjfiS5_IjLj3EEiiiiiiiiiiiliiliiiiil.num_named_barrier, max(0, .L_ZL14no_device_codePKciS0_iS0_.num_named_barrier)
	.set _ZL15flash_attn_tileILi96ELi96ELi8ELi8ELb1EEvPKcS1_S1_S1_S1_PKiPfP15HIP_vector_typeIfLj2EEffffjfiS5_IjLj3EEiiiiiiiiiiiliiliiiiil.private_seg_size, 0+max(.L_ZL14no_device_codePKciS0_iS0_.private_seg_size)
	.set _ZL15flash_attn_tileILi96ELi96ELi8ELi8ELb1EEvPKcS1_S1_S1_S1_PKiPfP15HIP_vector_typeIfLj2EEffffjfiS5_IjLj3EEiiiiiiiiiiiliiliiiiil.uses_vcc, or(1, .L_ZL14no_device_codePKciS0_iS0_.uses_vcc)
	.set _ZL15flash_attn_tileILi96ELi96ELi8ELi8ELb1EEvPKcS1_S1_S1_S1_PKiPfP15HIP_vector_typeIfLj2EEffffjfiS5_IjLj3EEiiiiiiiiiiiliiliiiiil.uses_flat_scratch, or(0, .L_ZL14no_device_codePKciS0_iS0_.uses_flat_scratch)
	.set _ZL15flash_attn_tileILi96ELi96ELi8ELi8ELb1EEvPKcS1_S1_S1_S1_PKiPfP15HIP_vector_typeIfLj2EEffffjfiS5_IjLj3EEiiiiiiiiiiiliiliiiiil.has_dyn_sized_stack, or(0, .L_ZL14no_device_codePKciS0_iS0_.has_dyn_sized_stack)
	.set _ZL15flash_attn_tileILi96ELi96ELi8ELi8ELb1EEvPKcS1_S1_S1_S1_PKiPfP15HIP_vector_typeIfLj2EEffffjfiS5_IjLj3EEiiiiiiiiiiiliiliiiiil.has_recursion, or(0, .L_ZL14no_device_codePKciS0_iS0_.has_recursion)
	.set _ZL15flash_attn_tileILi96ELi96ELi8ELi8ELb1EEvPKcS1_S1_S1_S1_PKiPfP15HIP_vector_typeIfLj2EEffffjfiS5_IjLj3EEiiiiiiiiiiiliiliiiiil.has_indirect_call, or(0, .L_ZL14no_device_codePKciS0_iS0_.has_indirect_call)
	.section	.AMDGPU.csdata,"",@progbits
; Kernel info:
; codeLenInByte = 32
; TotalNumSgprs: 36
; NumVgprs: 50
; ScratchSize: 16
; MemoryBound: 0
; FloatMode: 240
; IeeeMode: 1
; LDSByteSize: 0 bytes/workgroup (compile time only)
; SGPRBlocks: 0
; VGPRBlocks: 3
; NumSGPRsForWavesPerEU: 36
; NumVGPRsForWavesPerEU: 50
; NamedBarCnt: 0
; Occupancy: 16
; WaveLimiterHint : 1
; COMPUTE_PGM_RSRC2:SCRATCH_EN: 1
; COMPUTE_PGM_RSRC2:USER_SGPR: 2
; COMPUTE_PGM_RSRC2:TRAP_HANDLER: 0
; COMPUTE_PGM_RSRC2:TGID_X_EN: 1
; COMPUTE_PGM_RSRC2:TGID_Y_EN: 0
; COMPUTE_PGM_RSRC2:TGID_Z_EN: 0
; COMPUTE_PGM_RSRC2:TIDIG_COMP_CNT: 0
	.section	.text._ZL15flash_attn_tileILi96ELi96ELi4ELi8ELb1EEvPKcS1_S1_S1_S1_PKiPfP15HIP_vector_typeIfLj2EEffffjfiS5_IjLj3EEiiiiiiiiiiiliiliiiiil,"axG",@progbits,_ZL15flash_attn_tileILi96ELi96ELi4ELi8ELb1EEvPKcS1_S1_S1_S1_PKiPfP15HIP_vector_typeIfLj2EEffffjfiS5_IjLj3EEiiiiiiiiiiiliiliiiiil,comdat
	.globl	_ZL15flash_attn_tileILi96ELi96ELi4ELi8ELb1EEvPKcS1_S1_S1_S1_PKiPfP15HIP_vector_typeIfLj2EEffffjfiS5_IjLj3EEiiiiiiiiiiiliiliiiiil ; -- Begin function _ZL15flash_attn_tileILi96ELi96ELi4ELi8ELb1EEvPKcS1_S1_S1_S1_PKiPfP15HIP_vector_typeIfLj2EEffffjfiS5_IjLj3EEiiiiiiiiiiiliiliiiiil
	.p2align	8
	.type	_ZL15flash_attn_tileILi96ELi96ELi4ELi8ELb1EEvPKcS1_S1_S1_S1_PKiPfP15HIP_vector_typeIfLj2EEffffjfiS5_IjLj3EEiiiiiiiiiiiliiliiiiil,@function
_ZL15flash_attn_tileILi96ELi96ELi4ELi8ELb1EEvPKcS1_S1_S1_S1_PKiPfP15HIP_vector_typeIfLj2EEffffjfiS5_IjLj3EEiiiiiiiiiiiliiliiiiil: ; @_ZL15flash_attn_tileILi96ELi96ELi4ELi8ELb1EEvPKcS1_S1_S1_S1_PKiPfP15HIP_vector_typeIfLj2EEffffjfiS5_IjLj3EEiiiiiiiiiiiliiliiiiil
; %bb.0:
	s_get_pc_i64 s[2:3]
	s_add_nc_u64 s[2:3], s[2:3], _ZL14no_device_codePKciS0_iS0_@rel64+4
	s_add_nc_u64 s[8:9], s[0:1], 0xd0
	s_mov_b32 s32, 0
	s_swap_pc_i64 s[30:31], s[2:3]
	.section	.rodata,"a",@progbits
	.p2align	6, 0x0
	.amdhsa_kernel _ZL15flash_attn_tileILi96ELi96ELi4ELi8ELb1EEvPKcS1_S1_S1_S1_PKiPfP15HIP_vector_typeIfLj2EEffffjfiS5_IjLj3EEiiiiiiiiiiiliiliiiiil
		.amdhsa_group_segment_fixed_size 0
		.amdhsa_private_segment_fixed_size 16
		.amdhsa_kernarg_size 464
		.amdhsa_user_sgpr_count 2
		.amdhsa_user_sgpr_dispatch_ptr 0
		.amdhsa_user_sgpr_queue_ptr 0
		.amdhsa_user_sgpr_kernarg_segment_ptr 1
		.amdhsa_user_sgpr_dispatch_id 0
		.amdhsa_user_sgpr_kernarg_preload_length 0
		.amdhsa_user_sgpr_kernarg_preload_offset 0
		.amdhsa_user_sgpr_private_segment_size 0
		.amdhsa_wavefront_size32 1
		.amdhsa_uses_dynamic_stack 0
		.amdhsa_enable_private_segment 1
		.amdhsa_system_sgpr_workgroup_id_x 1
		.amdhsa_system_sgpr_workgroup_id_y 0
		.amdhsa_system_sgpr_workgroup_id_z 0
		.amdhsa_system_sgpr_workgroup_info 0
		.amdhsa_system_vgpr_workitem_id 0
		.amdhsa_next_free_vgpr 50
		.amdhsa_next_free_sgpr 34
		.amdhsa_named_barrier_count 0
		.amdhsa_reserve_vcc 1
		.amdhsa_float_round_mode_32 0
		.amdhsa_float_round_mode_16_64 0
		.amdhsa_float_denorm_mode_32 3
		.amdhsa_float_denorm_mode_16_64 3
		.amdhsa_fp16_overflow 0
		.amdhsa_memory_ordered 1
		.amdhsa_forward_progress 1
		.amdhsa_inst_pref_size 1
		.amdhsa_round_robin_scheduling 0
		.amdhsa_exception_fp_ieee_invalid_op 0
		.amdhsa_exception_fp_denorm_src 0
		.amdhsa_exception_fp_ieee_div_zero 0
		.amdhsa_exception_fp_ieee_overflow 0
		.amdhsa_exception_fp_ieee_underflow 0
		.amdhsa_exception_fp_ieee_inexact 0
		.amdhsa_exception_int_div_zero 0
	.end_amdhsa_kernel
	.section	.text._ZL15flash_attn_tileILi96ELi96ELi4ELi8ELb1EEvPKcS1_S1_S1_S1_PKiPfP15HIP_vector_typeIfLj2EEffffjfiS5_IjLj3EEiiiiiiiiiiiliiliiiiil,"axG",@progbits,_ZL15flash_attn_tileILi96ELi96ELi4ELi8ELb1EEvPKcS1_S1_S1_S1_PKiPfP15HIP_vector_typeIfLj2EEffffjfiS5_IjLj3EEiiiiiiiiiiiliiliiiiil,comdat
.Lfunc_end75:
	.size	_ZL15flash_attn_tileILi96ELi96ELi4ELi8ELb1EEvPKcS1_S1_S1_S1_PKiPfP15HIP_vector_typeIfLj2EEffffjfiS5_IjLj3EEiiiiiiiiiiiliiliiiiil, .Lfunc_end75-_ZL15flash_attn_tileILi96ELi96ELi4ELi8ELb1EEvPKcS1_S1_S1_S1_PKiPfP15HIP_vector_typeIfLj2EEffffjfiS5_IjLj3EEiiiiiiiiiiiliiliiiiil
                                        ; -- End function
	.set _ZL15flash_attn_tileILi96ELi96ELi4ELi8ELb1EEvPKcS1_S1_S1_S1_PKiPfP15HIP_vector_typeIfLj2EEffffjfiS5_IjLj3EEiiiiiiiiiiiliiliiiiil.num_vgpr, max(0, .L_ZL14no_device_codePKciS0_iS0_.num_vgpr)
	.set _ZL15flash_attn_tileILi96ELi96ELi4ELi8ELb1EEvPKcS1_S1_S1_S1_PKiPfP15HIP_vector_typeIfLj2EEffffjfiS5_IjLj3EEiiiiiiiiiiiliiliiiiil.num_agpr, max(0, .L_ZL14no_device_codePKciS0_iS0_.num_agpr)
	.set _ZL15flash_attn_tileILi96ELi96ELi4ELi8ELb1EEvPKcS1_S1_S1_S1_PKiPfP15HIP_vector_typeIfLj2EEffffjfiS5_IjLj3EEiiiiiiiiiiiliiliiiiil.numbered_sgpr, max(33, .L_ZL14no_device_codePKciS0_iS0_.numbered_sgpr)
	.set _ZL15flash_attn_tileILi96ELi96ELi4ELi8ELb1EEvPKcS1_S1_S1_S1_PKiPfP15HIP_vector_typeIfLj2EEffffjfiS5_IjLj3EEiiiiiiiiiiiliiliiiiil.num_named_barrier, max(0, .L_ZL14no_device_codePKciS0_iS0_.num_named_barrier)
	.set _ZL15flash_attn_tileILi96ELi96ELi4ELi8ELb1EEvPKcS1_S1_S1_S1_PKiPfP15HIP_vector_typeIfLj2EEffffjfiS5_IjLj3EEiiiiiiiiiiiliiliiiiil.private_seg_size, 0+max(.L_ZL14no_device_codePKciS0_iS0_.private_seg_size)
	.set _ZL15flash_attn_tileILi96ELi96ELi4ELi8ELb1EEvPKcS1_S1_S1_S1_PKiPfP15HIP_vector_typeIfLj2EEffffjfiS5_IjLj3EEiiiiiiiiiiiliiliiiiil.uses_vcc, or(1, .L_ZL14no_device_codePKciS0_iS0_.uses_vcc)
	.set _ZL15flash_attn_tileILi96ELi96ELi4ELi8ELb1EEvPKcS1_S1_S1_S1_PKiPfP15HIP_vector_typeIfLj2EEffffjfiS5_IjLj3EEiiiiiiiiiiiliiliiiiil.uses_flat_scratch, or(0, .L_ZL14no_device_codePKciS0_iS0_.uses_flat_scratch)
	.set _ZL15flash_attn_tileILi96ELi96ELi4ELi8ELb1EEvPKcS1_S1_S1_S1_PKiPfP15HIP_vector_typeIfLj2EEffffjfiS5_IjLj3EEiiiiiiiiiiiliiliiiiil.has_dyn_sized_stack, or(0, .L_ZL14no_device_codePKciS0_iS0_.has_dyn_sized_stack)
	.set _ZL15flash_attn_tileILi96ELi96ELi4ELi8ELb1EEvPKcS1_S1_S1_S1_PKiPfP15HIP_vector_typeIfLj2EEffffjfiS5_IjLj3EEiiiiiiiiiiiliiliiiiil.has_recursion, or(0, .L_ZL14no_device_codePKciS0_iS0_.has_recursion)
	.set _ZL15flash_attn_tileILi96ELi96ELi4ELi8ELb1EEvPKcS1_S1_S1_S1_PKiPfP15HIP_vector_typeIfLj2EEffffjfiS5_IjLj3EEiiiiiiiiiiiliiliiiiil.has_indirect_call, or(0, .L_ZL14no_device_codePKciS0_iS0_.has_indirect_call)
	.section	.AMDGPU.csdata,"",@progbits
; Kernel info:
; codeLenInByte = 32
; TotalNumSgprs: 36
; NumVgprs: 50
; ScratchSize: 16
; MemoryBound: 0
; FloatMode: 240
; IeeeMode: 1
; LDSByteSize: 0 bytes/workgroup (compile time only)
; SGPRBlocks: 0
; VGPRBlocks: 3
; NumSGPRsForWavesPerEU: 36
; NumVGPRsForWavesPerEU: 50
; NamedBarCnt: 0
; Occupancy: 16
; WaveLimiterHint : 1
; COMPUTE_PGM_RSRC2:SCRATCH_EN: 1
; COMPUTE_PGM_RSRC2:USER_SGPR: 2
; COMPUTE_PGM_RSRC2:TRAP_HANDLER: 0
; COMPUTE_PGM_RSRC2:TGID_X_EN: 1
; COMPUTE_PGM_RSRC2:TGID_Y_EN: 0
; COMPUTE_PGM_RSRC2:TGID_Z_EN: 0
; COMPUTE_PGM_RSRC2:TIDIG_COMP_CNT: 0
	.section	.text._ZL15flash_attn_tileILi96ELi96ELi2ELi8ELb1EEvPKcS1_S1_S1_S1_PKiPfP15HIP_vector_typeIfLj2EEffffjfiS5_IjLj3EEiiiiiiiiiiiliiliiiiil,"axG",@progbits,_ZL15flash_attn_tileILi96ELi96ELi2ELi8ELb1EEvPKcS1_S1_S1_S1_PKiPfP15HIP_vector_typeIfLj2EEffffjfiS5_IjLj3EEiiiiiiiiiiiliiliiiiil,comdat
	.globl	_ZL15flash_attn_tileILi96ELi96ELi2ELi8ELb1EEvPKcS1_S1_S1_S1_PKiPfP15HIP_vector_typeIfLj2EEffffjfiS5_IjLj3EEiiiiiiiiiiiliiliiiiil ; -- Begin function _ZL15flash_attn_tileILi96ELi96ELi2ELi8ELb1EEvPKcS1_S1_S1_S1_PKiPfP15HIP_vector_typeIfLj2EEffffjfiS5_IjLj3EEiiiiiiiiiiiliiliiiiil
	.p2align	8
	.type	_ZL15flash_attn_tileILi96ELi96ELi2ELi8ELb1EEvPKcS1_S1_S1_S1_PKiPfP15HIP_vector_typeIfLj2EEffffjfiS5_IjLj3EEiiiiiiiiiiiliiliiiiil,@function
_ZL15flash_attn_tileILi96ELi96ELi2ELi8ELb1EEvPKcS1_S1_S1_S1_PKiPfP15HIP_vector_typeIfLj2EEffffjfiS5_IjLj3EEiiiiiiiiiiiliiliiiiil: ; @_ZL15flash_attn_tileILi96ELi96ELi2ELi8ELb1EEvPKcS1_S1_S1_S1_PKiPfP15HIP_vector_typeIfLj2EEffffjfiS5_IjLj3EEiiiiiiiiiiiliiliiiiil
; %bb.0:
	s_get_pc_i64 s[2:3]
	s_add_nc_u64 s[2:3], s[2:3], _ZL14no_device_codePKciS0_iS0_@rel64+4
	s_add_nc_u64 s[8:9], s[0:1], 0xd0
	s_mov_b32 s32, 0
	s_swap_pc_i64 s[30:31], s[2:3]
	.section	.rodata,"a",@progbits
	.p2align	6, 0x0
	.amdhsa_kernel _ZL15flash_attn_tileILi96ELi96ELi2ELi8ELb1EEvPKcS1_S1_S1_S1_PKiPfP15HIP_vector_typeIfLj2EEffffjfiS5_IjLj3EEiiiiiiiiiiiliiliiiiil
		.amdhsa_group_segment_fixed_size 0
		.amdhsa_private_segment_fixed_size 16
		.amdhsa_kernarg_size 464
		.amdhsa_user_sgpr_count 2
		.amdhsa_user_sgpr_dispatch_ptr 0
		.amdhsa_user_sgpr_queue_ptr 0
		.amdhsa_user_sgpr_kernarg_segment_ptr 1
		.amdhsa_user_sgpr_dispatch_id 0
		.amdhsa_user_sgpr_kernarg_preload_length 0
		.amdhsa_user_sgpr_kernarg_preload_offset 0
		.amdhsa_user_sgpr_private_segment_size 0
		.amdhsa_wavefront_size32 1
		.amdhsa_uses_dynamic_stack 0
		.amdhsa_enable_private_segment 1
		.amdhsa_system_sgpr_workgroup_id_x 1
		.amdhsa_system_sgpr_workgroup_id_y 0
		.amdhsa_system_sgpr_workgroup_id_z 0
		.amdhsa_system_sgpr_workgroup_info 0
		.amdhsa_system_vgpr_workitem_id 0
		.amdhsa_next_free_vgpr 50
		.amdhsa_next_free_sgpr 34
		.amdhsa_named_barrier_count 0
		.amdhsa_reserve_vcc 1
		.amdhsa_float_round_mode_32 0
		.amdhsa_float_round_mode_16_64 0
		.amdhsa_float_denorm_mode_32 3
		.amdhsa_float_denorm_mode_16_64 3
		.amdhsa_fp16_overflow 0
		.amdhsa_memory_ordered 1
		.amdhsa_forward_progress 1
		.amdhsa_inst_pref_size 1
		.amdhsa_round_robin_scheduling 0
		.amdhsa_exception_fp_ieee_invalid_op 0
		.amdhsa_exception_fp_denorm_src 0
		.amdhsa_exception_fp_ieee_div_zero 0
		.amdhsa_exception_fp_ieee_overflow 0
		.amdhsa_exception_fp_ieee_underflow 0
		.amdhsa_exception_fp_ieee_inexact 0
		.amdhsa_exception_int_div_zero 0
	.end_amdhsa_kernel
	.section	.text._ZL15flash_attn_tileILi96ELi96ELi2ELi8ELb1EEvPKcS1_S1_S1_S1_PKiPfP15HIP_vector_typeIfLj2EEffffjfiS5_IjLj3EEiiiiiiiiiiiliiliiiiil,"axG",@progbits,_ZL15flash_attn_tileILi96ELi96ELi2ELi8ELb1EEvPKcS1_S1_S1_S1_PKiPfP15HIP_vector_typeIfLj2EEffffjfiS5_IjLj3EEiiiiiiiiiiiliiliiiiil,comdat
.Lfunc_end76:
	.size	_ZL15flash_attn_tileILi96ELi96ELi2ELi8ELb1EEvPKcS1_S1_S1_S1_PKiPfP15HIP_vector_typeIfLj2EEffffjfiS5_IjLj3EEiiiiiiiiiiiliiliiiiil, .Lfunc_end76-_ZL15flash_attn_tileILi96ELi96ELi2ELi8ELb1EEvPKcS1_S1_S1_S1_PKiPfP15HIP_vector_typeIfLj2EEffffjfiS5_IjLj3EEiiiiiiiiiiiliiliiiiil
                                        ; -- End function
	.set _ZL15flash_attn_tileILi96ELi96ELi2ELi8ELb1EEvPKcS1_S1_S1_S1_PKiPfP15HIP_vector_typeIfLj2EEffffjfiS5_IjLj3EEiiiiiiiiiiiliiliiiiil.num_vgpr, max(0, .L_ZL14no_device_codePKciS0_iS0_.num_vgpr)
	.set _ZL15flash_attn_tileILi96ELi96ELi2ELi8ELb1EEvPKcS1_S1_S1_S1_PKiPfP15HIP_vector_typeIfLj2EEffffjfiS5_IjLj3EEiiiiiiiiiiiliiliiiiil.num_agpr, max(0, .L_ZL14no_device_codePKciS0_iS0_.num_agpr)
	.set _ZL15flash_attn_tileILi96ELi96ELi2ELi8ELb1EEvPKcS1_S1_S1_S1_PKiPfP15HIP_vector_typeIfLj2EEffffjfiS5_IjLj3EEiiiiiiiiiiiliiliiiiil.numbered_sgpr, max(33, .L_ZL14no_device_codePKciS0_iS0_.numbered_sgpr)
	.set _ZL15flash_attn_tileILi96ELi96ELi2ELi8ELb1EEvPKcS1_S1_S1_S1_PKiPfP15HIP_vector_typeIfLj2EEffffjfiS5_IjLj3EEiiiiiiiiiiiliiliiiiil.num_named_barrier, max(0, .L_ZL14no_device_codePKciS0_iS0_.num_named_barrier)
	.set _ZL15flash_attn_tileILi96ELi96ELi2ELi8ELb1EEvPKcS1_S1_S1_S1_PKiPfP15HIP_vector_typeIfLj2EEffffjfiS5_IjLj3EEiiiiiiiiiiiliiliiiiil.private_seg_size, 0+max(.L_ZL14no_device_codePKciS0_iS0_.private_seg_size)
	.set _ZL15flash_attn_tileILi96ELi96ELi2ELi8ELb1EEvPKcS1_S1_S1_S1_PKiPfP15HIP_vector_typeIfLj2EEffffjfiS5_IjLj3EEiiiiiiiiiiiliiliiiiil.uses_vcc, or(1, .L_ZL14no_device_codePKciS0_iS0_.uses_vcc)
	.set _ZL15flash_attn_tileILi96ELi96ELi2ELi8ELb1EEvPKcS1_S1_S1_S1_PKiPfP15HIP_vector_typeIfLj2EEffffjfiS5_IjLj3EEiiiiiiiiiiiliiliiiiil.uses_flat_scratch, or(0, .L_ZL14no_device_codePKciS0_iS0_.uses_flat_scratch)
	.set _ZL15flash_attn_tileILi96ELi96ELi2ELi8ELb1EEvPKcS1_S1_S1_S1_PKiPfP15HIP_vector_typeIfLj2EEffffjfiS5_IjLj3EEiiiiiiiiiiiliiliiiiil.has_dyn_sized_stack, or(0, .L_ZL14no_device_codePKciS0_iS0_.has_dyn_sized_stack)
	.set _ZL15flash_attn_tileILi96ELi96ELi2ELi8ELb1EEvPKcS1_S1_S1_S1_PKiPfP15HIP_vector_typeIfLj2EEffffjfiS5_IjLj3EEiiiiiiiiiiiliiliiiiil.has_recursion, or(0, .L_ZL14no_device_codePKciS0_iS0_.has_recursion)
	.set _ZL15flash_attn_tileILi96ELi96ELi2ELi8ELb1EEvPKcS1_S1_S1_S1_PKiPfP15HIP_vector_typeIfLj2EEffffjfiS5_IjLj3EEiiiiiiiiiiiliiliiiiil.has_indirect_call, or(0, .L_ZL14no_device_codePKciS0_iS0_.has_indirect_call)
	.section	.AMDGPU.csdata,"",@progbits
; Kernel info:
; codeLenInByte = 32
; TotalNumSgprs: 36
; NumVgprs: 50
; ScratchSize: 16
; MemoryBound: 0
; FloatMode: 240
; IeeeMode: 1
; LDSByteSize: 0 bytes/workgroup (compile time only)
; SGPRBlocks: 0
; VGPRBlocks: 3
; NumSGPRsForWavesPerEU: 36
; NumVGPRsForWavesPerEU: 50
; NamedBarCnt: 0
; Occupancy: 16
; WaveLimiterHint : 1
; COMPUTE_PGM_RSRC2:SCRATCH_EN: 1
; COMPUTE_PGM_RSRC2:USER_SGPR: 2
; COMPUTE_PGM_RSRC2:TRAP_HANDLER: 0
; COMPUTE_PGM_RSRC2:TGID_X_EN: 1
; COMPUTE_PGM_RSRC2:TGID_Y_EN: 0
; COMPUTE_PGM_RSRC2:TGID_Z_EN: 0
; COMPUTE_PGM_RSRC2:TIDIG_COMP_CNT: 0
	.section	.text._ZL15flash_attn_tileILi96ELi96ELi1ELi8ELb1EEvPKcS1_S1_S1_S1_PKiPfP15HIP_vector_typeIfLj2EEffffjfiS5_IjLj3EEiiiiiiiiiiiliiliiiiil,"axG",@progbits,_ZL15flash_attn_tileILi96ELi96ELi1ELi8ELb1EEvPKcS1_S1_S1_S1_PKiPfP15HIP_vector_typeIfLj2EEffffjfiS5_IjLj3EEiiiiiiiiiiiliiliiiiil,comdat
	.globl	_ZL15flash_attn_tileILi96ELi96ELi1ELi8ELb1EEvPKcS1_S1_S1_S1_PKiPfP15HIP_vector_typeIfLj2EEffffjfiS5_IjLj3EEiiiiiiiiiiiliiliiiiil ; -- Begin function _ZL15flash_attn_tileILi96ELi96ELi1ELi8ELb1EEvPKcS1_S1_S1_S1_PKiPfP15HIP_vector_typeIfLj2EEffffjfiS5_IjLj3EEiiiiiiiiiiiliiliiiiil
	.p2align	8
	.type	_ZL15flash_attn_tileILi96ELi96ELi1ELi8ELb1EEvPKcS1_S1_S1_S1_PKiPfP15HIP_vector_typeIfLj2EEffffjfiS5_IjLj3EEiiiiiiiiiiiliiliiiiil,@function
_ZL15flash_attn_tileILi96ELi96ELi1ELi8ELb1EEvPKcS1_S1_S1_S1_PKiPfP15HIP_vector_typeIfLj2EEffffjfiS5_IjLj3EEiiiiiiiiiiiliiliiiiil: ; @_ZL15flash_attn_tileILi96ELi96ELi1ELi8ELb1EEvPKcS1_S1_S1_S1_PKiPfP15HIP_vector_typeIfLj2EEffffjfiS5_IjLj3EEiiiiiiiiiiiliiliiiiil
; %bb.0:
	s_get_pc_i64 s[2:3]
	s_add_nc_u64 s[2:3], s[2:3], _ZL14no_device_codePKciS0_iS0_@rel64+4
	s_add_nc_u64 s[8:9], s[0:1], 0xd0
	s_mov_b32 s32, 0
	s_swap_pc_i64 s[30:31], s[2:3]
	.section	.rodata,"a",@progbits
	.p2align	6, 0x0
	.amdhsa_kernel _ZL15flash_attn_tileILi96ELi96ELi1ELi8ELb1EEvPKcS1_S1_S1_S1_PKiPfP15HIP_vector_typeIfLj2EEffffjfiS5_IjLj3EEiiiiiiiiiiiliiliiiiil
		.amdhsa_group_segment_fixed_size 0
		.amdhsa_private_segment_fixed_size 16
		.amdhsa_kernarg_size 464
		.amdhsa_user_sgpr_count 2
		.amdhsa_user_sgpr_dispatch_ptr 0
		.amdhsa_user_sgpr_queue_ptr 0
		.amdhsa_user_sgpr_kernarg_segment_ptr 1
		.amdhsa_user_sgpr_dispatch_id 0
		.amdhsa_user_sgpr_kernarg_preload_length 0
		.amdhsa_user_sgpr_kernarg_preload_offset 0
		.amdhsa_user_sgpr_private_segment_size 0
		.amdhsa_wavefront_size32 1
		.amdhsa_uses_dynamic_stack 0
		.amdhsa_enable_private_segment 1
		.amdhsa_system_sgpr_workgroup_id_x 1
		.amdhsa_system_sgpr_workgroup_id_y 0
		.amdhsa_system_sgpr_workgroup_id_z 0
		.amdhsa_system_sgpr_workgroup_info 0
		.amdhsa_system_vgpr_workitem_id 0
		.amdhsa_next_free_vgpr 50
		.amdhsa_next_free_sgpr 34
		.amdhsa_named_barrier_count 0
		.amdhsa_reserve_vcc 1
		.amdhsa_float_round_mode_32 0
		.amdhsa_float_round_mode_16_64 0
		.amdhsa_float_denorm_mode_32 3
		.amdhsa_float_denorm_mode_16_64 3
		.amdhsa_fp16_overflow 0
		.amdhsa_memory_ordered 1
		.amdhsa_forward_progress 1
		.amdhsa_inst_pref_size 1
		.amdhsa_round_robin_scheduling 0
		.amdhsa_exception_fp_ieee_invalid_op 0
		.amdhsa_exception_fp_denorm_src 0
		.amdhsa_exception_fp_ieee_div_zero 0
		.amdhsa_exception_fp_ieee_overflow 0
		.amdhsa_exception_fp_ieee_underflow 0
		.amdhsa_exception_fp_ieee_inexact 0
		.amdhsa_exception_int_div_zero 0
	.end_amdhsa_kernel
	.section	.text._ZL15flash_attn_tileILi96ELi96ELi1ELi8ELb1EEvPKcS1_S1_S1_S1_PKiPfP15HIP_vector_typeIfLj2EEffffjfiS5_IjLj3EEiiiiiiiiiiiliiliiiiil,"axG",@progbits,_ZL15flash_attn_tileILi96ELi96ELi1ELi8ELb1EEvPKcS1_S1_S1_S1_PKiPfP15HIP_vector_typeIfLj2EEffffjfiS5_IjLj3EEiiiiiiiiiiiliiliiiiil,comdat
.Lfunc_end77:
	.size	_ZL15flash_attn_tileILi96ELi96ELi1ELi8ELb1EEvPKcS1_S1_S1_S1_PKiPfP15HIP_vector_typeIfLj2EEffffjfiS5_IjLj3EEiiiiiiiiiiiliiliiiiil, .Lfunc_end77-_ZL15flash_attn_tileILi96ELi96ELi1ELi8ELb1EEvPKcS1_S1_S1_S1_PKiPfP15HIP_vector_typeIfLj2EEffffjfiS5_IjLj3EEiiiiiiiiiiiliiliiiiil
                                        ; -- End function
	.set _ZL15flash_attn_tileILi96ELi96ELi1ELi8ELb1EEvPKcS1_S1_S1_S1_PKiPfP15HIP_vector_typeIfLj2EEffffjfiS5_IjLj3EEiiiiiiiiiiiliiliiiiil.num_vgpr, max(0, .L_ZL14no_device_codePKciS0_iS0_.num_vgpr)
	.set _ZL15flash_attn_tileILi96ELi96ELi1ELi8ELb1EEvPKcS1_S1_S1_S1_PKiPfP15HIP_vector_typeIfLj2EEffffjfiS5_IjLj3EEiiiiiiiiiiiliiliiiiil.num_agpr, max(0, .L_ZL14no_device_codePKciS0_iS0_.num_agpr)
	.set _ZL15flash_attn_tileILi96ELi96ELi1ELi8ELb1EEvPKcS1_S1_S1_S1_PKiPfP15HIP_vector_typeIfLj2EEffffjfiS5_IjLj3EEiiiiiiiiiiiliiliiiiil.numbered_sgpr, max(33, .L_ZL14no_device_codePKciS0_iS0_.numbered_sgpr)
	.set _ZL15flash_attn_tileILi96ELi96ELi1ELi8ELb1EEvPKcS1_S1_S1_S1_PKiPfP15HIP_vector_typeIfLj2EEffffjfiS5_IjLj3EEiiiiiiiiiiiliiliiiiil.num_named_barrier, max(0, .L_ZL14no_device_codePKciS0_iS0_.num_named_barrier)
	.set _ZL15flash_attn_tileILi96ELi96ELi1ELi8ELb1EEvPKcS1_S1_S1_S1_PKiPfP15HIP_vector_typeIfLj2EEffffjfiS5_IjLj3EEiiiiiiiiiiiliiliiiiil.private_seg_size, 0+max(.L_ZL14no_device_codePKciS0_iS0_.private_seg_size)
	.set _ZL15flash_attn_tileILi96ELi96ELi1ELi8ELb1EEvPKcS1_S1_S1_S1_PKiPfP15HIP_vector_typeIfLj2EEffffjfiS5_IjLj3EEiiiiiiiiiiiliiliiiiil.uses_vcc, or(1, .L_ZL14no_device_codePKciS0_iS0_.uses_vcc)
	.set _ZL15flash_attn_tileILi96ELi96ELi1ELi8ELb1EEvPKcS1_S1_S1_S1_PKiPfP15HIP_vector_typeIfLj2EEffffjfiS5_IjLj3EEiiiiiiiiiiiliiliiiiil.uses_flat_scratch, or(0, .L_ZL14no_device_codePKciS0_iS0_.uses_flat_scratch)
	.set _ZL15flash_attn_tileILi96ELi96ELi1ELi8ELb1EEvPKcS1_S1_S1_S1_PKiPfP15HIP_vector_typeIfLj2EEffffjfiS5_IjLj3EEiiiiiiiiiiiliiliiiiil.has_dyn_sized_stack, or(0, .L_ZL14no_device_codePKciS0_iS0_.has_dyn_sized_stack)
	.set _ZL15flash_attn_tileILi96ELi96ELi1ELi8ELb1EEvPKcS1_S1_S1_S1_PKiPfP15HIP_vector_typeIfLj2EEffffjfiS5_IjLj3EEiiiiiiiiiiiliiliiiiil.has_recursion, or(0, .L_ZL14no_device_codePKciS0_iS0_.has_recursion)
	.set _ZL15flash_attn_tileILi96ELi96ELi1ELi8ELb1EEvPKcS1_S1_S1_S1_PKiPfP15HIP_vector_typeIfLj2EEffffjfiS5_IjLj3EEiiiiiiiiiiiliiliiiiil.has_indirect_call, or(0, .L_ZL14no_device_codePKciS0_iS0_.has_indirect_call)
	.section	.AMDGPU.csdata,"",@progbits
; Kernel info:
; codeLenInByte = 32
; TotalNumSgprs: 36
; NumVgprs: 50
; ScratchSize: 16
; MemoryBound: 0
; FloatMode: 240
; IeeeMode: 1
; LDSByteSize: 0 bytes/workgroup (compile time only)
; SGPRBlocks: 0
; VGPRBlocks: 3
; NumSGPRsForWavesPerEU: 36
; NumVGPRsForWavesPerEU: 50
; NamedBarCnt: 0
; Occupancy: 16
; WaveLimiterHint : 1
; COMPUTE_PGM_RSRC2:SCRATCH_EN: 1
; COMPUTE_PGM_RSRC2:USER_SGPR: 2
; COMPUTE_PGM_RSRC2:TRAP_HANDLER: 0
; COMPUTE_PGM_RSRC2:TGID_X_EN: 1
; COMPUTE_PGM_RSRC2:TGID_Y_EN: 0
; COMPUTE_PGM_RSRC2:TGID_Z_EN: 0
; COMPUTE_PGM_RSRC2:TIDIG_COMP_CNT: 0
	.section	.text._ZL15flash_attn_tileILi96ELi96ELi16ELi4ELb1EEvPKcS1_S1_S1_S1_PKiPfP15HIP_vector_typeIfLj2EEffffjfiS5_IjLj3EEiiiiiiiiiiiliiliiiiil,"axG",@progbits,_ZL15flash_attn_tileILi96ELi96ELi16ELi4ELb1EEvPKcS1_S1_S1_S1_PKiPfP15HIP_vector_typeIfLj2EEffffjfiS5_IjLj3EEiiiiiiiiiiiliiliiiiil,comdat
	.globl	_ZL15flash_attn_tileILi96ELi96ELi16ELi4ELb1EEvPKcS1_S1_S1_S1_PKiPfP15HIP_vector_typeIfLj2EEffffjfiS5_IjLj3EEiiiiiiiiiiiliiliiiiil ; -- Begin function _ZL15flash_attn_tileILi96ELi96ELi16ELi4ELb1EEvPKcS1_S1_S1_S1_PKiPfP15HIP_vector_typeIfLj2EEffffjfiS5_IjLj3EEiiiiiiiiiiiliiliiiiil
	.p2align	8
	.type	_ZL15flash_attn_tileILi96ELi96ELi16ELi4ELb1EEvPKcS1_S1_S1_S1_PKiPfP15HIP_vector_typeIfLj2EEffffjfiS5_IjLj3EEiiiiiiiiiiiliiliiiiil,@function
_ZL15flash_attn_tileILi96ELi96ELi16ELi4ELb1EEvPKcS1_S1_S1_S1_PKiPfP15HIP_vector_typeIfLj2EEffffjfiS5_IjLj3EEiiiiiiiiiiiliiliiiiil: ; @_ZL15flash_attn_tileILi96ELi96ELi16ELi4ELb1EEvPKcS1_S1_S1_S1_PKiPfP15HIP_vector_typeIfLj2EEffffjfiS5_IjLj3EEiiiiiiiiiiiliiliiiiil
; %bb.0:
	s_get_pc_i64 s[2:3]
	s_add_nc_u64 s[2:3], s[2:3], _ZL14no_device_codePKciS0_iS0_@rel64+4
	s_add_nc_u64 s[8:9], s[0:1], 0xd0
	s_mov_b32 s32, 0
	s_swap_pc_i64 s[30:31], s[2:3]
	.section	.rodata,"a",@progbits
	.p2align	6, 0x0
	.amdhsa_kernel _ZL15flash_attn_tileILi96ELi96ELi16ELi4ELb1EEvPKcS1_S1_S1_S1_PKiPfP15HIP_vector_typeIfLj2EEffffjfiS5_IjLj3EEiiiiiiiiiiiliiliiiiil
		.amdhsa_group_segment_fixed_size 0
		.amdhsa_private_segment_fixed_size 16
		.amdhsa_kernarg_size 464
		.amdhsa_user_sgpr_count 2
		.amdhsa_user_sgpr_dispatch_ptr 0
		.amdhsa_user_sgpr_queue_ptr 0
		.amdhsa_user_sgpr_kernarg_segment_ptr 1
		.amdhsa_user_sgpr_dispatch_id 0
		.amdhsa_user_sgpr_kernarg_preload_length 0
		.amdhsa_user_sgpr_kernarg_preload_offset 0
		.amdhsa_user_sgpr_private_segment_size 0
		.amdhsa_wavefront_size32 1
		.amdhsa_uses_dynamic_stack 0
		.amdhsa_enable_private_segment 1
		.amdhsa_system_sgpr_workgroup_id_x 1
		.amdhsa_system_sgpr_workgroup_id_y 0
		.amdhsa_system_sgpr_workgroup_id_z 0
		.amdhsa_system_sgpr_workgroup_info 0
		.amdhsa_system_vgpr_workitem_id 0
		.amdhsa_next_free_vgpr 50
		.amdhsa_next_free_sgpr 34
		.amdhsa_named_barrier_count 0
		.amdhsa_reserve_vcc 1
		.amdhsa_float_round_mode_32 0
		.amdhsa_float_round_mode_16_64 0
		.amdhsa_float_denorm_mode_32 3
		.amdhsa_float_denorm_mode_16_64 3
		.amdhsa_fp16_overflow 0
		.amdhsa_memory_ordered 1
		.amdhsa_forward_progress 1
		.amdhsa_inst_pref_size 1
		.amdhsa_round_robin_scheduling 0
		.amdhsa_exception_fp_ieee_invalid_op 0
		.amdhsa_exception_fp_denorm_src 0
		.amdhsa_exception_fp_ieee_div_zero 0
		.amdhsa_exception_fp_ieee_overflow 0
		.amdhsa_exception_fp_ieee_underflow 0
		.amdhsa_exception_fp_ieee_inexact 0
		.amdhsa_exception_int_div_zero 0
	.end_amdhsa_kernel
	.section	.text._ZL15flash_attn_tileILi96ELi96ELi16ELi4ELb1EEvPKcS1_S1_S1_S1_PKiPfP15HIP_vector_typeIfLj2EEffffjfiS5_IjLj3EEiiiiiiiiiiiliiliiiiil,"axG",@progbits,_ZL15flash_attn_tileILi96ELi96ELi16ELi4ELb1EEvPKcS1_S1_S1_S1_PKiPfP15HIP_vector_typeIfLj2EEffffjfiS5_IjLj3EEiiiiiiiiiiiliiliiiiil,comdat
.Lfunc_end78:
	.size	_ZL15flash_attn_tileILi96ELi96ELi16ELi4ELb1EEvPKcS1_S1_S1_S1_PKiPfP15HIP_vector_typeIfLj2EEffffjfiS5_IjLj3EEiiiiiiiiiiiliiliiiiil, .Lfunc_end78-_ZL15flash_attn_tileILi96ELi96ELi16ELi4ELb1EEvPKcS1_S1_S1_S1_PKiPfP15HIP_vector_typeIfLj2EEffffjfiS5_IjLj3EEiiiiiiiiiiiliiliiiiil
                                        ; -- End function
	.set _ZL15flash_attn_tileILi96ELi96ELi16ELi4ELb1EEvPKcS1_S1_S1_S1_PKiPfP15HIP_vector_typeIfLj2EEffffjfiS5_IjLj3EEiiiiiiiiiiiliiliiiiil.num_vgpr, max(0, .L_ZL14no_device_codePKciS0_iS0_.num_vgpr)
	.set _ZL15flash_attn_tileILi96ELi96ELi16ELi4ELb1EEvPKcS1_S1_S1_S1_PKiPfP15HIP_vector_typeIfLj2EEffffjfiS5_IjLj3EEiiiiiiiiiiiliiliiiiil.num_agpr, max(0, .L_ZL14no_device_codePKciS0_iS0_.num_agpr)
	.set _ZL15flash_attn_tileILi96ELi96ELi16ELi4ELb1EEvPKcS1_S1_S1_S1_PKiPfP15HIP_vector_typeIfLj2EEffffjfiS5_IjLj3EEiiiiiiiiiiiliiliiiiil.numbered_sgpr, max(33, .L_ZL14no_device_codePKciS0_iS0_.numbered_sgpr)
	.set _ZL15flash_attn_tileILi96ELi96ELi16ELi4ELb1EEvPKcS1_S1_S1_S1_PKiPfP15HIP_vector_typeIfLj2EEffffjfiS5_IjLj3EEiiiiiiiiiiiliiliiiiil.num_named_barrier, max(0, .L_ZL14no_device_codePKciS0_iS0_.num_named_barrier)
	.set _ZL15flash_attn_tileILi96ELi96ELi16ELi4ELb1EEvPKcS1_S1_S1_S1_PKiPfP15HIP_vector_typeIfLj2EEffffjfiS5_IjLj3EEiiiiiiiiiiiliiliiiiil.private_seg_size, 0+max(.L_ZL14no_device_codePKciS0_iS0_.private_seg_size)
	.set _ZL15flash_attn_tileILi96ELi96ELi16ELi4ELb1EEvPKcS1_S1_S1_S1_PKiPfP15HIP_vector_typeIfLj2EEffffjfiS5_IjLj3EEiiiiiiiiiiiliiliiiiil.uses_vcc, or(1, .L_ZL14no_device_codePKciS0_iS0_.uses_vcc)
	.set _ZL15flash_attn_tileILi96ELi96ELi16ELi4ELb1EEvPKcS1_S1_S1_S1_PKiPfP15HIP_vector_typeIfLj2EEffffjfiS5_IjLj3EEiiiiiiiiiiiliiliiiiil.uses_flat_scratch, or(0, .L_ZL14no_device_codePKciS0_iS0_.uses_flat_scratch)
	.set _ZL15flash_attn_tileILi96ELi96ELi16ELi4ELb1EEvPKcS1_S1_S1_S1_PKiPfP15HIP_vector_typeIfLj2EEffffjfiS5_IjLj3EEiiiiiiiiiiiliiliiiiil.has_dyn_sized_stack, or(0, .L_ZL14no_device_codePKciS0_iS0_.has_dyn_sized_stack)
	.set _ZL15flash_attn_tileILi96ELi96ELi16ELi4ELb1EEvPKcS1_S1_S1_S1_PKiPfP15HIP_vector_typeIfLj2EEffffjfiS5_IjLj3EEiiiiiiiiiiiliiliiiiil.has_recursion, or(0, .L_ZL14no_device_codePKciS0_iS0_.has_recursion)
	.set _ZL15flash_attn_tileILi96ELi96ELi16ELi4ELb1EEvPKcS1_S1_S1_S1_PKiPfP15HIP_vector_typeIfLj2EEffffjfiS5_IjLj3EEiiiiiiiiiiiliiliiiiil.has_indirect_call, or(0, .L_ZL14no_device_codePKciS0_iS0_.has_indirect_call)
	.section	.AMDGPU.csdata,"",@progbits
; Kernel info:
; codeLenInByte = 32
; TotalNumSgprs: 36
; NumVgprs: 50
; ScratchSize: 16
; MemoryBound: 0
; FloatMode: 240
; IeeeMode: 1
; LDSByteSize: 0 bytes/workgroup (compile time only)
; SGPRBlocks: 0
; VGPRBlocks: 3
; NumSGPRsForWavesPerEU: 36
; NumVGPRsForWavesPerEU: 50
; NamedBarCnt: 0
; Occupancy: 16
; WaveLimiterHint : 1
; COMPUTE_PGM_RSRC2:SCRATCH_EN: 1
; COMPUTE_PGM_RSRC2:USER_SGPR: 2
; COMPUTE_PGM_RSRC2:TRAP_HANDLER: 0
; COMPUTE_PGM_RSRC2:TGID_X_EN: 1
; COMPUTE_PGM_RSRC2:TGID_Y_EN: 0
; COMPUTE_PGM_RSRC2:TGID_Z_EN: 0
; COMPUTE_PGM_RSRC2:TIDIG_COMP_CNT: 0
	.section	.text._ZL15flash_attn_tileILi96ELi96ELi8ELi4ELb1EEvPKcS1_S1_S1_S1_PKiPfP15HIP_vector_typeIfLj2EEffffjfiS5_IjLj3EEiiiiiiiiiiiliiliiiiil,"axG",@progbits,_ZL15flash_attn_tileILi96ELi96ELi8ELi4ELb1EEvPKcS1_S1_S1_S1_PKiPfP15HIP_vector_typeIfLj2EEffffjfiS5_IjLj3EEiiiiiiiiiiiliiliiiiil,comdat
	.globl	_ZL15flash_attn_tileILi96ELi96ELi8ELi4ELb1EEvPKcS1_S1_S1_S1_PKiPfP15HIP_vector_typeIfLj2EEffffjfiS5_IjLj3EEiiiiiiiiiiiliiliiiiil ; -- Begin function _ZL15flash_attn_tileILi96ELi96ELi8ELi4ELb1EEvPKcS1_S1_S1_S1_PKiPfP15HIP_vector_typeIfLj2EEffffjfiS5_IjLj3EEiiiiiiiiiiiliiliiiiil
	.p2align	8
	.type	_ZL15flash_attn_tileILi96ELi96ELi8ELi4ELb1EEvPKcS1_S1_S1_S1_PKiPfP15HIP_vector_typeIfLj2EEffffjfiS5_IjLj3EEiiiiiiiiiiiliiliiiiil,@function
_ZL15flash_attn_tileILi96ELi96ELi8ELi4ELb1EEvPKcS1_S1_S1_S1_PKiPfP15HIP_vector_typeIfLj2EEffffjfiS5_IjLj3EEiiiiiiiiiiiliiliiiiil: ; @_ZL15flash_attn_tileILi96ELi96ELi8ELi4ELb1EEvPKcS1_S1_S1_S1_PKiPfP15HIP_vector_typeIfLj2EEffffjfiS5_IjLj3EEiiiiiiiiiiiliiliiiiil
; %bb.0:
	s_get_pc_i64 s[2:3]
	s_add_nc_u64 s[2:3], s[2:3], _ZL14no_device_codePKciS0_iS0_@rel64+4
	s_add_nc_u64 s[8:9], s[0:1], 0xd0
	s_mov_b32 s32, 0
	s_swap_pc_i64 s[30:31], s[2:3]
	.section	.rodata,"a",@progbits
	.p2align	6, 0x0
	.amdhsa_kernel _ZL15flash_attn_tileILi96ELi96ELi8ELi4ELb1EEvPKcS1_S1_S1_S1_PKiPfP15HIP_vector_typeIfLj2EEffffjfiS5_IjLj3EEiiiiiiiiiiiliiliiiiil
		.amdhsa_group_segment_fixed_size 0
		.amdhsa_private_segment_fixed_size 16
		.amdhsa_kernarg_size 464
		.amdhsa_user_sgpr_count 2
		.amdhsa_user_sgpr_dispatch_ptr 0
		.amdhsa_user_sgpr_queue_ptr 0
		.amdhsa_user_sgpr_kernarg_segment_ptr 1
		.amdhsa_user_sgpr_dispatch_id 0
		.amdhsa_user_sgpr_kernarg_preload_length 0
		.amdhsa_user_sgpr_kernarg_preload_offset 0
		.amdhsa_user_sgpr_private_segment_size 0
		.amdhsa_wavefront_size32 1
		.amdhsa_uses_dynamic_stack 0
		.amdhsa_enable_private_segment 1
		.amdhsa_system_sgpr_workgroup_id_x 1
		.amdhsa_system_sgpr_workgroup_id_y 0
		.amdhsa_system_sgpr_workgroup_id_z 0
		.amdhsa_system_sgpr_workgroup_info 0
		.amdhsa_system_vgpr_workitem_id 0
		.amdhsa_next_free_vgpr 50
		.amdhsa_next_free_sgpr 34
		.amdhsa_named_barrier_count 0
		.amdhsa_reserve_vcc 1
		.amdhsa_float_round_mode_32 0
		.amdhsa_float_round_mode_16_64 0
		.amdhsa_float_denorm_mode_32 3
		.amdhsa_float_denorm_mode_16_64 3
		.amdhsa_fp16_overflow 0
		.amdhsa_memory_ordered 1
		.amdhsa_forward_progress 1
		.amdhsa_inst_pref_size 1
		.amdhsa_round_robin_scheduling 0
		.amdhsa_exception_fp_ieee_invalid_op 0
		.amdhsa_exception_fp_denorm_src 0
		.amdhsa_exception_fp_ieee_div_zero 0
		.amdhsa_exception_fp_ieee_overflow 0
		.amdhsa_exception_fp_ieee_underflow 0
		.amdhsa_exception_fp_ieee_inexact 0
		.amdhsa_exception_int_div_zero 0
	.end_amdhsa_kernel
	.section	.text._ZL15flash_attn_tileILi96ELi96ELi8ELi4ELb1EEvPKcS1_S1_S1_S1_PKiPfP15HIP_vector_typeIfLj2EEffffjfiS5_IjLj3EEiiiiiiiiiiiliiliiiiil,"axG",@progbits,_ZL15flash_attn_tileILi96ELi96ELi8ELi4ELb1EEvPKcS1_S1_S1_S1_PKiPfP15HIP_vector_typeIfLj2EEffffjfiS5_IjLj3EEiiiiiiiiiiiliiliiiiil,comdat
.Lfunc_end79:
	.size	_ZL15flash_attn_tileILi96ELi96ELi8ELi4ELb1EEvPKcS1_S1_S1_S1_PKiPfP15HIP_vector_typeIfLj2EEffffjfiS5_IjLj3EEiiiiiiiiiiiliiliiiiil, .Lfunc_end79-_ZL15flash_attn_tileILi96ELi96ELi8ELi4ELb1EEvPKcS1_S1_S1_S1_PKiPfP15HIP_vector_typeIfLj2EEffffjfiS5_IjLj3EEiiiiiiiiiiiliiliiiiil
                                        ; -- End function
	.set _ZL15flash_attn_tileILi96ELi96ELi8ELi4ELb1EEvPKcS1_S1_S1_S1_PKiPfP15HIP_vector_typeIfLj2EEffffjfiS5_IjLj3EEiiiiiiiiiiiliiliiiiil.num_vgpr, max(0, .L_ZL14no_device_codePKciS0_iS0_.num_vgpr)
	.set _ZL15flash_attn_tileILi96ELi96ELi8ELi4ELb1EEvPKcS1_S1_S1_S1_PKiPfP15HIP_vector_typeIfLj2EEffffjfiS5_IjLj3EEiiiiiiiiiiiliiliiiiil.num_agpr, max(0, .L_ZL14no_device_codePKciS0_iS0_.num_agpr)
	.set _ZL15flash_attn_tileILi96ELi96ELi8ELi4ELb1EEvPKcS1_S1_S1_S1_PKiPfP15HIP_vector_typeIfLj2EEffffjfiS5_IjLj3EEiiiiiiiiiiiliiliiiiil.numbered_sgpr, max(33, .L_ZL14no_device_codePKciS0_iS0_.numbered_sgpr)
	.set _ZL15flash_attn_tileILi96ELi96ELi8ELi4ELb1EEvPKcS1_S1_S1_S1_PKiPfP15HIP_vector_typeIfLj2EEffffjfiS5_IjLj3EEiiiiiiiiiiiliiliiiiil.num_named_barrier, max(0, .L_ZL14no_device_codePKciS0_iS0_.num_named_barrier)
	.set _ZL15flash_attn_tileILi96ELi96ELi8ELi4ELb1EEvPKcS1_S1_S1_S1_PKiPfP15HIP_vector_typeIfLj2EEffffjfiS5_IjLj3EEiiiiiiiiiiiliiliiiiil.private_seg_size, 0+max(.L_ZL14no_device_codePKciS0_iS0_.private_seg_size)
	.set _ZL15flash_attn_tileILi96ELi96ELi8ELi4ELb1EEvPKcS1_S1_S1_S1_PKiPfP15HIP_vector_typeIfLj2EEffffjfiS5_IjLj3EEiiiiiiiiiiiliiliiiiil.uses_vcc, or(1, .L_ZL14no_device_codePKciS0_iS0_.uses_vcc)
	.set _ZL15flash_attn_tileILi96ELi96ELi8ELi4ELb1EEvPKcS1_S1_S1_S1_PKiPfP15HIP_vector_typeIfLj2EEffffjfiS5_IjLj3EEiiiiiiiiiiiliiliiiiil.uses_flat_scratch, or(0, .L_ZL14no_device_codePKciS0_iS0_.uses_flat_scratch)
	.set _ZL15flash_attn_tileILi96ELi96ELi8ELi4ELb1EEvPKcS1_S1_S1_S1_PKiPfP15HIP_vector_typeIfLj2EEffffjfiS5_IjLj3EEiiiiiiiiiiiliiliiiiil.has_dyn_sized_stack, or(0, .L_ZL14no_device_codePKciS0_iS0_.has_dyn_sized_stack)
	.set _ZL15flash_attn_tileILi96ELi96ELi8ELi4ELb1EEvPKcS1_S1_S1_S1_PKiPfP15HIP_vector_typeIfLj2EEffffjfiS5_IjLj3EEiiiiiiiiiiiliiliiiiil.has_recursion, or(0, .L_ZL14no_device_codePKciS0_iS0_.has_recursion)
	.set _ZL15flash_attn_tileILi96ELi96ELi8ELi4ELb1EEvPKcS1_S1_S1_S1_PKiPfP15HIP_vector_typeIfLj2EEffffjfiS5_IjLj3EEiiiiiiiiiiiliiliiiiil.has_indirect_call, or(0, .L_ZL14no_device_codePKciS0_iS0_.has_indirect_call)
	.section	.AMDGPU.csdata,"",@progbits
; Kernel info:
; codeLenInByte = 32
; TotalNumSgprs: 36
; NumVgprs: 50
; ScratchSize: 16
; MemoryBound: 0
; FloatMode: 240
; IeeeMode: 1
; LDSByteSize: 0 bytes/workgroup (compile time only)
; SGPRBlocks: 0
; VGPRBlocks: 3
; NumSGPRsForWavesPerEU: 36
; NumVGPRsForWavesPerEU: 50
; NamedBarCnt: 0
; Occupancy: 16
; WaveLimiterHint : 1
; COMPUTE_PGM_RSRC2:SCRATCH_EN: 1
; COMPUTE_PGM_RSRC2:USER_SGPR: 2
; COMPUTE_PGM_RSRC2:TRAP_HANDLER: 0
; COMPUTE_PGM_RSRC2:TGID_X_EN: 1
; COMPUTE_PGM_RSRC2:TGID_Y_EN: 0
; COMPUTE_PGM_RSRC2:TGID_Z_EN: 0
; COMPUTE_PGM_RSRC2:TIDIG_COMP_CNT: 0
	.section	.text._ZL15flash_attn_tileILi96ELi96ELi4ELi4ELb1EEvPKcS1_S1_S1_S1_PKiPfP15HIP_vector_typeIfLj2EEffffjfiS5_IjLj3EEiiiiiiiiiiiliiliiiiil,"axG",@progbits,_ZL15flash_attn_tileILi96ELi96ELi4ELi4ELb1EEvPKcS1_S1_S1_S1_PKiPfP15HIP_vector_typeIfLj2EEffffjfiS5_IjLj3EEiiiiiiiiiiiliiliiiiil,comdat
	.globl	_ZL15flash_attn_tileILi96ELi96ELi4ELi4ELb1EEvPKcS1_S1_S1_S1_PKiPfP15HIP_vector_typeIfLj2EEffffjfiS5_IjLj3EEiiiiiiiiiiiliiliiiiil ; -- Begin function _ZL15flash_attn_tileILi96ELi96ELi4ELi4ELb1EEvPKcS1_S1_S1_S1_PKiPfP15HIP_vector_typeIfLj2EEffffjfiS5_IjLj3EEiiiiiiiiiiiliiliiiiil
	.p2align	8
	.type	_ZL15flash_attn_tileILi96ELi96ELi4ELi4ELb1EEvPKcS1_S1_S1_S1_PKiPfP15HIP_vector_typeIfLj2EEffffjfiS5_IjLj3EEiiiiiiiiiiiliiliiiiil,@function
_ZL15flash_attn_tileILi96ELi96ELi4ELi4ELb1EEvPKcS1_S1_S1_S1_PKiPfP15HIP_vector_typeIfLj2EEffffjfiS5_IjLj3EEiiiiiiiiiiiliiliiiiil: ; @_ZL15flash_attn_tileILi96ELi96ELi4ELi4ELb1EEvPKcS1_S1_S1_S1_PKiPfP15HIP_vector_typeIfLj2EEffffjfiS5_IjLj3EEiiiiiiiiiiiliiliiiiil
; %bb.0:
	s_get_pc_i64 s[2:3]
	s_add_nc_u64 s[2:3], s[2:3], _ZL14no_device_codePKciS0_iS0_@rel64+4
	s_add_nc_u64 s[8:9], s[0:1], 0xd0
	s_mov_b32 s32, 0
	s_swap_pc_i64 s[30:31], s[2:3]
	.section	.rodata,"a",@progbits
	.p2align	6, 0x0
	.amdhsa_kernel _ZL15flash_attn_tileILi96ELi96ELi4ELi4ELb1EEvPKcS1_S1_S1_S1_PKiPfP15HIP_vector_typeIfLj2EEffffjfiS5_IjLj3EEiiiiiiiiiiiliiliiiiil
		.amdhsa_group_segment_fixed_size 0
		.amdhsa_private_segment_fixed_size 16
		.amdhsa_kernarg_size 464
		.amdhsa_user_sgpr_count 2
		.amdhsa_user_sgpr_dispatch_ptr 0
		.amdhsa_user_sgpr_queue_ptr 0
		.amdhsa_user_sgpr_kernarg_segment_ptr 1
		.amdhsa_user_sgpr_dispatch_id 0
		.amdhsa_user_sgpr_kernarg_preload_length 0
		.amdhsa_user_sgpr_kernarg_preload_offset 0
		.amdhsa_user_sgpr_private_segment_size 0
		.amdhsa_wavefront_size32 1
		.amdhsa_uses_dynamic_stack 0
		.amdhsa_enable_private_segment 1
		.amdhsa_system_sgpr_workgroup_id_x 1
		.amdhsa_system_sgpr_workgroup_id_y 0
		.amdhsa_system_sgpr_workgroup_id_z 0
		.amdhsa_system_sgpr_workgroup_info 0
		.amdhsa_system_vgpr_workitem_id 0
		.amdhsa_next_free_vgpr 50
		.amdhsa_next_free_sgpr 34
		.amdhsa_named_barrier_count 0
		.amdhsa_reserve_vcc 1
		.amdhsa_float_round_mode_32 0
		.amdhsa_float_round_mode_16_64 0
		.amdhsa_float_denorm_mode_32 3
		.amdhsa_float_denorm_mode_16_64 3
		.amdhsa_fp16_overflow 0
		.amdhsa_memory_ordered 1
		.amdhsa_forward_progress 1
		.amdhsa_inst_pref_size 1
		.amdhsa_round_robin_scheduling 0
		.amdhsa_exception_fp_ieee_invalid_op 0
		.amdhsa_exception_fp_denorm_src 0
		.amdhsa_exception_fp_ieee_div_zero 0
		.amdhsa_exception_fp_ieee_overflow 0
		.amdhsa_exception_fp_ieee_underflow 0
		.amdhsa_exception_fp_ieee_inexact 0
		.amdhsa_exception_int_div_zero 0
	.end_amdhsa_kernel
	.section	.text._ZL15flash_attn_tileILi96ELi96ELi4ELi4ELb1EEvPKcS1_S1_S1_S1_PKiPfP15HIP_vector_typeIfLj2EEffffjfiS5_IjLj3EEiiiiiiiiiiiliiliiiiil,"axG",@progbits,_ZL15flash_attn_tileILi96ELi96ELi4ELi4ELb1EEvPKcS1_S1_S1_S1_PKiPfP15HIP_vector_typeIfLj2EEffffjfiS5_IjLj3EEiiiiiiiiiiiliiliiiiil,comdat
.Lfunc_end80:
	.size	_ZL15flash_attn_tileILi96ELi96ELi4ELi4ELb1EEvPKcS1_S1_S1_S1_PKiPfP15HIP_vector_typeIfLj2EEffffjfiS5_IjLj3EEiiiiiiiiiiiliiliiiiil, .Lfunc_end80-_ZL15flash_attn_tileILi96ELi96ELi4ELi4ELb1EEvPKcS1_S1_S1_S1_PKiPfP15HIP_vector_typeIfLj2EEffffjfiS5_IjLj3EEiiiiiiiiiiiliiliiiiil
                                        ; -- End function
	.set _ZL15flash_attn_tileILi96ELi96ELi4ELi4ELb1EEvPKcS1_S1_S1_S1_PKiPfP15HIP_vector_typeIfLj2EEffffjfiS5_IjLj3EEiiiiiiiiiiiliiliiiiil.num_vgpr, max(0, .L_ZL14no_device_codePKciS0_iS0_.num_vgpr)
	.set _ZL15flash_attn_tileILi96ELi96ELi4ELi4ELb1EEvPKcS1_S1_S1_S1_PKiPfP15HIP_vector_typeIfLj2EEffffjfiS5_IjLj3EEiiiiiiiiiiiliiliiiiil.num_agpr, max(0, .L_ZL14no_device_codePKciS0_iS0_.num_agpr)
	.set _ZL15flash_attn_tileILi96ELi96ELi4ELi4ELb1EEvPKcS1_S1_S1_S1_PKiPfP15HIP_vector_typeIfLj2EEffffjfiS5_IjLj3EEiiiiiiiiiiiliiliiiiil.numbered_sgpr, max(33, .L_ZL14no_device_codePKciS0_iS0_.numbered_sgpr)
	.set _ZL15flash_attn_tileILi96ELi96ELi4ELi4ELb1EEvPKcS1_S1_S1_S1_PKiPfP15HIP_vector_typeIfLj2EEffffjfiS5_IjLj3EEiiiiiiiiiiiliiliiiiil.num_named_barrier, max(0, .L_ZL14no_device_codePKciS0_iS0_.num_named_barrier)
	.set _ZL15flash_attn_tileILi96ELi96ELi4ELi4ELb1EEvPKcS1_S1_S1_S1_PKiPfP15HIP_vector_typeIfLj2EEffffjfiS5_IjLj3EEiiiiiiiiiiiliiliiiiil.private_seg_size, 0+max(.L_ZL14no_device_codePKciS0_iS0_.private_seg_size)
	.set _ZL15flash_attn_tileILi96ELi96ELi4ELi4ELb1EEvPKcS1_S1_S1_S1_PKiPfP15HIP_vector_typeIfLj2EEffffjfiS5_IjLj3EEiiiiiiiiiiiliiliiiiil.uses_vcc, or(1, .L_ZL14no_device_codePKciS0_iS0_.uses_vcc)
	.set _ZL15flash_attn_tileILi96ELi96ELi4ELi4ELb1EEvPKcS1_S1_S1_S1_PKiPfP15HIP_vector_typeIfLj2EEffffjfiS5_IjLj3EEiiiiiiiiiiiliiliiiiil.uses_flat_scratch, or(0, .L_ZL14no_device_codePKciS0_iS0_.uses_flat_scratch)
	.set _ZL15flash_attn_tileILi96ELi96ELi4ELi4ELb1EEvPKcS1_S1_S1_S1_PKiPfP15HIP_vector_typeIfLj2EEffffjfiS5_IjLj3EEiiiiiiiiiiiliiliiiiil.has_dyn_sized_stack, or(0, .L_ZL14no_device_codePKciS0_iS0_.has_dyn_sized_stack)
	.set _ZL15flash_attn_tileILi96ELi96ELi4ELi4ELb1EEvPKcS1_S1_S1_S1_PKiPfP15HIP_vector_typeIfLj2EEffffjfiS5_IjLj3EEiiiiiiiiiiiliiliiiiil.has_recursion, or(0, .L_ZL14no_device_codePKciS0_iS0_.has_recursion)
	.set _ZL15flash_attn_tileILi96ELi96ELi4ELi4ELb1EEvPKcS1_S1_S1_S1_PKiPfP15HIP_vector_typeIfLj2EEffffjfiS5_IjLj3EEiiiiiiiiiiiliiliiiiil.has_indirect_call, or(0, .L_ZL14no_device_codePKciS0_iS0_.has_indirect_call)
	.section	.AMDGPU.csdata,"",@progbits
; Kernel info:
; codeLenInByte = 32
; TotalNumSgprs: 36
; NumVgprs: 50
; ScratchSize: 16
; MemoryBound: 0
; FloatMode: 240
; IeeeMode: 1
; LDSByteSize: 0 bytes/workgroup (compile time only)
; SGPRBlocks: 0
; VGPRBlocks: 3
; NumSGPRsForWavesPerEU: 36
; NumVGPRsForWavesPerEU: 50
; NamedBarCnt: 0
; Occupancy: 16
; WaveLimiterHint : 1
; COMPUTE_PGM_RSRC2:SCRATCH_EN: 1
; COMPUTE_PGM_RSRC2:USER_SGPR: 2
; COMPUTE_PGM_RSRC2:TRAP_HANDLER: 0
; COMPUTE_PGM_RSRC2:TGID_X_EN: 1
; COMPUTE_PGM_RSRC2:TGID_Y_EN: 0
; COMPUTE_PGM_RSRC2:TGID_Z_EN: 0
; COMPUTE_PGM_RSRC2:TIDIG_COMP_CNT: 0
	.section	.text._ZL15flash_attn_tileILi96ELi96ELi2ELi4ELb1EEvPKcS1_S1_S1_S1_PKiPfP15HIP_vector_typeIfLj2EEffffjfiS5_IjLj3EEiiiiiiiiiiiliiliiiiil,"axG",@progbits,_ZL15flash_attn_tileILi96ELi96ELi2ELi4ELb1EEvPKcS1_S1_S1_S1_PKiPfP15HIP_vector_typeIfLj2EEffffjfiS5_IjLj3EEiiiiiiiiiiiliiliiiiil,comdat
	.globl	_ZL15flash_attn_tileILi96ELi96ELi2ELi4ELb1EEvPKcS1_S1_S1_S1_PKiPfP15HIP_vector_typeIfLj2EEffffjfiS5_IjLj3EEiiiiiiiiiiiliiliiiiil ; -- Begin function _ZL15flash_attn_tileILi96ELi96ELi2ELi4ELb1EEvPKcS1_S1_S1_S1_PKiPfP15HIP_vector_typeIfLj2EEffffjfiS5_IjLj3EEiiiiiiiiiiiliiliiiiil
	.p2align	8
	.type	_ZL15flash_attn_tileILi96ELi96ELi2ELi4ELb1EEvPKcS1_S1_S1_S1_PKiPfP15HIP_vector_typeIfLj2EEffffjfiS5_IjLj3EEiiiiiiiiiiiliiliiiiil,@function
_ZL15flash_attn_tileILi96ELi96ELi2ELi4ELb1EEvPKcS1_S1_S1_S1_PKiPfP15HIP_vector_typeIfLj2EEffffjfiS5_IjLj3EEiiiiiiiiiiiliiliiiiil: ; @_ZL15flash_attn_tileILi96ELi96ELi2ELi4ELb1EEvPKcS1_S1_S1_S1_PKiPfP15HIP_vector_typeIfLj2EEffffjfiS5_IjLj3EEiiiiiiiiiiiliiliiiiil
; %bb.0:
	s_get_pc_i64 s[2:3]
	s_add_nc_u64 s[2:3], s[2:3], _ZL14no_device_codePKciS0_iS0_@rel64+4
	s_add_nc_u64 s[8:9], s[0:1], 0xd0
	s_mov_b32 s32, 0
	s_swap_pc_i64 s[30:31], s[2:3]
	.section	.rodata,"a",@progbits
	.p2align	6, 0x0
	.amdhsa_kernel _ZL15flash_attn_tileILi96ELi96ELi2ELi4ELb1EEvPKcS1_S1_S1_S1_PKiPfP15HIP_vector_typeIfLj2EEffffjfiS5_IjLj3EEiiiiiiiiiiiliiliiiiil
		.amdhsa_group_segment_fixed_size 0
		.amdhsa_private_segment_fixed_size 16
		.amdhsa_kernarg_size 464
		.amdhsa_user_sgpr_count 2
		.amdhsa_user_sgpr_dispatch_ptr 0
		.amdhsa_user_sgpr_queue_ptr 0
		.amdhsa_user_sgpr_kernarg_segment_ptr 1
		.amdhsa_user_sgpr_dispatch_id 0
		.amdhsa_user_sgpr_kernarg_preload_length 0
		.amdhsa_user_sgpr_kernarg_preload_offset 0
		.amdhsa_user_sgpr_private_segment_size 0
		.amdhsa_wavefront_size32 1
		.amdhsa_uses_dynamic_stack 0
		.amdhsa_enable_private_segment 1
		.amdhsa_system_sgpr_workgroup_id_x 1
		.amdhsa_system_sgpr_workgroup_id_y 0
		.amdhsa_system_sgpr_workgroup_id_z 0
		.amdhsa_system_sgpr_workgroup_info 0
		.amdhsa_system_vgpr_workitem_id 0
		.amdhsa_next_free_vgpr 50
		.amdhsa_next_free_sgpr 34
		.amdhsa_named_barrier_count 0
		.amdhsa_reserve_vcc 1
		.amdhsa_float_round_mode_32 0
		.amdhsa_float_round_mode_16_64 0
		.amdhsa_float_denorm_mode_32 3
		.amdhsa_float_denorm_mode_16_64 3
		.amdhsa_fp16_overflow 0
		.amdhsa_memory_ordered 1
		.amdhsa_forward_progress 1
		.amdhsa_inst_pref_size 1
		.amdhsa_round_robin_scheduling 0
		.amdhsa_exception_fp_ieee_invalid_op 0
		.amdhsa_exception_fp_denorm_src 0
		.amdhsa_exception_fp_ieee_div_zero 0
		.amdhsa_exception_fp_ieee_overflow 0
		.amdhsa_exception_fp_ieee_underflow 0
		.amdhsa_exception_fp_ieee_inexact 0
		.amdhsa_exception_int_div_zero 0
	.end_amdhsa_kernel
	.section	.text._ZL15flash_attn_tileILi96ELi96ELi2ELi4ELb1EEvPKcS1_S1_S1_S1_PKiPfP15HIP_vector_typeIfLj2EEffffjfiS5_IjLj3EEiiiiiiiiiiiliiliiiiil,"axG",@progbits,_ZL15flash_attn_tileILi96ELi96ELi2ELi4ELb1EEvPKcS1_S1_S1_S1_PKiPfP15HIP_vector_typeIfLj2EEffffjfiS5_IjLj3EEiiiiiiiiiiiliiliiiiil,comdat
.Lfunc_end81:
	.size	_ZL15flash_attn_tileILi96ELi96ELi2ELi4ELb1EEvPKcS1_S1_S1_S1_PKiPfP15HIP_vector_typeIfLj2EEffffjfiS5_IjLj3EEiiiiiiiiiiiliiliiiiil, .Lfunc_end81-_ZL15flash_attn_tileILi96ELi96ELi2ELi4ELb1EEvPKcS1_S1_S1_S1_PKiPfP15HIP_vector_typeIfLj2EEffffjfiS5_IjLj3EEiiiiiiiiiiiliiliiiiil
                                        ; -- End function
	.set _ZL15flash_attn_tileILi96ELi96ELi2ELi4ELb1EEvPKcS1_S1_S1_S1_PKiPfP15HIP_vector_typeIfLj2EEffffjfiS5_IjLj3EEiiiiiiiiiiiliiliiiiil.num_vgpr, max(0, .L_ZL14no_device_codePKciS0_iS0_.num_vgpr)
	.set _ZL15flash_attn_tileILi96ELi96ELi2ELi4ELb1EEvPKcS1_S1_S1_S1_PKiPfP15HIP_vector_typeIfLj2EEffffjfiS5_IjLj3EEiiiiiiiiiiiliiliiiiil.num_agpr, max(0, .L_ZL14no_device_codePKciS0_iS0_.num_agpr)
	.set _ZL15flash_attn_tileILi96ELi96ELi2ELi4ELb1EEvPKcS1_S1_S1_S1_PKiPfP15HIP_vector_typeIfLj2EEffffjfiS5_IjLj3EEiiiiiiiiiiiliiliiiiil.numbered_sgpr, max(33, .L_ZL14no_device_codePKciS0_iS0_.numbered_sgpr)
	.set _ZL15flash_attn_tileILi96ELi96ELi2ELi4ELb1EEvPKcS1_S1_S1_S1_PKiPfP15HIP_vector_typeIfLj2EEffffjfiS5_IjLj3EEiiiiiiiiiiiliiliiiiil.num_named_barrier, max(0, .L_ZL14no_device_codePKciS0_iS0_.num_named_barrier)
	.set _ZL15flash_attn_tileILi96ELi96ELi2ELi4ELb1EEvPKcS1_S1_S1_S1_PKiPfP15HIP_vector_typeIfLj2EEffffjfiS5_IjLj3EEiiiiiiiiiiiliiliiiiil.private_seg_size, 0+max(.L_ZL14no_device_codePKciS0_iS0_.private_seg_size)
	.set _ZL15flash_attn_tileILi96ELi96ELi2ELi4ELb1EEvPKcS1_S1_S1_S1_PKiPfP15HIP_vector_typeIfLj2EEffffjfiS5_IjLj3EEiiiiiiiiiiiliiliiiiil.uses_vcc, or(1, .L_ZL14no_device_codePKciS0_iS0_.uses_vcc)
	.set _ZL15flash_attn_tileILi96ELi96ELi2ELi4ELb1EEvPKcS1_S1_S1_S1_PKiPfP15HIP_vector_typeIfLj2EEffffjfiS5_IjLj3EEiiiiiiiiiiiliiliiiiil.uses_flat_scratch, or(0, .L_ZL14no_device_codePKciS0_iS0_.uses_flat_scratch)
	.set _ZL15flash_attn_tileILi96ELi96ELi2ELi4ELb1EEvPKcS1_S1_S1_S1_PKiPfP15HIP_vector_typeIfLj2EEffffjfiS5_IjLj3EEiiiiiiiiiiiliiliiiiil.has_dyn_sized_stack, or(0, .L_ZL14no_device_codePKciS0_iS0_.has_dyn_sized_stack)
	.set _ZL15flash_attn_tileILi96ELi96ELi2ELi4ELb1EEvPKcS1_S1_S1_S1_PKiPfP15HIP_vector_typeIfLj2EEffffjfiS5_IjLj3EEiiiiiiiiiiiliiliiiiil.has_recursion, or(0, .L_ZL14no_device_codePKciS0_iS0_.has_recursion)
	.set _ZL15flash_attn_tileILi96ELi96ELi2ELi4ELb1EEvPKcS1_S1_S1_S1_PKiPfP15HIP_vector_typeIfLj2EEffffjfiS5_IjLj3EEiiiiiiiiiiiliiliiiiil.has_indirect_call, or(0, .L_ZL14no_device_codePKciS0_iS0_.has_indirect_call)
	.section	.AMDGPU.csdata,"",@progbits
; Kernel info:
; codeLenInByte = 32
; TotalNumSgprs: 36
; NumVgprs: 50
; ScratchSize: 16
; MemoryBound: 0
; FloatMode: 240
; IeeeMode: 1
; LDSByteSize: 0 bytes/workgroup (compile time only)
; SGPRBlocks: 0
; VGPRBlocks: 3
; NumSGPRsForWavesPerEU: 36
; NumVGPRsForWavesPerEU: 50
; NamedBarCnt: 0
; Occupancy: 16
; WaveLimiterHint : 1
; COMPUTE_PGM_RSRC2:SCRATCH_EN: 1
; COMPUTE_PGM_RSRC2:USER_SGPR: 2
; COMPUTE_PGM_RSRC2:TRAP_HANDLER: 0
; COMPUTE_PGM_RSRC2:TGID_X_EN: 1
; COMPUTE_PGM_RSRC2:TGID_Y_EN: 0
; COMPUTE_PGM_RSRC2:TGID_Z_EN: 0
; COMPUTE_PGM_RSRC2:TIDIG_COMP_CNT: 0
	.section	.text._ZL15flash_attn_tileILi96ELi96ELi1ELi4ELb1EEvPKcS1_S1_S1_S1_PKiPfP15HIP_vector_typeIfLj2EEffffjfiS5_IjLj3EEiiiiiiiiiiiliiliiiiil,"axG",@progbits,_ZL15flash_attn_tileILi96ELi96ELi1ELi4ELb1EEvPKcS1_S1_S1_S1_PKiPfP15HIP_vector_typeIfLj2EEffffjfiS5_IjLj3EEiiiiiiiiiiiliiliiiiil,comdat
	.globl	_ZL15flash_attn_tileILi96ELi96ELi1ELi4ELb1EEvPKcS1_S1_S1_S1_PKiPfP15HIP_vector_typeIfLj2EEffffjfiS5_IjLj3EEiiiiiiiiiiiliiliiiiil ; -- Begin function _ZL15flash_attn_tileILi96ELi96ELi1ELi4ELb1EEvPKcS1_S1_S1_S1_PKiPfP15HIP_vector_typeIfLj2EEffffjfiS5_IjLj3EEiiiiiiiiiiiliiliiiiil
	.p2align	8
	.type	_ZL15flash_attn_tileILi96ELi96ELi1ELi4ELb1EEvPKcS1_S1_S1_S1_PKiPfP15HIP_vector_typeIfLj2EEffffjfiS5_IjLj3EEiiiiiiiiiiiliiliiiiil,@function
_ZL15flash_attn_tileILi96ELi96ELi1ELi4ELb1EEvPKcS1_S1_S1_S1_PKiPfP15HIP_vector_typeIfLj2EEffffjfiS5_IjLj3EEiiiiiiiiiiiliiliiiiil: ; @_ZL15flash_attn_tileILi96ELi96ELi1ELi4ELb1EEvPKcS1_S1_S1_S1_PKiPfP15HIP_vector_typeIfLj2EEffffjfiS5_IjLj3EEiiiiiiiiiiiliiliiiiil
; %bb.0:
	s_get_pc_i64 s[2:3]
	s_add_nc_u64 s[2:3], s[2:3], _ZL14no_device_codePKciS0_iS0_@rel64+4
	s_add_nc_u64 s[8:9], s[0:1], 0xd0
	s_mov_b32 s32, 0
	s_swap_pc_i64 s[30:31], s[2:3]
	.section	.rodata,"a",@progbits
	.p2align	6, 0x0
	.amdhsa_kernel _ZL15flash_attn_tileILi96ELi96ELi1ELi4ELb1EEvPKcS1_S1_S1_S1_PKiPfP15HIP_vector_typeIfLj2EEffffjfiS5_IjLj3EEiiiiiiiiiiiliiliiiiil
		.amdhsa_group_segment_fixed_size 0
		.amdhsa_private_segment_fixed_size 16
		.amdhsa_kernarg_size 464
		.amdhsa_user_sgpr_count 2
		.amdhsa_user_sgpr_dispatch_ptr 0
		.amdhsa_user_sgpr_queue_ptr 0
		.amdhsa_user_sgpr_kernarg_segment_ptr 1
		.amdhsa_user_sgpr_dispatch_id 0
		.amdhsa_user_sgpr_kernarg_preload_length 0
		.amdhsa_user_sgpr_kernarg_preload_offset 0
		.amdhsa_user_sgpr_private_segment_size 0
		.amdhsa_wavefront_size32 1
		.amdhsa_uses_dynamic_stack 0
		.amdhsa_enable_private_segment 1
		.amdhsa_system_sgpr_workgroup_id_x 1
		.amdhsa_system_sgpr_workgroup_id_y 0
		.amdhsa_system_sgpr_workgroup_id_z 0
		.amdhsa_system_sgpr_workgroup_info 0
		.amdhsa_system_vgpr_workitem_id 0
		.amdhsa_next_free_vgpr 50
		.amdhsa_next_free_sgpr 34
		.amdhsa_named_barrier_count 0
		.amdhsa_reserve_vcc 1
		.amdhsa_float_round_mode_32 0
		.amdhsa_float_round_mode_16_64 0
		.amdhsa_float_denorm_mode_32 3
		.amdhsa_float_denorm_mode_16_64 3
		.amdhsa_fp16_overflow 0
		.amdhsa_memory_ordered 1
		.amdhsa_forward_progress 1
		.amdhsa_inst_pref_size 1
		.amdhsa_round_robin_scheduling 0
		.amdhsa_exception_fp_ieee_invalid_op 0
		.amdhsa_exception_fp_denorm_src 0
		.amdhsa_exception_fp_ieee_div_zero 0
		.amdhsa_exception_fp_ieee_overflow 0
		.amdhsa_exception_fp_ieee_underflow 0
		.amdhsa_exception_fp_ieee_inexact 0
		.amdhsa_exception_int_div_zero 0
	.end_amdhsa_kernel
	.section	.text._ZL15flash_attn_tileILi96ELi96ELi1ELi4ELb1EEvPKcS1_S1_S1_S1_PKiPfP15HIP_vector_typeIfLj2EEffffjfiS5_IjLj3EEiiiiiiiiiiiliiliiiiil,"axG",@progbits,_ZL15flash_attn_tileILi96ELi96ELi1ELi4ELb1EEvPKcS1_S1_S1_S1_PKiPfP15HIP_vector_typeIfLj2EEffffjfiS5_IjLj3EEiiiiiiiiiiiliiliiiiil,comdat
.Lfunc_end82:
	.size	_ZL15flash_attn_tileILi96ELi96ELi1ELi4ELb1EEvPKcS1_S1_S1_S1_PKiPfP15HIP_vector_typeIfLj2EEffffjfiS5_IjLj3EEiiiiiiiiiiiliiliiiiil, .Lfunc_end82-_ZL15flash_attn_tileILi96ELi96ELi1ELi4ELb1EEvPKcS1_S1_S1_S1_PKiPfP15HIP_vector_typeIfLj2EEffffjfiS5_IjLj3EEiiiiiiiiiiiliiliiiiil
                                        ; -- End function
	.set _ZL15flash_attn_tileILi96ELi96ELi1ELi4ELb1EEvPKcS1_S1_S1_S1_PKiPfP15HIP_vector_typeIfLj2EEffffjfiS5_IjLj3EEiiiiiiiiiiiliiliiiiil.num_vgpr, max(0, .L_ZL14no_device_codePKciS0_iS0_.num_vgpr)
	.set _ZL15flash_attn_tileILi96ELi96ELi1ELi4ELb1EEvPKcS1_S1_S1_S1_PKiPfP15HIP_vector_typeIfLj2EEffffjfiS5_IjLj3EEiiiiiiiiiiiliiliiiiil.num_agpr, max(0, .L_ZL14no_device_codePKciS0_iS0_.num_agpr)
	.set _ZL15flash_attn_tileILi96ELi96ELi1ELi4ELb1EEvPKcS1_S1_S1_S1_PKiPfP15HIP_vector_typeIfLj2EEffffjfiS5_IjLj3EEiiiiiiiiiiiliiliiiiil.numbered_sgpr, max(33, .L_ZL14no_device_codePKciS0_iS0_.numbered_sgpr)
	.set _ZL15flash_attn_tileILi96ELi96ELi1ELi4ELb1EEvPKcS1_S1_S1_S1_PKiPfP15HIP_vector_typeIfLj2EEffffjfiS5_IjLj3EEiiiiiiiiiiiliiliiiiil.num_named_barrier, max(0, .L_ZL14no_device_codePKciS0_iS0_.num_named_barrier)
	.set _ZL15flash_attn_tileILi96ELi96ELi1ELi4ELb1EEvPKcS1_S1_S1_S1_PKiPfP15HIP_vector_typeIfLj2EEffffjfiS5_IjLj3EEiiiiiiiiiiiliiliiiiil.private_seg_size, 0+max(.L_ZL14no_device_codePKciS0_iS0_.private_seg_size)
	.set _ZL15flash_attn_tileILi96ELi96ELi1ELi4ELb1EEvPKcS1_S1_S1_S1_PKiPfP15HIP_vector_typeIfLj2EEffffjfiS5_IjLj3EEiiiiiiiiiiiliiliiiiil.uses_vcc, or(1, .L_ZL14no_device_codePKciS0_iS0_.uses_vcc)
	.set _ZL15flash_attn_tileILi96ELi96ELi1ELi4ELb1EEvPKcS1_S1_S1_S1_PKiPfP15HIP_vector_typeIfLj2EEffffjfiS5_IjLj3EEiiiiiiiiiiiliiliiiiil.uses_flat_scratch, or(0, .L_ZL14no_device_codePKciS0_iS0_.uses_flat_scratch)
	.set _ZL15flash_attn_tileILi96ELi96ELi1ELi4ELb1EEvPKcS1_S1_S1_S1_PKiPfP15HIP_vector_typeIfLj2EEffffjfiS5_IjLj3EEiiiiiiiiiiiliiliiiiil.has_dyn_sized_stack, or(0, .L_ZL14no_device_codePKciS0_iS0_.has_dyn_sized_stack)
	.set _ZL15flash_attn_tileILi96ELi96ELi1ELi4ELb1EEvPKcS1_S1_S1_S1_PKiPfP15HIP_vector_typeIfLj2EEffffjfiS5_IjLj3EEiiiiiiiiiiiliiliiiiil.has_recursion, or(0, .L_ZL14no_device_codePKciS0_iS0_.has_recursion)
	.set _ZL15flash_attn_tileILi96ELi96ELi1ELi4ELb1EEvPKcS1_S1_S1_S1_PKiPfP15HIP_vector_typeIfLj2EEffffjfiS5_IjLj3EEiiiiiiiiiiiliiliiiiil.has_indirect_call, or(0, .L_ZL14no_device_codePKciS0_iS0_.has_indirect_call)
	.section	.AMDGPU.csdata,"",@progbits
; Kernel info:
; codeLenInByte = 32
; TotalNumSgprs: 36
; NumVgprs: 50
; ScratchSize: 16
; MemoryBound: 0
; FloatMode: 240
; IeeeMode: 1
; LDSByteSize: 0 bytes/workgroup (compile time only)
; SGPRBlocks: 0
; VGPRBlocks: 3
; NumSGPRsForWavesPerEU: 36
; NumVGPRsForWavesPerEU: 50
; NamedBarCnt: 0
; Occupancy: 16
; WaveLimiterHint : 1
; COMPUTE_PGM_RSRC2:SCRATCH_EN: 1
; COMPUTE_PGM_RSRC2:USER_SGPR: 2
; COMPUTE_PGM_RSRC2:TRAP_HANDLER: 0
; COMPUTE_PGM_RSRC2:TGID_X_EN: 1
; COMPUTE_PGM_RSRC2:TGID_Y_EN: 0
; COMPUTE_PGM_RSRC2:TGID_Z_EN: 0
; COMPUTE_PGM_RSRC2:TIDIG_COMP_CNT: 0
	.section	.text._ZL15flash_attn_tileILi96ELi96ELi32ELi2ELb1EEvPKcS1_S1_S1_S1_PKiPfP15HIP_vector_typeIfLj2EEffffjfiS5_IjLj3EEiiiiiiiiiiiliiliiiiil,"axG",@progbits,_ZL15flash_attn_tileILi96ELi96ELi32ELi2ELb1EEvPKcS1_S1_S1_S1_PKiPfP15HIP_vector_typeIfLj2EEffffjfiS5_IjLj3EEiiiiiiiiiiiliiliiiiil,comdat
	.globl	_ZL15flash_attn_tileILi96ELi96ELi32ELi2ELb1EEvPKcS1_S1_S1_S1_PKiPfP15HIP_vector_typeIfLj2EEffffjfiS5_IjLj3EEiiiiiiiiiiiliiliiiiil ; -- Begin function _ZL15flash_attn_tileILi96ELi96ELi32ELi2ELb1EEvPKcS1_S1_S1_S1_PKiPfP15HIP_vector_typeIfLj2EEffffjfiS5_IjLj3EEiiiiiiiiiiiliiliiiiil
	.p2align	8
	.type	_ZL15flash_attn_tileILi96ELi96ELi32ELi2ELb1EEvPKcS1_S1_S1_S1_PKiPfP15HIP_vector_typeIfLj2EEffffjfiS5_IjLj3EEiiiiiiiiiiiliiliiiiil,@function
_ZL15flash_attn_tileILi96ELi96ELi32ELi2ELb1EEvPKcS1_S1_S1_S1_PKiPfP15HIP_vector_typeIfLj2EEffffjfiS5_IjLj3EEiiiiiiiiiiiliiliiiiil: ; @_ZL15flash_attn_tileILi96ELi96ELi32ELi2ELb1EEvPKcS1_S1_S1_S1_PKiPfP15HIP_vector_typeIfLj2EEffffjfiS5_IjLj3EEiiiiiiiiiiiliiliiiiil
; %bb.0:
	s_get_pc_i64 s[2:3]
	s_add_nc_u64 s[2:3], s[2:3], _ZL14no_device_codePKciS0_iS0_@rel64+4
	s_add_nc_u64 s[8:9], s[0:1], 0xd0
	s_mov_b32 s32, 0
	s_swap_pc_i64 s[30:31], s[2:3]
	.section	.rodata,"a",@progbits
	.p2align	6, 0x0
	.amdhsa_kernel _ZL15flash_attn_tileILi96ELi96ELi32ELi2ELb1EEvPKcS1_S1_S1_S1_PKiPfP15HIP_vector_typeIfLj2EEffffjfiS5_IjLj3EEiiiiiiiiiiiliiliiiiil
		.amdhsa_group_segment_fixed_size 0
		.amdhsa_private_segment_fixed_size 16
		.amdhsa_kernarg_size 464
		.amdhsa_user_sgpr_count 2
		.amdhsa_user_sgpr_dispatch_ptr 0
		.amdhsa_user_sgpr_queue_ptr 0
		.amdhsa_user_sgpr_kernarg_segment_ptr 1
		.amdhsa_user_sgpr_dispatch_id 0
		.amdhsa_user_sgpr_kernarg_preload_length 0
		.amdhsa_user_sgpr_kernarg_preload_offset 0
		.amdhsa_user_sgpr_private_segment_size 0
		.amdhsa_wavefront_size32 1
		.amdhsa_uses_dynamic_stack 0
		.amdhsa_enable_private_segment 1
		.amdhsa_system_sgpr_workgroup_id_x 1
		.amdhsa_system_sgpr_workgroup_id_y 0
		.amdhsa_system_sgpr_workgroup_id_z 0
		.amdhsa_system_sgpr_workgroup_info 0
		.amdhsa_system_vgpr_workitem_id 0
		.amdhsa_next_free_vgpr 50
		.amdhsa_next_free_sgpr 34
		.amdhsa_named_barrier_count 0
		.amdhsa_reserve_vcc 1
		.amdhsa_float_round_mode_32 0
		.amdhsa_float_round_mode_16_64 0
		.amdhsa_float_denorm_mode_32 3
		.amdhsa_float_denorm_mode_16_64 3
		.amdhsa_fp16_overflow 0
		.amdhsa_memory_ordered 1
		.amdhsa_forward_progress 1
		.amdhsa_inst_pref_size 1
		.amdhsa_round_robin_scheduling 0
		.amdhsa_exception_fp_ieee_invalid_op 0
		.amdhsa_exception_fp_denorm_src 0
		.amdhsa_exception_fp_ieee_div_zero 0
		.amdhsa_exception_fp_ieee_overflow 0
		.amdhsa_exception_fp_ieee_underflow 0
		.amdhsa_exception_fp_ieee_inexact 0
		.amdhsa_exception_int_div_zero 0
	.end_amdhsa_kernel
	.section	.text._ZL15flash_attn_tileILi96ELi96ELi32ELi2ELb1EEvPKcS1_S1_S1_S1_PKiPfP15HIP_vector_typeIfLj2EEffffjfiS5_IjLj3EEiiiiiiiiiiiliiliiiiil,"axG",@progbits,_ZL15flash_attn_tileILi96ELi96ELi32ELi2ELb1EEvPKcS1_S1_S1_S1_PKiPfP15HIP_vector_typeIfLj2EEffffjfiS5_IjLj3EEiiiiiiiiiiiliiliiiiil,comdat
.Lfunc_end83:
	.size	_ZL15flash_attn_tileILi96ELi96ELi32ELi2ELb1EEvPKcS1_S1_S1_S1_PKiPfP15HIP_vector_typeIfLj2EEffffjfiS5_IjLj3EEiiiiiiiiiiiliiliiiiil, .Lfunc_end83-_ZL15flash_attn_tileILi96ELi96ELi32ELi2ELb1EEvPKcS1_S1_S1_S1_PKiPfP15HIP_vector_typeIfLj2EEffffjfiS5_IjLj3EEiiiiiiiiiiiliiliiiiil
                                        ; -- End function
	.set _ZL15flash_attn_tileILi96ELi96ELi32ELi2ELb1EEvPKcS1_S1_S1_S1_PKiPfP15HIP_vector_typeIfLj2EEffffjfiS5_IjLj3EEiiiiiiiiiiiliiliiiiil.num_vgpr, max(0, .L_ZL14no_device_codePKciS0_iS0_.num_vgpr)
	.set _ZL15flash_attn_tileILi96ELi96ELi32ELi2ELb1EEvPKcS1_S1_S1_S1_PKiPfP15HIP_vector_typeIfLj2EEffffjfiS5_IjLj3EEiiiiiiiiiiiliiliiiiil.num_agpr, max(0, .L_ZL14no_device_codePKciS0_iS0_.num_agpr)
	.set _ZL15flash_attn_tileILi96ELi96ELi32ELi2ELb1EEvPKcS1_S1_S1_S1_PKiPfP15HIP_vector_typeIfLj2EEffffjfiS5_IjLj3EEiiiiiiiiiiiliiliiiiil.numbered_sgpr, max(33, .L_ZL14no_device_codePKciS0_iS0_.numbered_sgpr)
	.set _ZL15flash_attn_tileILi96ELi96ELi32ELi2ELb1EEvPKcS1_S1_S1_S1_PKiPfP15HIP_vector_typeIfLj2EEffffjfiS5_IjLj3EEiiiiiiiiiiiliiliiiiil.num_named_barrier, max(0, .L_ZL14no_device_codePKciS0_iS0_.num_named_barrier)
	.set _ZL15flash_attn_tileILi96ELi96ELi32ELi2ELb1EEvPKcS1_S1_S1_S1_PKiPfP15HIP_vector_typeIfLj2EEffffjfiS5_IjLj3EEiiiiiiiiiiiliiliiiiil.private_seg_size, 0+max(.L_ZL14no_device_codePKciS0_iS0_.private_seg_size)
	.set _ZL15flash_attn_tileILi96ELi96ELi32ELi2ELb1EEvPKcS1_S1_S1_S1_PKiPfP15HIP_vector_typeIfLj2EEffffjfiS5_IjLj3EEiiiiiiiiiiiliiliiiiil.uses_vcc, or(1, .L_ZL14no_device_codePKciS0_iS0_.uses_vcc)
	.set _ZL15flash_attn_tileILi96ELi96ELi32ELi2ELb1EEvPKcS1_S1_S1_S1_PKiPfP15HIP_vector_typeIfLj2EEffffjfiS5_IjLj3EEiiiiiiiiiiiliiliiiiil.uses_flat_scratch, or(0, .L_ZL14no_device_codePKciS0_iS0_.uses_flat_scratch)
	.set _ZL15flash_attn_tileILi96ELi96ELi32ELi2ELb1EEvPKcS1_S1_S1_S1_PKiPfP15HIP_vector_typeIfLj2EEffffjfiS5_IjLj3EEiiiiiiiiiiiliiliiiiil.has_dyn_sized_stack, or(0, .L_ZL14no_device_codePKciS0_iS0_.has_dyn_sized_stack)
	.set _ZL15flash_attn_tileILi96ELi96ELi32ELi2ELb1EEvPKcS1_S1_S1_S1_PKiPfP15HIP_vector_typeIfLj2EEffffjfiS5_IjLj3EEiiiiiiiiiiiliiliiiiil.has_recursion, or(0, .L_ZL14no_device_codePKciS0_iS0_.has_recursion)
	.set _ZL15flash_attn_tileILi96ELi96ELi32ELi2ELb1EEvPKcS1_S1_S1_S1_PKiPfP15HIP_vector_typeIfLj2EEffffjfiS5_IjLj3EEiiiiiiiiiiiliiliiiiil.has_indirect_call, or(0, .L_ZL14no_device_codePKciS0_iS0_.has_indirect_call)
	.section	.AMDGPU.csdata,"",@progbits
; Kernel info:
; codeLenInByte = 32
; TotalNumSgprs: 36
; NumVgprs: 50
; ScratchSize: 16
; MemoryBound: 0
; FloatMode: 240
; IeeeMode: 1
; LDSByteSize: 0 bytes/workgroup (compile time only)
; SGPRBlocks: 0
; VGPRBlocks: 3
; NumSGPRsForWavesPerEU: 36
; NumVGPRsForWavesPerEU: 50
; NamedBarCnt: 0
; Occupancy: 16
; WaveLimiterHint : 1
; COMPUTE_PGM_RSRC2:SCRATCH_EN: 1
; COMPUTE_PGM_RSRC2:USER_SGPR: 2
; COMPUTE_PGM_RSRC2:TRAP_HANDLER: 0
; COMPUTE_PGM_RSRC2:TGID_X_EN: 1
; COMPUTE_PGM_RSRC2:TGID_Y_EN: 0
; COMPUTE_PGM_RSRC2:TGID_Z_EN: 0
; COMPUTE_PGM_RSRC2:TIDIG_COMP_CNT: 0
	.section	.text._ZL15flash_attn_tileILi96ELi96ELi16ELi2ELb1EEvPKcS1_S1_S1_S1_PKiPfP15HIP_vector_typeIfLj2EEffffjfiS5_IjLj3EEiiiiiiiiiiiliiliiiiil,"axG",@progbits,_ZL15flash_attn_tileILi96ELi96ELi16ELi2ELb1EEvPKcS1_S1_S1_S1_PKiPfP15HIP_vector_typeIfLj2EEffffjfiS5_IjLj3EEiiiiiiiiiiiliiliiiiil,comdat
	.globl	_ZL15flash_attn_tileILi96ELi96ELi16ELi2ELb1EEvPKcS1_S1_S1_S1_PKiPfP15HIP_vector_typeIfLj2EEffffjfiS5_IjLj3EEiiiiiiiiiiiliiliiiiil ; -- Begin function _ZL15flash_attn_tileILi96ELi96ELi16ELi2ELb1EEvPKcS1_S1_S1_S1_PKiPfP15HIP_vector_typeIfLj2EEffffjfiS5_IjLj3EEiiiiiiiiiiiliiliiiiil
	.p2align	8
	.type	_ZL15flash_attn_tileILi96ELi96ELi16ELi2ELb1EEvPKcS1_S1_S1_S1_PKiPfP15HIP_vector_typeIfLj2EEffffjfiS5_IjLj3EEiiiiiiiiiiiliiliiiiil,@function
_ZL15flash_attn_tileILi96ELi96ELi16ELi2ELb1EEvPKcS1_S1_S1_S1_PKiPfP15HIP_vector_typeIfLj2EEffffjfiS5_IjLj3EEiiiiiiiiiiiliiliiiiil: ; @_ZL15flash_attn_tileILi96ELi96ELi16ELi2ELb1EEvPKcS1_S1_S1_S1_PKiPfP15HIP_vector_typeIfLj2EEffffjfiS5_IjLj3EEiiiiiiiiiiiliiliiiiil
; %bb.0:
	s_get_pc_i64 s[2:3]
	s_add_nc_u64 s[2:3], s[2:3], _ZL14no_device_codePKciS0_iS0_@rel64+4
	s_add_nc_u64 s[8:9], s[0:1], 0xd0
	s_mov_b32 s32, 0
	s_swap_pc_i64 s[30:31], s[2:3]
	.section	.rodata,"a",@progbits
	.p2align	6, 0x0
	.amdhsa_kernel _ZL15flash_attn_tileILi96ELi96ELi16ELi2ELb1EEvPKcS1_S1_S1_S1_PKiPfP15HIP_vector_typeIfLj2EEffffjfiS5_IjLj3EEiiiiiiiiiiiliiliiiiil
		.amdhsa_group_segment_fixed_size 0
		.amdhsa_private_segment_fixed_size 16
		.amdhsa_kernarg_size 464
		.amdhsa_user_sgpr_count 2
		.amdhsa_user_sgpr_dispatch_ptr 0
		.amdhsa_user_sgpr_queue_ptr 0
		.amdhsa_user_sgpr_kernarg_segment_ptr 1
		.amdhsa_user_sgpr_dispatch_id 0
		.amdhsa_user_sgpr_kernarg_preload_length 0
		.amdhsa_user_sgpr_kernarg_preload_offset 0
		.amdhsa_user_sgpr_private_segment_size 0
		.amdhsa_wavefront_size32 1
		.amdhsa_uses_dynamic_stack 0
		.amdhsa_enable_private_segment 1
		.amdhsa_system_sgpr_workgroup_id_x 1
		.amdhsa_system_sgpr_workgroup_id_y 0
		.amdhsa_system_sgpr_workgroup_id_z 0
		.amdhsa_system_sgpr_workgroup_info 0
		.amdhsa_system_vgpr_workitem_id 0
		.amdhsa_next_free_vgpr 50
		.amdhsa_next_free_sgpr 34
		.amdhsa_named_barrier_count 0
		.amdhsa_reserve_vcc 1
		.amdhsa_float_round_mode_32 0
		.amdhsa_float_round_mode_16_64 0
		.amdhsa_float_denorm_mode_32 3
		.amdhsa_float_denorm_mode_16_64 3
		.amdhsa_fp16_overflow 0
		.amdhsa_memory_ordered 1
		.amdhsa_forward_progress 1
		.amdhsa_inst_pref_size 1
		.amdhsa_round_robin_scheduling 0
		.amdhsa_exception_fp_ieee_invalid_op 0
		.amdhsa_exception_fp_denorm_src 0
		.amdhsa_exception_fp_ieee_div_zero 0
		.amdhsa_exception_fp_ieee_overflow 0
		.amdhsa_exception_fp_ieee_underflow 0
		.amdhsa_exception_fp_ieee_inexact 0
		.amdhsa_exception_int_div_zero 0
	.end_amdhsa_kernel
	.section	.text._ZL15flash_attn_tileILi96ELi96ELi16ELi2ELb1EEvPKcS1_S1_S1_S1_PKiPfP15HIP_vector_typeIfLj2EEffffjfiS5_IjLj3EEiiiiiiiiiiiliiliiiiil,"axG",@progbits,_ZL15flash_attn_tileILi96ELi96ELi16ELi2ELb1EEvPKcS1_S1_S1_S1_PKiPfP15HIP_vector_typeIfLj2EEffffjfiS5_IjLj3EEiiiiiiiiiiiliiliiiiil,comdat
.Lfunc_end84:
	.size	_ZL15flash_attn_tileILi96ELi96ELi16ELi2ELb1EEvPKcS1_S1_S1_S1_PKiPfP15HIP_vector_typeIfLj2EEffffjfiS5_IjLj3EEiiiiiiiiiiiliiliiiiil, .Lfunc_end84-_ZL15flash_attn_tileILi96ELi96ELi16ELi2ELb1EEvPKcS1_S1_S1_S1_PKiPfP15HIP_vector_typeIfLj2EEffffjfiS5_IjLj3EEiiiiiiiiiiiliiliiiiil
                                        ; -- End function
	.set _ZL15flash_attn_tileILi96ELi96ELi16ELi2ELb1EEvPKcS1_S1_S1_S1_PKiPfP15HIP_vector_typeIfLj2EEffffjfiS5_IjLj3EEiiiiiiiiiiiliiliiiiil.num_vgpr, max(0, .L_ZL14no_device_codePKciS0_iS0_.num_vgpr)
	.set _ZL15flash_attn_tileILi96ELi96ELi16ELi2ELb1EEvPKcS1_S1_S1_S1_PKiPfP15HIP_vector_typeIfLj2EEffffjfiS5_IjLj3EEiiiiiiiiiiiliiliiiiil.num_agpr, max(0, .L_ZL14no_device_codePKciS0_iS0_.num_agpr)
	.set _ZL15flash_attn_tileILi96ELi96ELi16ELi2ELb1EEvPKcS1_S1_S1_S1_PKiPfP15HIP_vector_typeIfLj2EEffffjfiS5_IjLj3EEiiiiiiiiiiiliiliiiiil.numbered_sgpr, max(33, .L_ZL14no_device_codePKciS0_iS0_.numbered_sgpr)
	.set _ZL15flash_attn_tileILi96ELi96ELi16ELi2ELb1EEvPKcS1_S1_S1_S1_PKiPfP15HIP_vector_typeIfLj2EEffffjfiS5_IjLj3EEiiiiiiiiiiiliiliiiiil.num_named_barrier, max(0, .L_ZL14no_device_codePKciS0_iS0_.num_named_barrier)
	.set _ZL15flash_attn_tileILi96ELi96ELi16ELi2ELb1EEvPKcS1_S1_S1_S1_PKiPfP15HIP_vector_typeIfLj2EEffffjfiS5_IjLj3EEiiiiiiiiiiiliiliiiiil.private_seg_size, 0+max(.L_ZL14no_device_codePKciS0_iS0_.private_seg_size)
	.set _ZL15flash_attn_tileILi96ELi96ELi16ELi2ELb1EEvPKcS1_S1_S1_S1_PKiPfP15HIP_vector_typeIfLj2EEffffjfiS5_IjLj3EEiiiiiiiiiiiliiliiiiil.uses_vcc, or(1, .L_ZL14no_device_codePKciS0_iS0_.uses_vcc)
	.set _ZL15flash_attn_tileILi96ELi96ELi16ELi2ELb1EEvPKcS1_S1_S1_S1_PKiPfP15HIP_vector_typeIfLj2EEffffjfiS5_IjLj3EEiiiiiiiiiiiliiliiiiil.uses_flat_scratch, or(0, .L_ZL14no_device_codePKciS0_iS0_.uses_flat_scratch)
	.set _ZL15flash_attn_tileILi96ELi96ELi16ELi2ELb1EEvPKcS1_S1_S1_S1_PKiPfP15HIP_vector_typeIfLj2EEffffjfiS5_IjLj3EEiiiiiiiiiiiliiliiiiil.has_dyn_sized_stack, or(0, .L_ZL14no_device_codePKciS0_iS0_.has_dyn_sized_stack)
	.set _ZL15flash_attn_tileILi96ELi96ELi16ELi2ELb1EEvPKcS1_S1_S1_S1_PKiPfP15HIP_vector_typeIfLj2EEffffjfiS5_IjLj3EEiiiiiiiiiiiliiliiiiil.has_recursion, or(0, .L_ZL14no_device_codePKciS0_iS0_.has_recursion)
	.set _ZL15flash_attn_tileILi96ELi96ELi16ELi2ELb1EEvPKcS1_S1_S1_S1_PKiPfP15HIP_vector_typeIfLj2EEffffjfiS5_IjLj3EEiiiiiiiiiiiliiliiiiil.has_indirect_call, or(0, .L_ZL14no_device_codePKciS0_iS0_.has_indirect_call)
	.section	.AMDGPU.csdata,"",@progbits
; Kernel info:
; codeLenInByte = 32
; TotalNumSgprs: 36
; NumVgprs: 50
; ScratchSize: 16
; MemoryBound: 0
; FloatMode: 240
; IeeeMode: 1
; LDSByteSize: 0 bytes/workgroup (compile time only)
; SGPRBlocks: 0
; VGPRBlocks: 3
; NumSGPRsForWavesPerEU: 36
; NumVGPRsForWavesPerEU: 50
; NamedBarCnt: 0
; Occupancy: 16
; WaveLimiterHint : 1
; COMPUTE_PGM_RSRC2:SCRATCH_EN: 1
; COMPUTE_PGM_RSRC2:USER_SGPR: 2
; COMPUTE_PGM_RSRC2:TRAP_HANDLER: 0
; COMPUTE_PGM_RSRC2:TGID_X_EN: 1
; COMPUTE_PGM_RSRC2:TGID_Y_EN: 0
; COMPUTE_PGM_RSRC2:TGID_Z_EN: 0
; COMPUTE_PGM_RSRC2:TIDIG_COMP_CNT: 0
	.section	.text._ZL15flash_attn_tileILi96ELi96ELi8ELi2ELb1EEvPKcS1_S1_S1_S1_PKiPfP15HIP_vector_typeIfLj2EEffffjfiS5_IjLj3EEiiiiiiiiiiiliiliiiiil,"axG",@progbits,_ZL15flash_attn_tileILi96ELi96ELi8ELi2ELb1EEvPKcS1_S1_S1_S1_PKiPfP15HIP_vector_typeIfLj2EEffffjfiS5_IjLj3EEiiiiiiiiiiiliiliiiiil,comdat
	.globl	_ZL15flash_attn_tileILi96ELi96ELi8ELi2ELb1EEvPKcS1_S1_S1_S1_PKiPfP15HIP_vector_typeIfLj2EEffffjfiS5_IjLj3EEiiiiiiiiiiiliiliiiiil ; -- Begin function _ZL15flash_attn_tileILi96ELi96ELi8ELi2ELb1EEvPKcS1_S1_S1_S1_PKiPfP15HIP_vector_typeIfLj2EEffffjfiS5_IjLj3EEiiiiiiiiiiiliiliiiiil
	.p2align	8
	.type	_ZL15flash_attn_tileILi96ELi96ELi8ELi2ELb1EEvPKcS1_S1_S1_S1_PKiPfP15HIP_vector_typeIfLj2EEffffjfiS5_IjLj3EEiiiiiiiiiiiliiliiiiil,@function
_ZL15flash_attn_tileILi96ELi96ELi8ELi2ELb1EEvPKcS1_S1_S1_S1_PKiPfP15HIP_vector_typeIfLj2EEffffjfiS5_IjLj3EEiiiiiiiiiiiliiliiiiil: ; @_ZL15flash_attn_tileILi96ELi96ELi8ELi2ELb1EEvPKcS1_S1_S1_S1_PKiPfP15HIP_vector_typeIfLj2EEffffjfiS5_IjLj3EEiiiiiiiiiiiliiliiiiil
; %bb.0:
	s_get_pc_i64 s[2:3]
	s_add_nc_u64 s[2:3], s[2:3], _ZL14no_device_codePKciS0_iS0_@rel64+4
	s_add_nc_u64 s[8:9], s[0:1], 0xd0
	s_mov_b32 s32, 0
	s_swap_pc_i64 s[30:31], s[2:3]
	.section	.rodata,"a",@progbits
	.p2align	6, 0x0
	.amdhsa_kernel _ZL15flash_attn_tileILi96ELi96ELi8ELi2ELb1EEvPKcS1_S1_S1_S1_PKiPfP15HIP_vector_typeIfLj2EEffffjfiS5_IjLj3EEiiiiiiiiiiiliiliiiiil
		.amdhsa_group_segment_fixed_size 0
		.amdhsa_private_segment_fixed_size 16
		.amdhsa_kernarg_size 464
		.amdhsa_user_sgpr_count 2
		.amdhsa_user_sgpr_dispatch_ptr 0
		.amdhsa_user_sgpr_queue_ptr 0
		.amdhsa_user_sgpr_kernarg_segment_ptr 1
		.amdhsa_user_sgpr_dispatch_id 0
		.amdhsa_user_sgpr_kernarg_preload_length 0
		.amdhsa_user_sgpr_kernarg_preload_offset 0
		.amdhsa_user_sgpr_private_segment_size 0
		.amdhsa_wavefront_size32 1
		.amdhsa_uses_dynamic_stack 0
		.amdhsa_enable_private_segment 1
		.amdhsa_system_sgpr_workgroup_id_x 1
		.amdhsa_system_sgpr_workgroup_id_y 0
		.amdhsa_system_sgpr_workgroup_id_z 0
		.amdhsa_system_sgpr_workgroup_info 0
		.amdhsa_system_vgpr_workitem_id 0
		.amdhsa_next_free_vgpr 50
		.amdhsa_next_free_sgpr 34
		.amdhsa_named_barrier_count 0
		.amdhsa_reserve_vcc 1
		.amdhsa_float_round_mode_32 0
		.amdhsa_float_round_mode_16_64 0
		.amdhsa_float_denorm_mode_32 3
		.amdhsa_float_denorm_mode_16_64 3
		.amdhsa_fp16_overflow 0
		.amdhsa_memory_ordered 1
		.amdhsa_forward_progress 1
		.amdhsa_inst_pref_size 1
		.amdhsa_round_robin_scheduling 0
		.amdhsa_exception_fp_ieee_invalid_op 0
		.amdhsa_exception_fp_denorm_src 0
		.amdhsa_exception_fp_ieee_div_zero 0
		.amdhsa_exception_fp_ieee_overflow 0
		.amdhsa_exception_fp_ieee_underflow 0
		.amdhsa_exception_fp_ieee_inexact 0
		.amdhsa_exception_int_div_zero 0
	.end_amdhsa_kernel
	.section	.text._ZL15flash_attn_tileILi96ELi96ELi8ELi2ELb1EEvPKcS1_S1_S1_S1_PKiPfP15HIP_vector_typeIfLj2EEffffjfiS5_IjLj3EEiiiiiiiiiiiliiliiiiil,"axG",@progbits,_ZL15flash_attn_tileILi96ELi96ELi8ELi2ELb1EEvPKcS1_S1_S1_S1_PKiPfP15HIP_vector_typeIfLj2EEffffjfiS5_IjLj3EEiiiiiiiiiiiliiliiiiil,comdat
.Lfunc_end85:
	.size	_ZL15flash_attn_tileILi96ELi96ELi8ELi2ELb1EEvPKcS1_S1_S1_S1_PKiPfP15HIP_vector_typeIfLj2EEffffjfiS5_IjLj3EEiiiiiiiiiiiliiliiiiil, .Lfunc_end85-_ZL15flash_attn_tileILi96ELi96ELi8ELi2ELb1EEvPKcS1_S1_S1_S1_PKiPfP15HIP_vector_typeIfLj2EEffffjfiS5_IjLj3EEiiiiiiiiiiiliiliiiiil
                                        ; -- End function
	.set _ZL15flash_attn_tileILi96ELi96ELi8ELi2ELb1EEvPKcS1_S1_S1_S1_PKiPfP15HIP_vector_typeIfLj2EEffffjfiS5_IjLj3EEiiiiiiiiiiiliiliiiiil.num_vgpr, max(0, .L_ZL14no_device_codePKciS0_iS0_.num_vgpr)
	.set _ZL15flash_attn_tileILi96ELi96ELi8ELi2ELb1EEvPKcS1_S1_S1_S1_PKiPfP15HIP_vector_typeIfLj2EEffffjfiS5_IjLj3EEiiiiiiiiiiiliiliiiiil.num_agpr, max(0, .L_ZL14no_device_codePKciS0_iS0_.num_agpr)
	.set _ZL15flash_attn_tileILi96ELi96ELi8ELi2ELb1EEvPKcS1_S1_S1_S1_PKiPfP15HIP_vector_typeIfLj2EEffffjfiS5_IjLj3EEiiiiiiiiiiiliiliiiiil.numbered_sgpr, max(33, .L_ZL14no_device_codePKciS0_iS0_.numbered_sgpr)
	.set _ZL15flash_attn_tileILi96ELi96ELi8ELi2ELb1EEvPKcS1_S1_S1_S1_PKiPfP15HIP_vector_typeIfLj2EEffffjfiS5_IjLj3EEiiiiiiiiiiiliiliiiiil.num_named_barrier, max(0, .L_ZL14no_device_codePKciS0_iS0_.num_named_barrier)
	.set _ZL15flash_attn_tileILi96ELi96ELi8ELi2ELb1EEvPKcS1_S1_S1_S1_PKiPfP15HIP_vector_typeIfLj2EEffffjfiS5_IjLj3EEiiiiiiiiiiiliiliiiiil.private_seg_size, 0+max(.L_ZL14no_device_codePKciS0_iS0_.private_seg_size)
	.set _ZL15flash_attn_tileILi96ELi96ELi8ELi2ELb1EEvPKcS1_S1_S1_S1_PKiPfP15HIP_vector_typeIfLj2EEffffjfiS5_IjLj3EEiiiiiiiiiiiliiliiiiil.uses_vcc, or(1, .L_ZL14no_device_codePKciS0_iS0_.uses_vcc)
	.set _ZL15flash_attn_tileILi96ELi96ELi8ELi2ELb1EEvPKcS1_S1_S1_S1_PKiPfP15HIP_vector_typeIfLj2EEffffjfiS5_IjLj3EEiiiiiiiiiiiliiliiiiil.uses_flat_scratch, or(0, .L_ZL14no_device_codePKciS0_iS0_.uses_flat_scratch)
	.set _ZL15flash_attn_tileILi96ELi96ELi8ELi2ELb1EEvPKcS1_S1_S1_S1_PKiPfP15HIP_vector_typeIfLj2EEffffjfiS5_IjLj3EEiiiiiiiiiiiliiliiiiil.has_dyn_sized_stack, or(0, .L_ZL14no_device_codePKciS0_iS0_.has_dyn_sized_stack)
	.set _ZL15flash_attn_tileILi96ELi96ELi8ELi2ELb1EEvPKcS1_S1_S1_S1_PKiPfP15HIP_vector_typeIfLj2EEffffjfiS5_IjLj3EEiiiiiiiiiiiliiliiiiil.has_recursion, or(0, .L_ZL14no_device_codePKciS0_iS0_.has_recursion)
	.set _ZL15flash_attn_tileILi96ELi96ELi8ELi2ELb1EEvPKcS1_S1_S1_S1_PKiPfP15HIP_vector_typeIfLj2EEffffjfiS5_IjLj3EEiiiiiiiiiiiliiliiiiil.has_indirect_call, or(0, .L_ZL14no_device_codePKciS0_iS0_.has_indirect_call)
	.section	.AMDGPU.csdata,"",@progbits
; Kernel info:
; codeLenInByte = 32
; TotalNumSgprs: 36
; NumVgprs: 50
; ScratchSize: 16
; MemoryBound: 0
; FloatMode: 240
; IeeeMode: 1
; LDSByteSize: 0 bytes/workgroup (compile time only)
; SGPRBlocks: 0
; VGPRBlocks: 3
; NumSGPRsForWavesPerEU: 36
; NumVGPRsForWavesPerEU: 50
; NamedBarCnt: 0
; Occupancy: 16
; WaveLimiterHint : 1
; COMPUTE_PGM_RSRC2:SCRATCH_EN: 1
; COMPUTE_PGM_RSRC2:USER_SGPR: 2
; COMPUTE_PGM_RSRC2:TRAP_HANDLER: 0
; COMPUTE_PGM_RSRC2:TGID_X_EN: 1
; COMPUTE_PGM_RSRC2:TGID_Y_EN: 0
; COMPUTE_PGM_RSRC2:TGID_Z_EN: 0
; COMPUTE_PGM_RSRC2:TIDIG_COMP_CNT: 0
	.section	.text._ZL15flash_attn_tileILi96ELi96ELi4ELi2ELb1EEvPKcS1_S1_S1_S1_PKiPfP15HIP_vector_typeIfLj2EEffffjfiS5_IjLj3EEiiiiiiiiiiiliiliiiiil,"axG",@progbits,_ZL15flash_attn_tileILi96ELi96ELi4ELi2ELb1EEvPKcS1_S1_S1_S1_PKiPfP15HIP_vector_typeIfLj2EEffffjfiS5_IjLj3EEiiiiiiiiiiiliiliiiiil,comdat
	.globl	_ZL15flash_attn_tileILi96ELi96ELi4ELi2ELb1EEvPKcS1_S1_S1_S1_PKiPfP15HIP_vector_typeIfLj2EEffffjfiS5_IjLj3EEiiiiiiiiiiiliiliiiiil ; -- Begin function _ZL15flash_attn_tileILi96ELi96ELi4ELi2ELb1EEvPKcS1_S1_S1_S1_PKiPfP15HIP_vector_typeIfLj2EEffffjfiS5_IjLj3EEiiiiiiiiiiiliiliiiiil
	.p2align	8
	.type	_ZL15flash_attn_tileILi96ELi96ELi4ELi2ELb1EEvPKcS1_S1_S1_S1_PKiPfP15HIP_vector_typeIfLj2EEffffjfiS5_IjLj3EEiiiiiiiiiiiliiliiiiil,@function
_ZL15flash_attn_tileILi96ELi96ELi4ELi2ELb1EEvPKcS1_S1_S1_S1_PKiPfP15HIP_vector_typeIfLj2EEffffjfiS5_IjLj3EEiiiiiiiiiiiliiliiiiil: ; @_ZL15flash_attn_tileILi96ELi96ELi4ELi2ELb1EEvPKcS1_S1_S1_S1_PKiPfP15HIP_vector_typeIfLj2EEffffjfiS5_IjLj3EEiiiiiiiiiiiliiliiiiil
; %bb.0:
	s_get_pc_i64 s[2:3]
	s_add_nc_u64 s[2:3], s[2:3], _ZL14no_device_codePKciS0_iS0_@rel64+4
	s_add_nc_u64 s[8:9], s[0:1], 0xd0
	s_mov_b32 s32, 0
	s_swap_pc_i64 s[30:31], s[2:3]
	.section	.rodata,"a",@progbits
	.p2align	6, 0x0
	.amdhsa_kernel _ZL15flash_attn_tileILi96ELi96ELi4ELi2ELb1EEvPKcS1_S1_S1_S1_PKiPfP15HIP_vector_typeIfLj2EEffffjfiS5_IjLj3EEiiiiiiiiiiiliiliiiiil
		.amdhsa_group_segment_fixed_size 0
		.amdhsa_private_segment_fixed_size 16
		.amdhsa_kernarg_size 464
		.amdhsa_user_sgpr_count 2
		.amdhsa_user_sgpr_dispatch_ptr 0
		.amdhsa_user_sgpr_queue_ptr 0
		.amdhsa_user_sgpr_kernarg_segment_ptr 1
		.amdhsa_user_sgpr_dispatch_id 0
		.amdhsa_user_sgpr_kernarg_preload_length 0
		.amdhsa_user_sgpr_kernarg_preload_offset 0
		.amdhsa_user_sgpr_private_segment_size 0
		.amdhsa_wavefront_size32 1
		.amdhsa_uses_dynamic_stack 0
		.amdhsa_enable_private_segment 1
		.amdhsa_system_sgpr_workgroup_id_x 1
		.amdhsa_system_sgpr_workgroup_id_y 0
		.amdhsa_system_sgpr_workgroup_id_z 0
		.amdhsa_system_sgpr_workgroup_info 0
		.amdhsa_system_vgpr_workitem_id 0
		.amdhsa_next_free_vgpr 50
		.amdhsa_next_free_sgpr 34
		.amdhsa_named_barrier_count 0
		.amdhsa_reserve_vcc 1
		.amdhsa_float_round_mode_32 0
		.amdhsa_float_round_mode_16_64 0
		.amdhsa_float_denorm_mode_32 3
		.amdhsa_float_denorm_mode_16_64 3
		.amdhsa_fp16_overflow 0
		.amdhsa_memory_ordered 1
		.amdhsa_forward_progress 1
		.amdhsa_inst_pref_size 1
		.amdhsa_round_robin_scheduling 0
		.amdhsa_exception_fp_ieee_invalid_op 0
		.amdhsa_exception_fp_denorm_src 0
		.amdhsa_exception_fp_ieee_div_zero 0
		.amdhsa_exception_fp_ieee_overflow 0
		.amdhsa_exception_fp_ieee_underflow 0
		.amdhsa_exception_fp_ieee_inexact 0
		.amdhsa_exception_int_div_zero 0
	.end_amdhsa_kernel
	.section	.text._ZL15flash_attn_tileILi96ELi96ELi4ELi2ELb1EEvPKcS1_S1_S1_S1_PKiPfP15HIP_vector_typeIfLj2EEffffjfiS5_IjLj3EEiiiiiiiiiiiliiliiiiil,"axG",@progbits,_ZL15flash_attn_tileILi96ELi96ELi4ELi2ELb1EEvPKcS1_S1_S1_S1_PKiPfP15HIP_vector_typeIfLj2EEffffjfiS5_IjLj3EEiiiiiiiiiiiliiliiiiil,comdat
.Lfunc_end86:
	.size	_ZL15flash_attn_tileILi96ELi96ELi4ELi2ELb1EEvPKcS1_S1_S1_S1_PKiPfP15HIP_vector_typeIfLj2EEffffjfiS5_IjLj3EEiiiiiiiiiiiliiliiiiil, .Lfunc_end86-_ZL15flash_attn_tileILi96ELi96ELi4ELi2ELb1EEvPKcS1_S1_S1_S1_PKiPfP15HIP_vector_typeIfLj2EEffffjfiS5_IjLj3EEiiiiiiiiiiiliiliiiiil
                                        ; -- End function
	.set _ZL15flash_attn_tileILi96ELi96ELi4ELi2ELb1EEvPKcS1_S1_S1_S1_PKiPfP15HIP_vector_typeIfLj2EEffffjfiS5_IjLj3EEiiiiiiiiiiiliiliiiiil.num_vgpr, max(0, .L_ZL14no_device_codePKciS0_iS0_.num_vgpr)
	.set _ZL15flash_attn_tileILi96ELi96ELi4ELi2ELb1EEvPKcS1_S1_S1_S1_PKiPfP15HIP_vector_typeIfLj2EEffffjfiS5_IjLj3EEiiiiiiiiiiiliiliiiiil.num_agpr, max(0, .L_ZL14no_device_codePKciS0_iS0_.num_agpr)
	.set _ZL15flash_attn_tileILi96ELi96ELi4ELi2ELb1EEvPKcS1_S1_S1_S1_PKiPfP15HIP_vector_typeIfLj2EEffffjfiS5_IjLj3EEiiiiiiiiiiiliiliiiiil.numbered_sgpr, max(33, .L_ZL14no_device_codePKciS0_iS0_.numbered_sgpr)
	.set _ZL15flash_attn_tileILi96ELi96ELi4ELi2ELb1EEvPKcS1_S1_S1_S1_PKiPfP15HIP_vector_typeIfLj2EEffffjfiS5_IjLj3EEiiiiiiiiiiiliiliiiiil.num_named_barrier, max(0, .L_ZL14no_device_codePKciS0_iS0_.num_named_barrier)
	.set _ZL15flash_attn_tileILi96ELi96ELi4ELi2ELb1EEvPKcS1_S1_S1_S1_PKiPfP15HIP_vector_typeIfLj2EEffffjfiS5_IjLj3EEiiiiiiiiiiiliiliiiiil.private_seg_size, 0+max(.L_ZL14no_device_codePKciS0_iS0_.private_seg_size)
	.set _ZL15flash_attn_tileILi96ELi96ELi4ELi2ELb1EEvPKcS1_S1_S1_S1_PKiPfP15HIP_vector_typeIfLj2EEffffjfiS5_IjLj3EEiiiiiiiiiiiliiliiiiil.uses_vcc, or(1, .L_ZL14no_device_codePKciS0_iS0_.uses_vcc)
	.set _ZL15flash_attn_tileILi96ELi96ELi4ELi2ELb1EEvPKcS1_S1_S1_S1_PKiPfP15HIP_vector_typeIfLj2EEffffjfiS5_IjLj3EEiiiiiiiiiiiliiliiiiil.uses_flat_scratch, or(0, .L_ZL14no_device_codePKciS0_iS0_.uses_flat_scratch)
	.set _ZL15flash_attn_tileILi96ELi96ELi4ELi2ELb1EEvPKcS1_S1_S1_S1_PKiPfP15HIP_vector_typeIfLj2EEffffjfiS5_IjLj3EEiiiiiiiiiiiliiliiiiil.has_dyn_sized_stack, or(0, .L_ZL14no_device_codePKciS0_iS0_.has_dyn_sized_stack)
	.set _ZL15flash_attn_tileILi96ELi96ELi4ELi2ELb1EEvPKcS1_S1_S1_S1_PKiPfP15HIP_vector_typeIfLj2EEffffjfiS5_IjLj3EEiiiiiiiiiiiliiliiiiil.has_recursion, or(0, .L_ZL14no_device_codePKciS0_iS0_.has_recursion)
	.set _ZL15flash_attn_tileILi96ELi96ELi4ELi2ELb1EEvPKcS1_S1_S1_S1_PKiPfP15HIP_vector_typeIfLj2EEffffjfiS5_IjLj3EEiiiiiiiiiiiliiliiiiil.has_indirect_call, or(0, .L_ZL14no_device_codePKciS0_iS0_.has_indirect_call)
	.section	.AMDGPU.csdata,"",@progbits
; Kernel info:
; codeLenInByte = 32
; TotalNumSgprs: 36
; NumVgprs: 50
; ScratchSize: 16
; MemoryBound: 0
; FloatMode: 240
; IeeeMode: 1
; LDSByteSize: 0 bytes/workgroup (compile time only)
; SGPRBlocks: 0
; VGPRBlocks: 3
; NumSGPRsForWavesPerEU: 36
; NumVGPRsForWavesPerEU: 50
; NamedBarCnt: 0
; Occupancy: 16
; WaveLimiterHint : 1
; COMPUTE_PGM_RSRC2:SCRATCH_EN: 1
; COMPUTE_PGM_RSRC2:USER_SGPR: 2
; COMPUTE_PGM_RSRC2:TRAP_HANDLER: 0
; COMPUTE_PGM_RSRC2:TGID_X_EN: 1
; COMPUTE_PGM_RSRC2:TGID_Y_EN: 0
; COMPUTE_PGM_RSRC2:TGID_Z_EN: 0
; COMPUTE_PGM_RSRC2:TIDIG_COMP_CNT: 0
	.section	.text._ZL15flash_attn_tileILi96ELi96ELi2ELi2ELb1EEvPKcS1_S1_S1_S1_PKiPfP15HIP_vector_typeIfLj2EEffffjfiS5_IjLj3EEiiiiiiiiiiiliiliiiiil,"axG",@progbits,_ZL15flash_attn_tileILi96ELi96ELi2ELi2ELb1EEvPKcS1_S1_S1_S1_PKiPfP15HIP_vector_typeIfLj2EEffffjfiS5_IjLj3EEiiiiiiiiiiiliiliiiiil,comdat
	.globl	_ZL15flash_attn_tileILi96ELi96ELi2ELi2ELb1EEvPKcS1_S1_S1_S1_PKiPfP15HIP_vector_typeIfLj2EEffffjfiS5_IjLj3EEiiiiiiiiiiiliiliiiiil ; -- Begin function _ZL15flash_attn_tileILi96ELi96ELi2ELi2ELb1EEvPKcS1_S1_S1_S1_PKiPfP15HIP_vector_typeIfLj2EEffffjfiS5_IjLj3EEiiiiiiiiiiiliiliiiiil
	.p2align	8
	.type	_ZL15flash_attn_tileILi96ELi96ELi2ELi2ELb1EEvPKcS1_S1_S1_S1_PKiPfP15HIP_vector_typeIfLj2EEffffjfiS5_IjLj3EEiiiiiiiiiiiliiliiiiil,@function
_ZL15flash_attn_tileILi96ELi96ELi2ELi2ELb1EEvPKcS1_S1_S1_S1_PKiPfP15HIP_vector_typeIfLj2EEffffjfiS5_IjLj3EEiiiiiiiiiiiliiliiiiil: ; @_ZL15flash_attn_tileILi96ELi96ELi2ELi2ELb1EEvPKcS1_S1_S1_S1_PKiPfP15HIP_vector_typeIfLj2EEffffjfiS5_IjLj3EEiiiiiiiiiiiliiliiiiil
; %bb.0:
	s_get_pc_i64 s[2:3]
	s_add_nc_u64 s[2:3], s[2:3], _ZL14no_device_codePKciS0_iS0_@rel64+4
	s_add_nc_u64 s[8:9], s[0:1], 0xd0
	s_mov_b32 s32, 0
	s_swap_pc_i64 s[30:31], s[2:3]
	.section	.rodata,"a",@progbits
	.p2align	6, 0x0
	.amdhsa_kernel _ZL15flash_attn_tileILi96ELi96ELi2ELi2ELb1EEvPKcS1_S1_S1_S1_PKiPfP15HIP_vector_typeIfLj2EEffffjfiS5_IjLj3EEiiiiiiiiiiiliiliiiiil
		.amdhsa_group_segment_fixed_size 0
		.amdhsa_private_segment_fixed_size 16
		.amdhsa_kernarg_size 464
		.amdhsa_user_sgpr_count 2
		.amdhsa_user_sgpr_dispatch_ptr 0
		.amdhsa_user_sgpr_queue_ptr 0
		.amdhsa_user_sgpr_kernarg_segment_ptr 1
		.amdhsa_user_sgpr_dispatch_id 0
		.amdhsa_user_sgpr_kernarg_preload_length 0
		.amdhsa_user_sgpr_kernarg_preload_offset 0
		.amdhsa_user_sgpr_private_segment_size 0
		.amdhsa_wavefront_size32 1
		.amdhsa_uses_dynamic_stack 0
		.amdhsa_enable_private_segment 1
		.amdhsa_system_sgpr_workgroup_id_x 1
		.amdhsa_system_sgpr_workgroup_id_y 0
		.amdhsa_system_sgpr_workgroup_id_z 0
		.amdhsa_system_sgpr_workgroup_info 0
		.amdhsa_system_vgpr_workitem_id 0
		.amdhsa_next_free_vgpr 50
		.amdhsa_next_free_sgpr 34
		.amdhsa_named_barrier_count 0
		.amdhsa_reserve_vcc 1
		.amdhsa_float_round_mode_32 0
		.amdhsa_float_round_mode_16_64 0
		.amdhsa_float_denorm_mode_32 3
		.amdhsa_float_denorm_mode_16_64 3
		.amdhsa_fp16_overflow 0
		.amdhsa_memory_ordered 1
		.amdhsa_forward_progress 1
		.amdhsa_inst_pref_size 1
		.amdhsa_round_robin_scheduling 0
		.amdhsa_exception_fp_ieee_invalid_op 0
		.amdhsa_exception_fp_denorm_src 0
		.amdhsa_exception_fp_ieee_div_zero 0
		.amdhsa_exception_fp_ieee_overflow 0
		.amdhsa_exception_fp_ieee_underflow 0
		.amdhsa_exception_fp_ieee_inexact 0
		.amdhsa_exception_int_div_zero 0
	.end_amdhsa_kernel
	.section	.text._ZL15flash_attn_tileILi96ELi96ELi2ELi2ELb1EEvPKcS1_S1_S1_S1_PKiPfP15HIP_vector_typeIfLj2EEffffjfiS5_IjLj3EEiiiiiiiiiiiliiliiiiil,"axG",@progbits,_ZL15flash_attn_tileILi96ELi96ELi2ELi2ELb1EEvPKcS1_S1_S1_S1_PKiPfP15HIP_vector_typeIfLj2EEffffjfiS5_IjLj3EEiiiiiiiiiiiliiliiiiil,comdat
.Lfunc_end87:
	.size	_ZL15flash_attn_tileILi96ELi96ELi2ELi2ELb1EEvPKcS1_S1_S1_S1_PKiPfP15HIP_vector_typeIfLj2EEffffjfiS5_IjLj3EEiiiiiiiiiiiliiliiiiil, .Lfunc_end87-_ZL15flash_attn_tileILi96ELi96ELi2ELi2ELb1EEvPKcS1_S1_S1_S1_PKiPfP15HIP_vector_typeIfLj2EEffffjfiS5_IjLj3EEiiiiiiiiiiiliiliiiiil
                                        ; -- End function
	.set _ZL15flash_attn_tileILi96ELi96ELi2ELi2ELb1EEvPKcS1_S1_S1_S1_PKiPfP15HIP_vector_typeIfLj2EEffffjfiS5_IjLj3EEiiiiiiiiiiiliiliiiiil.num_vgpr, max(0, .L_ZL14no_device_codePKciS0_iS0_.num_vgpr)
	.set _ZL15flash_attn_tileILi96ELi96ELi2ELi2ELb1EEvPKcS1_S1_S1_S1_PKiPfP15HIP_vector_typeIfLj2EEffffjfiS5_IjLj3EEiiiiiiiiiiiliiliiiiil.num_agpr, max(0, .L_ZL14no_device_codePKciS0_iS0_.num_agpr)
	.set _ZL15flash_attn_tileILi96ELi96ELi2ELi2ELb1EEvPKcS1_S1_S1_S1_PKiPfP15HIP_vector_typeIfLj2EEffffjfiS5_IjLj3EEiiiiiiiiiiiliiliiiiil.numbered_sgpr, max(33, .L_ZL14no_device_codePKciS0_iS0_.numbered_sgpr)
	.set _ZL15flash_attn_tileILi96ELi96ELi2ELi2ELb1EEvPKcS1_S1_S1_S1_PKiPfP15HIP_vector_typeIfLj2EEffffjfiS5_IjLj3EEiiiiiiiiiiiliiliiiiil.num_named_barrier, max(0, .L_ZL14no_device_codePKciS0_iS0_.num_named_barrier)
	.set _ZL15flash_attn_tileILi96ELi96ELi2ELi2ELb1EEvPKcS1_S1_S1_S1_PKiPfP15HIP_vector_typeIfLj2EEffffjfiS5_IjLj3EEiiiiiiiiiiiliiliiiiil.private_seg_size, 0+max(.L_ZL14no_device_codePKciS0_iS0_.private_seg_size)
	.set _ZL15flash_attn_tileILi96ELi96ELi2ELi2ELb1EEvPKcS1_S1_S1_S1_PKiPfP15HIP_vector_typeIfLj2EEffffjfiS5_IjLj3EEiiiiiiiiiiiliiliiiiil.uses_vcc, or(1, .L_ZL14no_device_codePKciS0_iS0_.uses_vcc)
	.set _ZL15flash_attn_tileILi96ELi96ELi2ELi2ELb1EEvPKcS1_S1_S1_S1_PKiPfP15HIP_vector_typeIfLj2EEffffjfiS5_IjLj3EEiiiiiiiiiiiliiliiiiil.uses_flat_scratch, or(0, .L_ZL14no_device_codePKciS0_iS0_.uses_flat_scratch)
	.set _ZL15flash_attn_tileILi96ELi96ELi2ELi2ELb1EEvPKcS1_S1_S1_S1_PKiPfP15HIP_vector_typeIfLj2EEffffjfiS5_IjLj3EEiiiiiiiiiiiliiliiiiil.has_dyn_sized_stack, or(0, .L_ZL14no_device_codePKciS0_iS0_.has_dyn_sized_stack)
	.set _ZL15flash_attn_tileILi96ELi96ELi2ELi2ELb1EEvPKcS1_S1_S1_S1_PKiPfP15HIP_vector_typeIfLj2EEffffjfiS5_IjLj3EEiiiiiiiiiiiliiliiiiil.has_recursion, or(0, .L_ZL14no_device_codePKciS0_iS0_.has_recursion)
	.set _ZL15flash_attn_tileILi96ELi96ELi2ELi2ELb1EEvPKcS1_S1_S1_S1_PKiPfP15HIP_vector_typeIfLj2EEffffjfiS5_IjLj3EEiiiiiiiiiiiliiliiiiil.has_indirect_call, or(0, .L_ZL14no_device_codePKciS0_iS0_.has_indirect_call)
	.section	.AMDGPU.csdata,"",@progbits
; Kernel info:
; codeLenInByte = 32
; TotalNumSgprs: 36
; NumVgprs: 50
; ScratchSize: 16
; MemoryBound: 0
; FloatMode: 240
; IeeeMode: 1
; LDSByteSize: 0 bytes/workgroup (compile time only)
; SGPRBlocks: 0
; VGPRBlocks: 3
; NumSGPRsForWavesPerEU: 36
; NumVGPRsForWavesPerEU: 50
; NamedBarCnt: 0
; Occupancy: 16
; WaveLimiterHint : 1
; COMPUTE_PGM_RSRC2:SCRATCH_EN: 1
; COMPUTE_PGM_RSRC2:USER_SGPR: 2
; COMPUTE_PGM_RSRC2:TRAP_HANDLER: 0
; COMPUTE_PGM_RSRC2:TGID_X_EN: 1
; COMPUTE_PGM_RSRC2:TGID_Y_EN: 0
; COMPUTE_PGM_RSRC2:TGID_Z_EN: 0
; COMPUTE_PGM_RSRC2:TIDIG_COMP_CNT: 0
	.section	.text._ZL15flash_attn_tileILi96ELi96ELi1ELi2ELb1EEvPKcS1_S1_S1_S1_PKiPfP15HIP_vector_typeIfLj2EEffffjfiS5_IjLj3EEiiiiiiiiiiiliiliiiiil,"axG",@progbits,_ZL15flash_attn_tileILi96ELi96ELi1ELi2ELb1EEvPKcS1_S1_S1_S1_PKiPfP15HIP_vector_typeIfLj2EEffffjfiS5_IjLj3EEiiiiiiiiiiiliiliiiiil,comdat
	.globl	_ZL15flash_attn_tileILi96ELi96ELi1ELi2ELb1EEvPKcS1_S1_S1_S1_PKiPfP15HIP_vector_typeIfLj2EEffffjfiS5_IjLj3EEiiiiiiiiiiiliiliiiiil ; -- Begin function _ZL15flash_attn_tileILi96ELi96ELi1ELi2ELb1EEvPKcS1_S1_S1_S1_PKiPfP15HIP_vector_typeIfLj2EEffffjfiS5_IjLj3EEiiiiiiiiiiiliiliiiiil
	.p2align	8
	.type	_ZL15flash_attn_tileILi96ELi96ELi1ELi2ELb1EEvPKcS1_S1_S1_S1_PKiPfP15HIP_vector_typeIfLj2EEffffjfiS5_IjLj3EEiiiiiiiiiiiliiliiiiil,@function
_ZL15flash_attn_tileILi96ELi96ELi1ELi2ELb1EEvPKcS1_S1_S1_S1_PKiPfP15HIP_vector_typeIfLj2EEffffjfiS5_IjLj3EEiiiiiiiiiiiliiliiiiil: ; @_ZL15flash_attn_tileILi96ELi96ELi1ELi2ELb1EEvPKcS1_S1_S1_S1_PKiPfP15HIP_vector_typeIfLj2EEffffjfiS5_IjLj3EEiiiiiiiiiiiliiliiiiil
; %bb.0:
	s_get_pc_i64 s[2:3]
	s_add_nc_u64 s[2:3], s[2:3], _ZL14no_device_codePKciS0_iS0_@rel64+4
	s_add_nc_u64 s[8:9], s[0:1], 0xd0
	s_mov_b32 s32, 0
	s_swap_pc_i64 s[30:31], s[2:3]
	.section	.rodata,"a",@progbits
	.p2align	6, 0x0
	.amdhsa_kernel _ZL15flash_attn_tileILi96ELi96ELi1ELi2ELb1EEvPKcS1_S1_S1_S1_PKiPfP15HIP_vector_typeIfLj2EEffffjfiS5_IjLj3EEiiiiiiiiiiiliiliiiiil
		.amdhsa_group_segment_fixed_size 0
		.amdhsa_private_segment_fixed_size 16
		.amdhsa_kernarg_size 464
		.amdhsa_user_sgpr_count 2
		.amdhsa_user_sgpr_dispatch_ptr 0
		.amdhsa_user_sgpr_queue_ptr 0
		.amdhsa_user_sgpr_kernarg_segment_ptr 1
		.amdhsa_user_sgpr_dispatch_id 0
		.amdhsa_user_sgpr_kernarg_preload_length 0
		.amdhsa_user_sgpr_kernarg_preload_offset 0
		.amdhsa_user_sgpr_private_segment_size 0
		.amdhsa_wavefront_size32 1
		.amdhsa_uses_dynamic_stack 0
		.amdhsa_enable_private_segment 1
		.amdhsa_system_sgpr_workgroup_id_x 1
		.amdhsa_system_sgpr_workgroup_id_y 0
		.amdhsa_system_sgpr_workgroup_id_z 0
		.amdhsa_system_sgpr_workgroup_info 0
		.amdhsa_system_vgpr_workitem_id 0
		.amdhsa_next_free_vgpr 50
		.amdhsa_next_free_sgpr 34
		.amdhsa_named_barrier_count 0
		.amdhsa_reserve_vcc 1
		.amdhsa_float_round_mode_32 0
		.amdhsa_float_round_mode_16_64 0
		.amdhsa_float_denorm_mode_32 3
		.amdhsa_float_denorm_mode_16_64 3
		.amdhsa_fp16_overflow 0
		.amdhsa_memory_ordered 1
		.amdhsa_forward_progress 1
		.amdhsa_inst_pref_size 1
		.amdhsa_round_robin_scheduling 0
		.amdhsa_exception_fp_ieee_invalid_op 0
		.amdhsa_exception_fp_denorm_src 0
		.amdhsa_exception_fp_ieee_div_zero 0
		.amdhsa_exception_fp_ieee_overflow 0
		.amdhsa_exception_fp_ieee_underflow 0
		.amdhsa_exception_fp_ieee_inexact 0
		.amdhsa_exception_int_div_zero 0
	.end_amdhsa_kernel
	.section	.text._ZL15flash_attn_tileILi96ELi96ELi1ELi2ELb1EEvPKcS1_S1_S1_S1_PKiPfP15HIP_vector_typeIfLj2EEffffjfiS5_IjLj3EEiiiiiiiiiiiliiliiiiil,"axG",@progbits,_ZL15flash_attn_tileILi96ELi96ELi1ELi2ELb1EEvPKcS1_S1_S1_S1_PKiPfP15HIP_vector_typeIfLj2EEffffjfiS5_IjLj3EEiiiiiiiiiiiliiliiiiil,comdat
.Lfunc_end88:
	.size	_ZL15flash_attn_tileILi96ELi96ELi1ELi2ELb1EEvPKcS1_S1_S1_S1_PKiPfP15HIP_vector_typeIfLj2EEffffjfiS5_IjLj3EEiiiiiiiiiiiliiliiiiil, .Lfunc_end88-_ZL15flash_attn_tileILi96ELi96ELi1ELi2ELb1EEvPKcS1_S1_S1_S1_PKiPfP15HIP_vector_typeIfLj2EEffffjfiS5_IjLj3EEiiiiiiiiiiiliiliiiiil
                                        ; -- End function
	.set _ZL15flash_attn_tileILi96ELi96ELi1ELi2ELb1EEvPKcS1_S1_S1_S1_PKiPfP15HIP_vector_typeIfLj2EEffffjfiS5_IjLj3EEiiiiiiiiiiiliiliiiiil.num_vgpr, max(0, .L_ZL14no_device_codePKciS0_iS0_.num_vgpr)
	.set _ZL15flash_attn_tileILi96ELi96ELi1ELi2ELb1EEvPKcS1_S1_S1_S1_PKiPfP15HIP_vector_typeIfLj2EEffffjfiS5_IjLj3EEiiiiiiiiiiiliiliiiiil.num_agpr, max(0, .L_ZL14no_device_codePKciS0_iS0_.num_agpr)
	.set _ZL15flash_attn_tileILi96ELi96ELi1ELi2ELb1EEvPKcS1_S1_S1_S1_PKiPfP15HIP_vector_typeIfLj2EEffffjfiS5_IjLj3EEiiiiiiiiiiiliiliiiiil.numbered_sgpr, max(33, .L_ZL14no_device_codePKciS0_iS0_.numbered_sgpr)
	.set _ZL15flash_attn_tileILi96ELi96ELi1ELi2ELb1EEvPKcS1_S1_S1_S1_PKiPfP15HIP_vector_typeIfLj2EEffffjfiS5_IjLj3EEiiiiiiiiiiiliiliiiiil.num_named_barrier, max(0, .L_ZL14no_device_codePKciS0_iS0_.num_named_barrier)
	.set _ZL15flash_attn_tileILi96ELi96ELi1ELi2ELb1EEvPKcS1_S1_S1_S1_PKiPfP15HIP_vector_typeIfLj2EEffffjfiS5_IjLj3EEiiiiiiiiiiiliiliiiiil.private_seg_size, 0+max(.L_ZL14no_device_codePKciS0_iS0_.private_seg_size)
	.set _ZL15flash_attn_tileILi96ELi96ELi1ELi2ELb1EEvPKcS1_S1_S1_S1_PKiPfP15HIP_vector_typeIfLj2EEffffjfiS5_IjLj3EEiiiiiiiiiiiliiliiiiil.uses_vcc, or(1, .L_ZL14no_device_codePKciS0_iS0_.uses_vcc)
	.set _ZL15flash_attn_tileILi96ELi96ELi1ELi2ELb1EEvPKcS1_S1_S1_S1_PKiPfP15HIP_vector_typeIfLj2EEffffjfiS5_IjLj3EEiiiiiiiiiiiliiliiiiil.uses_flat_scratch, or(0, .L_ZL14no_device_codePKciS0_iS0_.uses_flat_scratch)
	.set _ZL15flash_attn_tileILi96ELi96ELi1ELi2ELb1EEvPKcS1_S1_S1_S1_PKiPfP15HIP_vector_typeIfLj2EEffffjfiS5_IjLj3EEiiiiiiiiiiiliiliiiiil.has_dyn_sized_stack, or(0, .L_ZL14no_device_codePKciS0_iS0_.has_dyn_sized_stack)
	.set _ZL15flash_attn_tileILi96ELi96ELi1ELi2ELb1EEvPKcS1_S1_S1_S1_PKiPfP15HIP_vector_typeIfLj2EEffffjfiS5_IjLj3EEiiiiiiiiiiiliiliiiiil.has_recursion, or(0, .L_ZL14no_device_codePKciS0_iS0_.has_recursion)
	.set _ZL15flash_attn_tileILi96ELi96ELi1ELi2ELb1EEvPKcS1_S1_S1_S1_PKiPfP15HIP_vector_typeIfLj2EEffffjfiS5_IjLj3EEiiiiiiiiiiiliiliiiiil.has_indirect_call, or(0, .L_ZL14no_device_codePKciS0_iS0_.has_indirect_call)
	.section	.AMDGPU.csdata,"",@progbits
; Kernel info:
; codeLenInByte = 32
; TotalNumSgprs: 36
; NumVgprs: 50
; ScratchSize: 16
; MemoryBound: 0
; FloatMode: 240
; IeeeMode: 1
; LDSByteSize: 0 bytes/workgroup (compile time only)
; SGPRBlocks: 0
; VGPRBlocks: 3
; NumSGPRsForWavesPerEU: 36
; NumVGPRsForWavesPerEU: 50
; NamedBarCnt: 0
; Occupancy: 16
; WaveLimiterHint : 1
; COMPUTE_PGM_RSRC2:SCRATCH_EN: 1
; COMPUTE_PGM_RSRC2:USER_SGPR: 2
; COMPUTE_PGM_RSRC2:TRAP_HANDLER: 0
; COMPUTE_PGM_RSRC2:TGID_X_EN: 1
; COMPUTE_PGM_RSRC2:TGID_Y_EN: 0
; COMPUTE_PGM_RSRC2:TGID_Z_EN: 0
; COMPUTE_PGM_RSRC2:TIDIG_COMP_CNT: 0
	.section	.text._ZL15flash_attn_tileILi96ELi96ELi64ELi1ELb1EEvPKcS1_S1_S1_S1_PKiPfP15HIP_vector_typeIfLj2EEffffjfiS5_IjLj3EEiiiiiiiiiiiliiliiiiil,"axG",@progbits,_ZL15flash_attn_tileILi96ELi96ELi64ELi1ELb1EEvPKcS1_S1_S1_S1_PKiPfP15HIP_vector_typeIfLj2EEffffjfiS5_IjLj3EEiiiiiiiiiiiliiliiiiil,comdat
	.globl	_ZL15flash_attn_tileILi96ELi96ELi64ELi1ELb1EEvPKcS1_S1_S1_S1_PKiPfP15HIP_vector_typeIfLj2EEffffjfiS5_IjLj3EEiiiiiiiiiiiliiliiiiil ; -- Begin function _ZL15flash_attn_tileILi96ELi96ELi64ELi1ELb1EEvPKcS1_S1_S1_S1_PKiPfP15HIP_vector_typeIfLj2EEffffjfiS5_IjLj3EEiiiiiiiiiiiliiliiiiil
	.p2align	8
	.type	_ZL15flash_attn_tileILi96ELi96ELi64ELi1ELb1EEvPKcS1_S1_S1_S1_PKiPfP15HIP_vector_typeIfLj2EEffffjfiS5_IjLj3EEiiiiiiiiiiiliiliiiiil,@function
_ZL15flash_attn_tileILi96ELi96ELi64ELi1ELb1EEvPKcS1_S1_S1_S1_PKiPfP15HIP_vector_typeIfLj2EEffffjfiS5_IjLj3EEiiiiiiiiiiiliiliiiiil: ; @_ZL15flash_attn_tileILi96ELi96ELi64ELi1ELb1EEvPKcS1_S1_S1_S1_PKiPfP15HIP_vector_typeIfLj2EEffffjfiS5_IjLj3EEiiiiiiiiiiiliiliiiiil
; %bb.0:
	s_get_pc_i64 s[2:3]
	s_add_nc_u64 s[2:3], s[2:3], _ZL14no_device_codePKciS0_iS0_@rel64+4
	s_add_nc_u64 s[8:9], s[0:1], 0xd0
	s_mov_b32 s32, 0
	s_swap_pc_i64 s[30:31], s[2:3]
	.section	.rodata,"a",@progbits
	.p2align	6, 0x0
	.amdhsa_kernel _ZL15flash_attn_tileILi96ELi96ELi64ELi1ELb1EEvPKcS1_S1_S1_S1_PKiPfP15HIP_vector_typeIfLj2EEffffjfiS5_IjLj3EEiiiiiiiiiiiliiliiiiil
		.amdhsa_group_segment_fixed_size 0
		.amdhsa_private_segment_fixed_size 16
		.amdhsa_kernarg_size 464
		.amdhsa_user_sgpr_count 2
		.amdhsa_user_sgpr_dispatch_ptr 0
		.amdhsa_user_sgpr_queue_ptr 0
		.amdhsa_user_sgpr_kernarg_segment_ptr 1
		.amdhsa_user_sgpr_dispatch_id 0
		.amdhsa_user_sgpr_kernarg_preload_length 0
		.amdhsa_user_sgpr_kernarg_preload_offset 0
		.amdhsa_user_sgpr_private_segment_size 0
		.amdhsa_wavefront_size32 1
		.amdhsa_uses_dynamic_stack 0
		.amdhsa_enable_private_segment 1
		.amdhsa_system_sgpr_workgroup_id_x 1
		.amdhsa_system_sgpr_workgroup_id_y 0
		.amdhsa_system_sgpr_workgroup_id_z 0
		.amdhsa_system_sgpr_workgroup_info 0
		.amdhsa_system_vgpr_workitem_id 0
		.amdhsa_next_free_vgpr 50
		.amdhsa_next_free_sgpr 34
		.amdhsa_named_barrier_count 0
		.amdhsa_reserve_vcc 1
		.amdhsa_float_round_mode_32 0
		.amdhsa_float_round_mode_16_64 0
		.amdhsa_float_denorm_mode_32 3
		.amdhsa_float_denorm_mode_16_64 3
		.amdhsa_fp16_overflow 0
		.amdhsa_memory_ordered 1
		.amdhsa_forward_progress 1
		.amdhsa_inst_pref_size 1
		.amdhsa_round_robin_scheduling 0
		.amdhsa_exception_fp_ieee_invalid_op 0
		.amdhsa_exception_fp_denorm_src 0
		.amdhsa_exception_fp_ieee_div_zero 0
		.amdhsa_exception_fp_ieee_overflow 0
		.amdhsa_exception_fp_ieee_underflow 0
		.amdhsa_exception_fp_ieee_inexact 0
		.amdhsa_exception_int_div_zero 0
	.end_amdhsa_kernel
	.section	.text._ZL15flash_attn_tileILi96ELi96ELi64ELi1ELb1EEvPKcS1_S1_S1_S1_PKiPfP15HIP_vector_typeIfLj2EEffffjfiS5_IjLj3EEiiiiiiiiiiiliiliiiiil,"axG",@progbits,_ZL15flash_attn_tileILi96ELi96ELi64ELi1ELb1EEvPKcS1_S1_S1_S1_PKiPfP15HIP_vector_typeIfLj2EEffffjfiS5_IjLj3EEiiiiiiiiiiiliiliiiiil,comdat
.Lfunc_end89:
	.size	_ZL15flash_attn_tileILi96ELi96ELi64ELi1ELb1EEvPKcS1_S1_S1_S1_PKiPfP15HIP_vector_typeIfLj2EEffffjfiS5_IjLj3EEiiiiiiiiiiiliiliiiiil, .Lfunc_end89-_ZL15flash_attn_tileILi96ELi96ELi64ELi1ELb1EEvPKcS1_S1_S1_S1_PKiPfP15HIP_vector_typeIfLj2EEffffjfiS5_IjLj3EEiiiiiiiiiiiliiliiiiil
                                        ; -- End function
	.set _ZL15flash_attn_tileILi96ELi96ELi64ELi1ELb1EEvPKcS1_S1_S1_S1_PKiPfP15HIP_vector_typeIfLj2EEffffjfiS5_IjLj3EEiiiiiiiiiiiliiliiiiil.num_vgpr, max(0, .L_ZL14no_device_codePKciS0_iS0_.num_vgpr)
	.set _ZL15flash_attn_tileILi96ELi96ELi64ELi1ELb1EEvPKcS1_S1_S1_S1_PKiPfP15HIP_vector_typeIfLj2EEffffjfiS5_IjLj3EEiiiiiiiiiiiliiliiiiil.num_agpr, max(0, .L_ZL14no_device_codePKciS0_iS0_.num_agpr)
	.set _ZL15flash_attn_tileILi96ELi96ELi64ELi1ELb1EEvPKcS1_S1_S1_S1_PKiPfP15HIP_vector_typeIfLj2EEffffjfiS5_IjLj3EEiiiiiiiiiiiliiliiiiil.numbered_sgpr, max(33, .L_ZL14no_device_codePKciS0_iS0_.numbered_sgpr)
	.set _ZL15flash_attn_tileILi96ELi96ELi64ELi1ELb1EEvPKcS1_S1_S1_S1_PKiPfP15HIP_vector_typeIfLj2EEffffjfiS5_IjLj3EEiiiiiiiiiiiliiliiiiil.num_named_barrier, max(0, .L_ZL14no_device_codePKciS0_iS0_.num_named_barrier)
	.set _ZL15flash_attn_tileILi96ELi96ELi64ELi1ELb1EEvPKcS1_S1_S1_S1_PKiPfP15HIP_vector_typeIfLj2EEffffjfiS5_IjLj3EEiiiiiiiiiiiliiliiiiil.private_seg_size, 0+max(.L_ZL14no_device_codePKciS0_iS0_.private_seg_size)
	.set _ZL15flash_attn_tileILi96ELi96ELi64ELi1ELb1EEvPKcS1_S1_S1_S1_PKiPfP15HIP_vector_typeIfLj2EEffffjfiS5_IjLj3EEiiiiiiiiiiiliiliiiiil.uses_vcc, or(1, .L_ZL14no_device_codePKciS0_iS0_.uses_vcc)
	.set _ZL15flash_attn_tileILi96ELi96ELi64ELi1ELb1EEvPKcS1_S1_S1_S1_PKiPfP15HIP_vector_typeIfLj2EEffffjfiS5_IjLj3EEiiiiiiiiiiiliiliiiiil.uses_flat_scratch, or(0, .L_ZL14no_device_codePKciS0_iS0_.uses_flat_scratch)
	.set _ZL15flash_attn_tileILi96ELi96ELi64ELi1ELb1EEvPKcS1_S1_S1_S1_PKiPfP15HIP_vector_typeIfLj2EEffffjfiS5_IjLj3EEiiiiiiiiiiiliiliiiiil.has_dyn_sized_stack, or(0, .L_ZL14no_device_codePKciS0_iS0_.has_dyn_sized_stack)
	.set _ZL15flash_attn_tileILi96ELi96ELi64ELi1ELb1EEvPKcS1_S1_S1_S1_PKiPfP15HIP_vector_typeIfLj2EEffffjfiS5_IjLj3EEiiiiiiiiiiiliiliiiiil.has_recursion, or(0, .L_ZL14no_device_codePKciS0_iS0_.has_recursion)
	.set _ZL15flash_attn_tileILi96ELi96ELi64ELi1ELb1EEvPKcS1_S1_S1_S1_PKiPfP15HIP_vector_typeIfLj2EEffffjfiS5_IjLj3EEiiiiiiiiiiiliiliiiiil.has_indirect_call, or(0, .L_ZL14no_device_codePKciS0_iS0_.has_indirect_call)
	.section	.AMDGPU.csdata,"",@progbits
; Kernel info:
; codeLenInByte = 32
; TotalNumSgprs: 36
; NumVgprs: 50
; ScratchSize: 16
; MemoryBound: 0
; FloatMode: 240
; IeeeMode: 1
; LDSByteSize: 0 bytes/workgroup (compile time only)
; SGPRBlocks: 0
; VGPRBlocks: 3
; NumSGPRsForWavesPerEU: 36
; NumVGPRsForWavesPerEU: 50
; NamedBarCnt: 0
; Occupancy: 16
; WaveLimiterHint : 1
; COMPUTE_PGM_RSRC2:SCRATCH_EN: 1
; COMPUTE_PGM_RSRC2:USER_SGPR: 2
; COMPUTE_PGM_RSRC2:TRAP_HANDLER: 0
; COMPUTE_PGM_RSRC2:TGID_X_EN: 1
; COMPUTE_PGM_RSRC2:TGID_Y_EN: 0
; COMPUTE_PGM_RSRC2:TGID_Z_EN: 0
; COMPUTE_PGM_RSRC2:TIDIG_COMP_CNT: 0
	.section	.text._ZL15flash_attn_tileILi96ELi96ELi32ELi1ELb1EEvPKcS1_S1_S1_S1_PKiPfP15HIP_vector_typeIfLj2EEffffjfiS5_IjLj3EEiiiiiiiiiiiliiliiiiil,"axG",@progbits,_ZL15flash_attn_tileILi96ELi96ELi32ELi1ELb1EEvPKcS1_S1_S1_S1_PKiPfP15HIP_vector_typeIfLj2EEffffjfiS5_IjLj3EEiiiiiiiiiiiliiliiiiil,comdat
	.globl	_ZL15flash_attn_tileILi96ELi96ELi32ELi1ELb1EEvPKcS1_S1_S1_S1_PKiPfP15HIP_vector_typeIfLj2EEffffjfiS5_IjLj3EEiiiiiiiiiiiliiliiiiil ; -- Begin function _ZL15flash_attn_tileILi96ELi96ELi32ELi1ELb1EEvPKcS1_S1_S1_S1_PKiPfP15HIP_vector_typeIfLj2EEffffjfiS5_IjLj3EEiiiiiiiiiiiliiliiiiil
	.p2align	8
	.type	_ZL15flash_attn_tileILi96ELi96ELi32ELi1ELb1EEvPKcS1_S1_S1_S1_PKiPfP15HIP_vector_typeIfLj2EEffffjfiS5_IjLj3EEiiiiiiiiiiiliiliiiiil,@function
_ZL15flash_attn_tileILi96ELi96ELi32ELi1ELb1EEvPKcS1_S1_S1_S1_PKiPfP15HIP_vector_typeIfLj2EEffffjfiS5_IjLj3EEiiiiiiiiiiiliiliiiiil: ; @_ZL15flash_attn_tileILi96ELi96ELi32ELi1ELb1EEvPKcS1_S1_S1_S1_PKiPfP15HIP_vector_typeIfLj2EEffffjfiS5_IjLj3EEiiiiiiiiiiiliiliiiiil
; %bb.0:
	s_get_pc_i64 s[2:3]
	s_add_nc_u64 s[2:3], s[2:3], _ZL14no_device_codePKciS0_iS0_@rel64+4
	s_add_nc_u64 s[8:9], s[0:1], 0xd0
	s_mov_b32 s32, 0
	s_swap_pc_i64 s[30:31], s[2:3]
	.section	.rodata,"a",@progbits
	.p2align	6, 0x0
	.amdhsa_kernel _ZL15flash_attn_tileILi96ELi96ELi32ELi1ELb1EEvPKcS1_S1_S1_S1_PKiPfP15HIP_vector_typeIfLj2EEffffjfiS5_IjLj3EEiiiiiiiiiiiliiliiiiil
		.amdhsa_group_segment_fixed_size 0
		.amdhsa_private_segment_fixed_size 16
		.amdhsa_kernarg_size 464
		.amdhsa_user_sgpr_count 2
		.amdhsa_user_sgpr_dispatch_ptr 0
		.amdhsa_user_sgpr_queue_ptr 0
		.amdhsa_user_sgpr_kernarg_segment_ptr 1
		.amdhsa_user_sgpr_dispatch_id 0
		.amdhsa_user_sgpr_kernarg_preload_length 0
		.amdhsa_user_sgpr_kernarg_preload_offset 0
		.amdhsa_user_sgpr_private_segment_size 0
		.amdhsa_wavefront_size32 1
		.amdhsa_uses_dynamic_stack 0
		.amdhsa_enable_private_segment 1
		.amdhsa_system_sgpr_workgroup_id_x 1
		.amdhsa_system_sgpr_workgroup_id_y 0
		.amdhsa_system_sgpr_workgroup_id_z 0
		.amdhsa_system_sgpr_workgroup_info 0
		.amdhsa_system_vgpr_workitem_id 0
		.amdhsa_next_free_vgpr 50
		.amdhsa_next_free_sgpr 34
		.amdhsa_named_barrier_count 0
		.amdhsa_reserve_vcc 1
		.amdhsa_float_round_mode_32 0
		.amdhsa_float_round_mode_16_64 0
		.amdhsa_float_denorm_mode_32 3
		.amdhsa_float_denorm_mode_16_64 3
		.amdhsa_fp16_overflow 0
		.amdhsa_memory_ordered 1
		.amdhsa_forward_progress 1
		.amdhsa_inst_pref_size 1
		.amdhsa_round_robin_scheduling 0
		.amdhsa_exception_fp_ieee_invalid_op 0
		.amdhsa_exception_fp_denorm_src 0
		.amdhsa_exception_fp_ieee_div_zero 0
		.amdhsa_exception_fp_ieee_overflow 0
		.amdhsa_exception_fp_ieee_underflow 0
		.amdhsa_exception_fp_ieee_inexact 0
		.amdhsa_exception_int_div_zero 0
	.end_amdhsa_kernel
	.section	.text._ZL15flash_attn_tileILi96ELi96ELi32ELi1ELb1EEvPKcS1_S1_S1_S1_PKiPfP15HIP_vector_typeIfLj2EEffffjfiS5_IjLj3EEiiiiiiiiiiiliiliiiiil,"axG",@progbits,_ZL15flash_attn_tileILi96ELi96ELi32ELi1ELb1EEvPKcS1_S1_S1_S1_PKiPfP15HIP_vector_typeIfLj2EEffffjfiS5_IjLj3EEiiiiiiiiiiiliiliiiiil,comdat
.Lfunc_end90:
	.size	_ZL15flash_attn_tileILi96ELi96ELi32ELi1ELb1EEvPKcS1_S1_S1_S1_PKiPfP15HIP_vector_typeIfLj2EEffffjfiS5_IjLj3EEiiiiiiiiiiiliiliiiiil, .Lfunc_end90-_ZL15flash_attn_tileILi96ELi96ELi32ELi1ELb1EEvPKcS1_S1_S1_S1_PKiPfP15HIP_vector_typeIfLj2EEffffjfiS5_IjLj3EEiiiiiiiiiiiliiliiiiil
                                        ; -- End function
	.set _ZL15flash_attn_tileILi96ELi96ELi32ELi1ELb1EEvPKcS1_S1_S1_S1_PKiPfP15HIP_vector_typeIfLj2EEffffjfiS5_IjLj3EEiiiiiiiiiiiliiliiiiil.num_vgpr, max(0, .L_ZL14no_device_codePKciS0_iS0_.num_vgpr)
	.set _ZL15flash_attn_tileILi96ELi96ELi32ELi1ELb1EEvPKcS1_S1_S1_S1_PKiPfP15HIP_vector_typeIfLj2EEffffjfiS5_IjLj3EEiiiiiiiiiiiliiliiiiil.num_agpr, max(0, .L_ZL14no_device_codePKciS0_iS0_.num_agpr)
	.set _ZL15flash_attn_tileILi96ELi96ELi32ELi1ELb1EEvPKcS1_S1_S1_S1_PKiPfP15HIP_vector_typeIfLj2EEffffjfiS5_IjLj3EEiiiiiiiiiiiliiliiiiil.numbered_sgpr, max(33, .L_ZL14no_device_codePKciS0_iS0_.numbered_sgpr)
	.set _ZL15flash_attn_tileILi96ELi96ELi32ELi1ELb1EEvPKcS1_S1_S1_S1_PKiPfP15HIP_vector_typeIfLj2EEffffjfiS5_IjLj3EEiiiiiiiiiiiliiliiiiil.num_named_barrier, max(0, .L_ZL14no_device_codePKciS0_iS0_.num_named_barrier)
	.set _ZL15flash_attn_tileILi96ELi96ELi32ELi1ELb1EEvPKcS1_S1_S1_S1_PKiPfP15HIP_vector_typeIfLj2EEffffjfiS5_IjLj3EEiiiiiiiiiiiliiliiiiil.private_seg_size, 0+max(.L_ZL14no_device_codePKciS0_iS0_.private_seg_size)
	.set _ZL15flash_attn_tileILi96ELi96ELi32ELi1ELb1EEvPKcS1_S1_S1_S1_PKiPfP15HIP_vector_typeIfLj2EEffffjfiS5_IjLj3EEiiiiiiiiiiiliiliiiiil.uses_vcc, or(1, .L_ZL14no_device_codePKciS0_iS0_.uses_vcc)
	.set _ZL15flash_attn_tileILi96ELi96ELi32ELi1ELb1EEvPKcS1_S1_S1_S1_PKiPfP15HIP_vector_typeIfLj2EEffffjfiS5_IjLj3EEiiiiiiiiiiiliiliiiiil.uses_flat_scratch, or(0, .L_ZL14no_device_codePKciS0_iS0_.uses_flat_scratch)
	.set _ZL15flash_attn_tileILi96ELi96ELi32ELi1ELb1EEvPKcS1_S1_S1_S1_PKiPfP15HIP_vector_typeIfLj2EEffffjfiS5_IjLj3EEiiiiiiiiiiiliiliiiiil.has_dyn_sized_stack, or(0, .L_ZL14no_device_codePKciS0_iS0_.has_dyn_sized_stack)
	.set _ZL15flash_attn_tileILi96ELi96ELi32ELi1ELb1EEvPKcS1_S1_S1_S1_PKiPfP15HIP_vector_typeIfLj2EEffffjfiS5_IjLj3EEiiiiiiiiiiiliiliiiiil.has_recursion, or(0, .L_ZL14no_device_codePKciS0_iS0_.has_recursion)
	.set _ZL15flash_attn_tileILi96ELi96ELi32ELi1ELb1EEvPKcS1_S1_S1_S1_PKiPfP15HIP_vector_typeIfLj2EEffffjfiS5_IjLj3EEiiiiiiiiiiiliiliiiiil.has_indirect_call, or(0, .L_ZL14no_device_codePKciS0_iS0_.has_indirect_call)
	.section	.AMDGPU.csdata,"",@progbits
; Kernel info:
; codeLenInByte = 32
; TotalNumSgprs: 36
; NumVgprs: 50
; ScratchSize: 16
; MemoryBound: 0
; FloatMode: 240
; IeeeMode: 1
; LDSByteSize: 0 bytes/workgroup (compile time only)
; SGPRBlocks: 0
; VGPRBlocks: 3
; NumSGPRsForWavesPerEU: 36
; NumVGPRsForWavesPerEU: 50
; NamedBarCnt: 0
; Occupancy: 16
; WaveLimiterHint : 1
; COMPUTE_PGM_RSRC2:SCRATCH_EN: 1
; COMPUTE_PGM_RSRC2:USER_SGPR: 2
; COMPUTE_PGM_RSRC2:TRAP_HANDLER: 0
; COMPUTE_PGM_RSRC2:TGID_X_EN: 1
; COMPUTE_PGM_RSRC2:TGID_Y_EN: 0
; COMPUTE_PGM_RSRC2:TGID_Z_EN: 0
; COMPUTE_PGM_RSRC2:TIDIG_COMP_CNT: 0
	.section	.text._ZL15flash_attn_tileILi96ELi96ELi16ELi1ELb1EEvPKcS1_S1_S1_S1_PKiPfP15HIP_vector_typeIfLj2EEffffjfiS5_IjLj3EEiiiiiiiiiiiliiliiiiil,"axG",@progbits,_ZL15flash_attn_tileILi96ELi96ELi16ELi1ELb1EEvPKcS1_S1_S1_S1_PKiPfP15HIP_vector_typeIfLj2EEffffjfiS5_IjLj3EEiiiiiiiiiiiliiliiiiil,comdat
	.globl	_ZL15flash_attn_tileILi96ELi96ELi16ELi1ELb1EEvPKcS1_S1_S1_S1_PKiPfP15HIP_vector_typeIfLj2EEffffjfiS5_IjLj3EEiiiiiiiiiiiliiliiiiil ; -- Begin function _ZL15flash_attn_tileILi96ELi96ELi16ELi1ELb1EEvPKcS1_S1_S1_S1_PKiPfP15HIP_vector_typeIfLj2EEffffjfiS5_IjLj3EEiiiiiiiiiiiliiliiiiil
	.p2align	8
	.type	_ZL15flash_attn_tileILi96ELi96ELi16ELi1ELb1EEvPKcS1_S1_S1_S1_PKiPfP15HIP_vector_typeIfLj2EEffffjfiS5_IjLj3EEiiiiiiiiiiiliiliiiiil,@function
_ZL15flash_attn_tileILi96ELi96ELi16ELi1ELb1EEvPKcS1_S1_S1_S1_PKiPfP15HIP_vector_typeIfLj2EEffffjfiS5_IjLj3EEiiiiiiiiiiiliiliiiiil: ; @_ZL15flash_attn_tileILi96ELi96ELi16ELi1ELb1EEvPKcS1_S1_S1_S1_PKiPfP15HIP_vector_typeIfLj2EEffffjfiS5_IjLj3EEiiiiiiiiiiiliiliiiiil
; %bb.0:
	s_get_pc_i64 s[2:3]
	s_add_nc_u64 s[2:3], s[2:3], _ZL14no_device_codePKciS0_iS0_@rel64+4
	s_add_nc_u64 s[8:9], s[0:1], 0xd0
	s_mov_b32 s32, 0
	s_swap_pc_i64 s[30:31], s[2:3]
	.section	.rodata,"a",@progbits
	.p2align	6, 0x0
	.amdhsa_kernel _ZL15flash_attn_tileILi96ELi96ELi16ELi1ELb1EEvPKcS1_S1_S1_S1_PKiPfP15HIP_vector_typeIfLj2EEffffjfiS5_IjLj3EEiiiiiiiiiiiliiliiiiil
		.amdhsa_group_segment_fixed_size 0
		.amdhsa_private_segment_fixed_size 16
		.amdhsa_kernarg_size 464
		.amdhsa_user_sgpr_count 2
		.amdhsa_user_sgpr_dispatch_ptr 0
		.amdhsa_user_sgpr_queue_ptr 0
		.amdhsa_user_sgpr_kernarg_segment_ptr 1
		.amdhsa_user_sgpr_dispatch_id 0
		.amdhsa_user_sgpr_kernarg_preload_length 0
		.amdhsa_user_sgpr_kernarg_preload_offset 0
		.amdhsa_user_sgpr_private_segment_size 0
		.amdhsa_wavefront_size32 1
		.amdhsa_uses_dynamic_stack 0
		.amdhsa_enable_private_segment 1
		.amdhsa_system_sgpr_workgroup_id_x 1
		.amdhsa_system_sgpr_workgroup_id_y 0
		.amdhsa_system_sgpr_workgroup_id_z 0
		.amdhsa_system_sgpr_workgroup_info 0
		.amdhsa_system_vgpr_workitem_id 0
		.amdhsa_next_free_vgpr 50
		.amdhsa_next_free_sgpr 34
		.amdhsa_named_barrier_count 0
		.amdhsa_reserve_vcc 1
		.amdhsa_float_round_mode_32 0
		.amdhsa_float_round_mode_16_64 0
		.amdhsa_float_denorm_mode_32 3
		.amdhsa_float_denorm_mode_16_64 3
		.amdhsa_fp16_overflow 0
		.amdhsa_memory_ordered 1
		.amdhsa_forward_progress 1
		.amdhsa_inst_pref_size 1
		.amdhsa_round_robin_scheduling 0
		.amdhsa_exception_fp_ieee_invalid_op 0
		.amdhsa_exception_fp_denorm_src 0
		.amdhsa_exception_fp_ieee_div_zero 0
		.amdhsa_exception_fp_ieee_overflow 0
		.amdhsa_exception_fp_ieee_underflow 0
		.amdhsa_exception_fp_ieee_inexact 0
		.amdhsa_exception_int_div_zero 0
	.end_amdhsa_kernel
	.section	.text._ZL15flash_attn_tileILi96ELi96ELi16ELi1ELb1EEvPKcS1_S1_S1_S1_PKiPfP15HIP_vector_typeIfLj2EEffffjfiS5_IjLj3EEiiiiiiiiiiiliiliiiiil,"axG",@progbits,_ZL15flash_attn_tileILi96ELi96ELi16ELi1ELb1EEvPKcS1_S1_S1_S1_PKiPfP15HIP_vector_typeIfLj2EEffffjfiS5_IjLj3EEiiiiiiiiiiiliiliiiiil,comdat
.Lfunc_end91:
	.size	_ZL15flash_attn_tileILi96ELi96ELi16ELi1ELb1EEvPKcS1_S1_S1_S1_PKiPfP15HIP_vector_typeIfLj2EEffffjfiS5_IjLj3EEiiiiiiiiiiiliiliiiiil, .Lfunc_end91-_ZL15flash_attn_tileILi96ELi96ELi16ELi1ELb1EEvPKcS1_S1_S1_S1_PKiPfP15HIP_vector_typeIfLj2EEffffjfiS5_IjLj3EEiiiiiiiiiiiliiliiiiil
                                        ; -- End function
	.set _ZL15flash_attn_tileILi96ELi96ELi16ELi1ELb1EEvPKcS1_S1_S1_S1_PKiPfP15HIP_vector_typeIfLj2EEffffjfiS5_IjLj3EEiiiiiiiiiiiliiliiiiil.num_vgpr, max(0, .L_ZL14no_device_codePKciS0_iS0_.num_vgpr)
	.set _ZL15flash_attn_tileILi96ELi96ELi16ELi1ELb1EEvPKcS1_S1_S1_S1_PKiPfP15HIP_vector_typeIfLj2EEffffjfiS5_IjLj3EEiiiiiiiiiiiliiliiiiil.num_agpr, max(0, .L_ZL14no_device_codePKciS0_iS0_.num_agpr)
	.set _ZL15flash_attn_tileILi96ELi96ELi16ELi1ELb1EEvPKcS1_S1_S1_S1_PKiPfP15HIP_vector_typeIfLj2EEffffjfiS5_IjLj3EEiiiiiiiiiiiliiliiiiil.numbered_sgpr, max(33, .L_ZL14no_device_codePKciS0_iS0_.numbered_sgpr)
	.set _ZL15flash_attn_tileILi96ELi96ELi16ELi1ELb1EEvPKcS1_S1_S1_S1_PKiPfP15HIP_vector_typeIfLj2EEffffjfiS5_IjLj3EEiiiiiiiiiiiliiliiiiil.num_named_barrier, max(0, .L_ZL14no_device_codePKciS0_iS0_.num_named_barrier)
	.set _ZL15flash_attn_tileILi96ELi96ELi16ELi1ELb1EEvPKcS1_S1_S1_S1_PKiPfP15HIP_vector_typeIfLj2EEffffjfiS5_IjLj3EEiiiiiiiiiiiliiliiiiil.private_seg_size, 0+max(.L_ZL14no_device_codePKciS0_iS0_.private_seg_size)
	.set _ZL15flash_attn_tileILi96ELi96ELi16ELi1ELb1EEvPKcS1_S1_S1_S1_PKiPfP15HIP_vector_typeIfLj2EEffffjfiS5_IjLj3EEiiiiiiiiiiiliiliiiiil.uses_vcc, or(1, .L_ZL14no_device_codePKciS0_iS0_.uses_vcc)
	.set _ZL15flash_attn_tileILi96ELi96ELi16ELi1ELb1EEvPKcS1_S1_S1_S1_PKiPfP15HIP_vector_typeIfLj2EEffffjfiS5_IjLj3EEiiiiiiiiiiiliiliiiiil.uses_flat_scratch, or(0, .L_ZL14no_device_codePKciS0_iS0_.uses_flat_scratch)
	.set _ZL15flash_attn_tileILi96ELi96ELi16ELi1ELb1EEvPKcS1_S1_S1_S1_PKiPfP15HIP_vector_typeIfLj2EEffffjfiS5_IjLj3EEiiiiiiiiiiiliiliiiiil.has_dyn_sized_stack, or(0, .L_ZL14no_device_codePKciS0_iS0_.has_dyn_sized_stack)
	.set _ZL15flash_attn_tileILi96ELi96ELi16ELi1ELb1EEvPKcS1_S1_S1_S1_PKiPfP15HIP_vector_typeIfLj2EEffffjfiS5_IjLj3EEiiiiiiiiiiiliiliiiiil.has_recursion, or(0, .L_ZL14no_device_codePKciS0_iS0_.has_recursion)
	.set _ZL15flash_attn_tileILi96ELi96ELi16ELi1ELb1EEvPKcS1_S1_S1_S1_PKiPfP15HIP_vector_typeIfLj2EEffffjfiS5_IjLj3EEiiiiiiiiiiiliiliiiiil.has_indirect_call, or(0, .L_ZL14no_device_codePKciS0_iS0_.has_indirect_call)
	.section	.AMDGPU.csdata,"",@progbits
; Kernel info:
; codeLenInByte = 32
; TotalNumSgprs: 36
; NumVgprs: 50
; ScratchSize: 16
; MemoryBound: 0
; FloatMode: 240
; IeeeMode: 1
; LDSByteSize: 0 bytes/workgroup (compile time only)
; SGPRBlocks: 0
; VGPRBlocks: 3
; NumSGPRsForWavesPerEU: 36
; NumVGPRsForWavesPerEU: 50
; NamedBarCnt: 0
; Occupancy: 16
; WaveLimiterHint : 1
; COMPUTE_PGM_RSRC2:SCRATCH_EN: 1
; COMPUTE_PGM_RSRC2:USER_SGPR: 2
; COMPUTE_PGM_RSRC2:TRAP_HANDLER: 0
; COMPUTE_PGM_RSRC2:TGID_X_EN: 1
; COMPUTE_PGM_RSRC2:TGID_Y_EN: 0
; COMPUTE_PGM_RSRC2:TGID_Z_EN: 0
; COMPUTE_PGM_RSRC2:TIDIG_COMP_CNT: 0
	.section	.text._ZL15flash_attn_tileILi96ELi96ELi8ELi1ELb1EEvPKcS1_S1_S1_S1_PKiPfP15HIP_vector_typeIfLj2EEffffjfiS5_IjLj3EEiiiiiiiiiiiliiliiiiil,"axG",@progbits,_ZL15flash_attn_tileILi96ELi96ELi8ELi1ELb1EEvPKcS1_S1_S1_S1_PKiPfP15HIP_vector_typeIfLj2EEffffjfiS5_IjLj3EEiiiiiiiiiiiliiliiiiil,comdat
	.globl	_ZL15flash_attn_tileILi96ELi96ELi8ELi1ELb1EEvPKcS1_S1_S1_S1_PKiPfP15HIP_vector_typeIfLj2EEffffjfiS5_IjLj3EEiiiiiiiiiiiliiliiiiil ; -- Begin function _ZL15flash_attn_tileILi96ELi96ELi8ELi1ELb1EEvPKcS1_S1_S1_S1_PKiPfP15HIP_vector_typeIfLj2EEffffjfiS5_IjLj3EEiiiiiiiiiiiliiliiiiil
	.p2align	8
	.type	_ZL15flash_attn_tileILi96ELi96ELi8ELi1ELb1EEvPKcS1_S1_S1_S1_PKiPfP15HIP_vector_typeIfLj2EEffffjfiS5_IjLj3EEiiiiiiiiiiiliiliiiiil,@function
_ZL15flash_attn_tileILi96ELi96ELi8ELi1ELb1EEvPKcS1_S1_S1_S1_PKiPfP15HIP_vector_typeIfLj2EEffffjfiS5_IjLj3EEiiiiiiiiiiiliiliiiiil: ; @_ZL15flash_attn_tileILi96ELi96ELi8ELi1ELb1EEvPKcS1_S1_S1_S1_PKiPfP15HIP_vector_typeIfLj2EEffffjfiS5_IjLj3EEiiiiiiiiiiiliiliiiiil
; %bb.0:
	s_get_pc_i64 s[2:3]
	s_add_nc_u64 s[2:3], s[2:3], _ZL14no_device_codePKciS0_iS0_@rel64+4
	s_add_nc_u64 s[8:9], s[0:1], 0xd0
	s_mov_b32 s32, 0
	s_swap_pc_i64 s[30:31], s[2:3]
	.section	.rodata,"a",@progbits
	.p2align	6, 0x0
	.amdhsa_kernel _ZL15flash_attn_tileILi96ELi96ELi8ELi1ELb1EEvPKcS1_S1_S1_S1_PKiPfP15HIP_vector_typeIfLj2EEffffjfiS5_IjLj3EEiiiiiiiiiiiliiliiiiil
		.amdhsa_group_segment_fixed_size 0
		.amdhsa_private_segment_fixed_size 16
		.amdhsa_kernarg_size 464
		.amdhsa_user_sgpr_count 2
		.amdhsa_user_sgpr_dispatch_ptr 0
		.amdhsa_user_sgpr_queue_ptr 0
		.amdhsa_user_sgpr_kernarg_segment_ptr 1
		.amdhsa_user_sgpr_dispatch_id 0
		.amdhsa_user_sgpr_kernarg_preload_length 0
		.amdhsa_user_sgpr_kernarg_preload_offset 0
		.amdhsa_user_sgpr_private_segment_size 0
		.amdhsa_wavefront_size32 1
		.amdhsa_uses_dynamic_stack 0
		.amdhsa_enable_private_segment 1
		.amdhsa_system_sgpr_workgroup_id_x 1
		.amdhsa_system_sgpr_workgroup_id_y 0
		.amdhsa_system_sgpr_workgroup_id_z 0
		.amdhsa_system_sgpr_workgroup_info 0
		.amdhsa_system_vgpr_workitem_id 0
		.amdhsa_next_free_vgpr 50
		.amdhsa_next_free_sgpr 34
		.amdhsa_named_barrier_count 0
		.amdhsa_reserve_vcc 1
		.amdhsa_float_round_mode_32 0
		.amdhsa_float_round_mode_16_64 0
		.amdhsa_float_denorm_mode_32 3
		.amdhsa_float_denorm_mode_16_64 3
		.amdhsa_fp16_overflow 0
		.amdhsa_memory_ordered 1
		.amdhsa_forward_progress 1
		.amdhsa_inst_pref_size 1
		.amdhsa_round_robin_scheduling 0
		.amdhsa_exception_fp_ieee_invalid_op 0
		.amdhsa_exception_fp_denorm_src 0
		.amdhsa_exception_fp_ieee_div_zero 0
		.amdhsa_exception_fp_ieee_overflow 0
		.amdhsa_exception_fp_ieee_underflow 0
		.amdhsa_exception_fp_ieee_inexact 0
		.amdhsa_exception_int_div_zero 0
	.end_amdhsa_kernel
	.section	.text._ZL15flash_attn_tileILi96ELi96ELi8ELi1ELb1EEvPKcS1_S1_S1_S1_PKiPfP15HIP_vector_typeIfLj2EEffffjfiS5_IjLj3EEiiiiiiiiiiiliiliiiiil,"axG",@progbits,_ZL15flash_attn_tileILi96ELi96ELi8ELi1ELb1EEvPKcS1_S1_S1_S1_PKiPfP15HIP_vector_typeIfLj2EEffffjfiS5_IjLj3EEiiiiiiiiiiiliiliiiiil,comdat
.Lfunc_end92:
	.size	_ZL15flash_attn_tileILi96ELi96ELi8ELi1ELb1EEvPKcS1_S1_S1_S1_PKiPfP15HIP_vector_typeIfLj2EEffffjfiS5_IjLj3EEiiiiiiiiiiiliiliiiiil, .Lfunc_end92-_ZL15flash_attn_tileILi96ELi96ELi8ELi1ELb1EEvPKcS1_S1_S1_S1_PKiPfP15HIP_vector_typeIfLj2EEffffjfiS5_IjLj3EEiiiiiiiiiiiliiliiiiil
                                        ; -- End function
	.set _ZL15flash_attn_tileILi96ELi96ELi8ELi1ELb1EEvPKcS1_S1_S1_S1_PKiPfP15HIP_vector_typeIfLj2EEffffjfiS5_IjLj3EEiiiiiiiiiiiliiliiiiil.num_vgpr, max(0, .L_ZL14no_device_codePKciS0_iS0_.num_vgpr)
	.set _ZL15flash_attn_tileILi96ELi96ELi8ELi1ELb1EEvPKcS1_S1_S1_S1_PKiPfP15HIP_vector_typeIfLj2EEffffjfiS5_IjLj3EEiiiiiiiiiiiliiliiiiil.num_agpr, max(0, .L_ZL14no_device_codePKciS0_iS0_.num_agpr)
	.set _ZL15flash_attn_tileILi96ELi96ELi8ELi1ELb1EEvPKcS1_S1_S1_S1_PKiPfP15HIP_vector_typeIfLj2EEffffjfiS5_IjLj3EEiiiiiiiiiiiliiliiiiil.numbered_sgpr, max(33, .L_ZL14no_device_codePKciS0_iS0_.numbered_sgpr)
	.set _ZL15flash_attn_tileILi96ELi96ELi8ELi1ELb1EEvPKcS1_S1_S1_S1_PKiPfP15HIP_vector_typeIfLj2EEffffjfiS5_IjLj3EEiiiiiiiiiiiliiliiiiil.num_named_barrier, max(0, .L_ZL14no_device_codePKciS0_iS0_.num_named_barrier)
	.set _ZL15flash_attn_tileILi96ELi96ELi8ELi1ELb1EEvPKcS1_S1_S1_S1_PKiPfP15HIP_vector_typeIfLj2EEffffjfiS5_IjLj3EEiiiiiiiiiiiliiliiiiil.private_seg_size, 0+max(.L_ZL14no_device_codePKciS0_iS0_.private_seg_size)
	.set _ZL15flash_attn_tileILi96ELi96ELi8ELi1ELb1EEvPKcS1_S1_S1_S1_PKiPfP15HIP_vector_typeIfLj2EEffffjfiS5_IjLj3EEiiiiiiiiiiiliiliiiiil.uses_vcc, or(1, .L_ZL14no_device_codePKciS0_iS0_.uses_vcc)
	.set _ZL15flash_attn_tileILi96ELi96ELi8ELi1ELb1EEvPKcS1_S1_S1_S1_PKiPfP15HIP_vector_typeIfLj2EEffffjfiS5_IjLj3EEiiiiiiiiiiiliiliiiiil.uses_flat_scratch, or(0, .L_ZL14no_device_codePKciS0_iS0_.uses_flat_scratch)
	.set _ZL15flash_attn_tileILi96ELi96ELi8ELi1ELb1EEvPKcS1_S1_S1_S1_PKiPfP15HIP_vector_typeIfLj2EEffffjfiS5_IjLj3EEiiiiiiiiiiiliiliiiiil.has_dyn_sized_stack, or(0, .L_ZL14no_device_codePKciS0_iS0_.has_dyn_sized_stack)
	.set _ZL15flash_attn_tileILi96ELi96ELi8ELi1ELb1EEvPKcS1_S1_S1_S1_PKiPfP15HIP_vector_typeIfLj2EEffffjfiS5_IjLj3EEiiiiiiiiiiiliiliiiiil.has_recursion, or(0, .L_ZL14no_device_codePKciS0_iS0_.has_recursion)
	.set _ZL15flash_attn_tileILi96ELi96ELi8ELi1ELb1EEvPKcS1_S1_S1_S1_PKiPfP15HIP_vector_typeIfLj2EEffffjfiS5_IjLj3EEiiiiiiiiiiiliiliiiiil.has_indirect_call, or(0, .L_ZL14no_device_codePKciS0_iS0_.has_indirect_call)
	.section	.AMDGPU.csdata,"",@progbits
; Kernel info:
; codeLenInByte = 32
; TotalNumSgprs: 36
; NumVgprs: 50
; ScratchSize: 16
; MemoryBound: 0
; FloatMode: 240
; IeeeMode: 1
; LDSByteSize: 0 bytes/workgroup (compile time only)
; SGPRBlocks: 0
; VGPRBlocks: 3
; NumSGPRsForWavesPerEU: 36
; NumVGPRsForWavesPerEU: 50
; NamedBarCnt: 0
; Occupancy: 16
; WaveLimiterHint : 1
; COMPUTE_PGM_RSRC2:SCRATCH_EN: 1
; COMPUTE_PGM_RSRC2:USER_SGPR: 2
; COMPUTE_PGM_RSRC2:TRAP_HANDLER: 0
; COMPUTE_PGM_RSRC2:TGID_X_EN: 1
; COMPUTE_PGM_RSRC2:TGID_Y_EN: 0
; COMPUTE_PGM_RSRC2:TGID_Z_EN: 0
; COMPUTE_PGM_RSRC2:TIDIG_COMP_CNT: 0
	.section	.text._ZL15flash_attn_tileILi96ELi96ELi4ELi1ELb1EEvPKcS1_S1_S1_S1_PKiPfP15HIP_vector_typeIfLj2EEffffjfiS5_IjLj3EEiiiiiiiiiiiliiliiiiil,"axG",@progbits,_ZL15flash_attn_tileILi96ELi96ELi4ELi1ELb1EEvPKcS1_S1_S1_S1_PKiPfP15HIP_vector_typeIfLj2EEffffjfiS5_IjLj3EEiiiiiiiiiiiliiliiiiil,comdat
	.globl	_ZL15flash_attn_tileILi96ELi96ELi4ELi1ELb1EEvPKcS1_S1_S1_S1_PKiPfP15HIP_vector_typeIfLj2EEffffjfiS5_IjLj3EEiiiiiiiiiiiliiliiiiil ; -- Begin function _ZL15flash_attn_tileILi96ELi96ELi4ELi1ELb1EEvPKcS1_S1_S1_S1_PKiPfP15HIP_vector_typeIfLj2EEffffjfiS5_IjLj3EEiiiiiiiiiiiliiliiiiil
	.p2align	8
	.type	_ZL15flash_attn_tileILi96ELi96ELi4ELi1ELb1EEvPKcS1_S1_S1_S1_PKiPfP15HIP_vector_typeIfLj2EEffffjfiS5_IjLj3EEiiiiiiiiiiiliiliiiiil,@function
_ZL15flash_attn_tileILi96ELi96ELi4ELi1ELb1EEvPKcS1_S1_S1_S1_PKiPfP15HIP_vector_typeIfLj2EEffffjfiS5_IjLj3EEiiiiiiiiiiiliiliiiiil: ; @_ZL15flash_attn_tileILi96ELi96ELi4ELi1ELb1EEvPKcS1_S1_S1_S1_PKiPfP15HIP_vector_typeIfLj2EEffffjfiS5_IjLj3EEiiiiiiiiiiiliiliiiiil
; %bb.0:
	s_get_pc_i64 s[2:3]
	s_add_nc_u64 s[2:3], s[2:3], _ZL14no_device_codePKciS0_iS0_@rel64+4
	s_add_nc_u64 s[8:9], s[0:1], 0xd0
	s_mov_b32 s32, 0
	s_swap_pc_i64 s[30:31], s[2:3]
	.section	.rodata,"a",@progbits
	.p2align	6, 0x0
	.amdhsa_kernel _ZL15flash_attn_tileILi96ELi96ELi4ELi1ELb1EEvPKcS1_S1_S1_S1_PKiPfP15HIP_vector_typeIfLj2EEffffjfiS5_IjLj3EEiiiiiiiiiiiliiliiiiil
		.amdhsa_group_segment_fixed_size 0
		.amdhsa_private_segment_fixed_size 16
		.amdhsa_kernarg_size 464
		.amdhsa_user_sgpr_count 2
		.amdhsa_user_sgpr_dispatch_ptr 0
		.amdhsa_user_sgpr_queue_ptr 0
		.amdhsa_user_sgpr_kernarg_segment_ptr 1
		.amdhsa_user_sgpr_dispatch_id 0
		.amdhsa_user_sgpr_kernarg_preload_length 0
		.amdhsa_user_sgpr_kernarg_preload_offset 0
		.amdhsa_user_sgpr_private_segment_size 0
		.amdhsa_wavefront_size32 1
		.amdhsa_uses_dynamic_stack 0
		.amdhsa_enable_private_segment 1
		.amdhsa_system_sgpr_workgroup_id_x 1
		.amdhsa_system_sgpr_workgroup_id_y 0
		.amdhsa_system_sgpr_workgroup_id_z 0
		.amdhsa_system_sgpr_workgroup_info 0
		.amdhsa_system_vgpr_workitem_id 0
		.amdhsa_next_free_vgpr 50
		.amdhsa_next_free_sgpr 34
		.amdhsa_named_barrier_count 0
		.amdhsa_reserve_vcc 1
		.amdhsa_float_round_mode_32 0
		.amdhsa_float_round_mode_16_64 0
		.amdhsa_float_denorm_mode_32 3
		.amdhsa_float_denorm_mode_16_64 3
		.amdhsa_fp16_overflow 0
		.amdhsa_memory_ordered 1
		.amdhsa_forward_progress 1
		.amdhsa_inst_pref_size 1
		.amdhsa_round_robin_scheduling 0
		.amdhsa_exception_fp_ieee_invalid_op 0
		.amdhsa_exception_fp_denorm_src 0
		.amdhsa_exception_fp_ieee_div_zero 0
		.amdhsa_exception_fp_ieee_overflow 0
		.amdhsa_exception_fp_ieee_underflow 0
		.amdhsa_exception_fp_ieee_inexact 0
		.amdhsa_exception_int_div_zero 0
	.end_amdhsa_kernel
	.section	.text._ZL15flash_attn_tileILi96ELi96ELi4ELi1ELb1EEvPKcS1_S1_S1_S1_PKiPfP15HIP_vector_typeIfLj2EEffffjfiS5_IjLj3EEiiiiiiiiiiiliiliiiiil,"axG",@progbits,_ZL15flash_attn_tileILi96ELi96ELi4ELi1ELb1EEvPKcS1_S1_S1_S1_PKiPfP15HIP_vector_typeIfLj2EEffffjfiS5_IjLj3EEiiiiiiiiiiiliiliiiiil,comdat
.Lfunc_end93:
	.size	_ZL15flash_attn_tileILi96ELi96ELi4ELi1ELb1EEvPKcS1_S1_S1_S1_PKiPfP15HIP_vector_typeIfLj2EEffffjfiS5_IjLj3EEiiiiiiiiiiiliiliiiiil, .Lfunc_end93-_ZL15flash_attn_tileILi96ELi96ELi4ELi1ELb1EEvPKcS1_S1_S1_S1_PKiPfP15HIP_vector_typeIfLj2EEffffjfiS5_IjLj3EEiiiiiiiiiiiliiliiiiil
                                        ; -- End function
	.set _ZL15flash_attn_tileILi96ELi96ELi4ELi1ELb1EEvPKcS1_S1_S1_S1_PKiPfP15HIP_vector_typeIfLj2EEffffjfiS5_IjLj3EEiiiiiiiiiiiliiliiiiil.num_vgpr, max(0, .L_ZL14no_device_codePKciS0_iS0_.num_vgpr)
	.set _ZL15flash_attn_tileILi96ELi96ELi4ELi1ELb1EEvPKcS1_S1_S1_S1_PKiPfP15HIP_vector_typeIfLj2EEffffjfiS5_IjLj3EEiiiiiiiiiiiliiliiiiil.num_agpr, max(0, .L_ZL14no_device_codePKciS0_iS0_.num_agpr)
	.set _ZL15flash_attn_tileILi96ELi96ELi4ELi1ELb1EEvPKcS1_S1_S1_S1_PKiPfP15HIP_vector_typeIfLj2EEffffjfiS5_IjLj3EEiiiiiiiiiiiliiliiiiil.numbered_sgpr, max(33, .L_ZL14no_device_codePKciS0_iS0_.numbered_sgpr)
	.set _ZL15flash_attn_tileILi96ELi96ELi4ELi1ELb1EEvPKcS1_S1_S1_S1_PKiPfP15HIP_vector_typeIfLj2EEffffjfiS5_IjLj3EEiiiiiiiiiiiliiliiiiil.num_named_barrier, max(0, .L_ZL14no_device_codePKciS0_iS0_.num_named_barrier)
	.set _ZL15flash_attn_tileILi96ELi96ELi4ELi1ELb1EEvPKcS1_S1_S1_S1_PKiPfP15HIP_vector_typeIfLj2EEffffjfiS5_IjLj3EEiiiiiiiiiiiliiliiiiil.private_seg_size, 0+max(.L_ZL14no_device_codePKciS0_iS0_.private_seg_size)
	.set _ZL15flash_attn_tileILi96ELi96ELi4ELi1ELb1EEvPKcS1_S1_S1_S1_PKiPfP15HIP_vector_typeIfLj2EEffffjfiS5_IjLj3EEiiiiiiiiiiiliiliiiiil.uses_vcc, or(1, .L_ZL14no_device_codePKciS0_iS0_.uses_vcc)
	.set _ZL15flash_attn_tileILi96ELi96ELi4ELi1ELb1EEvPKcS1_S1_S1_S1_PKiPfP15HIP_vector_typeIfLj2EEffffjfiS5_IjLj3EEiiiiiiiiiiiliiliiiiil.uses_flat_scratch, or(0, .L_ZL14no_device_codePKciS0_iS0_.uses_flat_scratch)
	.set _ZL15flash_attn_tileILi96ELi96ELi4ELi1ELb1EEvPKcS1_S1_S1_S1_PKiPfP15HIP_vector_typeIfLj2EEffffjfiS5_IjLj3EEiiiiiiiiiiiliiliiiiil.has_dyn_sized_stack, or(0, .L_ZL14no_device_codePKciS0_iS0_.has_dyn_sized_stack)
	.set _ZL15flash_attn_tileILi96ELi96ELi4ELi1ELb1EEvPKcS1_S1_S1_S1_PKiPfP15HIP_vector_typeIfLj2EEffffjfiS5_IjLj3EEiiiiiiiiiiiliiliiiiil.has_recursion, or(0, .L_ZL14no_device_codePKciS0_iS0_.has_recursion)
	.set _ZL15flash_attn_tileILi96ELi96ELi4ELi1ELb1EEvPKcS1_S1_S1_S1_PKiPfP15HIP_vector_typeIfLj2EEffffjfiS5_IjLj3EEiiiiiiiiiiiliiliiiiil.has_indirect_call, or(0, .L_ZL14no_device_codePKciS0_iS0_.has_indirect_call)
	.section	.AMDGPU.csdata,"",@progbits
; Kernel info:
; codeLenInByte = 32
; TotalNumSgprs: 36
; NumVgprs: 50
; ScratchSize: 16
; MemoryBound: 0
; FloatMode: 240
; IeeeMode: 1
; LDSByteSize: 0 bytes/workgroup (compile time only)
; SGPRBlocks: 0
; VGPRBlocks: 3
; NumSGPRsForWavesPerEU: 36
; NumVGPRsForWavesPerEU: 50
; NamedBarCnt: 0
; Occupancy: 16
; WaveLimiterHint : 1
; COMPUTE_PGM_RSRC2:SCRATCH_EN: 1
; COMPUTE_PGM_RSRC2:USER_SGPR: 2
; COMPUTE_PGM_RSRC2:TRAP_HANDLER: 0
; COMPUTE_PGM_RSRC2:TGID_X_EN: 1
; COMPUTE_PGM_RSRC2:TGID_Y_EN: 0
; COMPUTE_PGM_RSRC2:TGID_Z_EN: 0
; COMPUTE_PGM_RSRC2:TIDIG_COMP_CNT: 0
	.section	.text._ZL15flash_attn_tileILi96ELi96ELi2ELi1ELb1EEvPKcS1_S1_S1_S1_PKiPfP15HIP_vector_typeIfLj2EEffffjfiS5_IjLj3EEiiiiiiiiiiiliiliiiiil,"axG",@progbits,_ZL15flash_attn_tileILi96ELi96ELi2ELi1ELb1EEvPKcS1_S1_S1_S1_PKiPfP15HIP_vector_typeIfLj2EEffffjfiS5_IjLj3EEiiiiiiiiiiiliiliiiiil,comdat
	.globl	_ZL15flash_attn_tileILi96ELi96ELi2ELi1ELb1EEvPKcS1_S1_S1_S1_PKiPfP15HIP_vector_typeIfLj2EEffffjfiS5_IjLj3EEiiiiiiiiiiiliiliiiiil ; -- Begin function _ZL15flash_attn_tileILi96ELi96ELi2ELi1ELb1EEvPKcS1_S1_S1_S1_PKiPfP15HIP_vector_typeIfLj2EEffffjfiS5_IjLj3EEiiiiiiiiiiiliiliiiiil
	.p2align	8
	.type	_ZL15flash_attn_tileILi96ELi96ELi2ELi1ELb1EEvPKcS1_S1_S1_S1_PKiPfP15HIP_vector_typeIfLj2EEffffjfiS5_IjLj3EEiiiiiiiiiiiliiliiiiil,@function
_ZL15flash_attn_tileILi96ELi96ELi2ELi1ELb1EEvPKcS1_S1_S1_S1_PKiPfP15HIP_vector_typeIfLj2EEffffjfiS5_IjLj3EEiiiiiiiiiiiliiliiiiil: ; @_ZL15flash_attn_tileILi96ELi96ELi2ELi1ELb1EEvPKcS1_S1_S1_S1_PKiPfP15HIP_vector_typeIfLj2EEffffjfiS5_IjLj3EEiiiiiiiiiiiliiliiiiil
; %bb.0:
	s_get_pc_i64 s[2:3]
	s_add_nc_u64 s[2:3], s[2:3], _ZL14no_device_codePKciS0_iS0_@rel64+4
	s_add_nc_u64 s[8:9], s[0:1], 0xd0
	s_mov_b32 s32, 0
	s_swap_pc_i64 s[30:31], s[2:3]
	.section	.rodata,"a",@progbits
	.p2align	6, 0x0
	.amdhsa_kernel _ZL15flash_attn_tileILi96ELi96ELi2ELi1ELb1EEvPKcS1_S1_S1_S1_PKiPfP15HIP_vector_typeIfLj2EEffffjfiS5_IjLj3EEiiiiiiiiiiiliiliiiiil
		.amdhsa_group_segment_fixed_size 0
		.amdhsa_private_segment_fixed_size 16
		.amdhsa_kernarg_size 464
		.amdhsa_user_sgpr_count 2
		.amdhsa_user_sgpr_dispatch_ptr 0
		.amdhsa_user_sgpr_queue_ptr 0
		.amdhsa_user_sgpr_kernarg_segment_ptr 1
		.amdhsa_user_sgpr_dispatch_id 0
		.amdhsa_user_sgpr_kernarg_preload_length 0
		.amdhsa_user_sgpr_kernarg_preload_offset 0
		.amdhsa_user_sgpr_private_segment_size 0
		.amdhsa_wavefront_size32 1
		.amdhsa_uses_dynamic_stack 0
		.amdhsa_enable_private_segment 1
		.amdhsa_system_sgpr_workgroup_id_x 1
		.amdhsa_system_sgpr_workgroup_id_y 0
		.amdhsa_system_sgpr_workgroup_id_z 0
		.amdhsa_system_sgpr_workgroup_info 0
		.amdhsa_system_vgpr_workitem_id 0
		.amdhsa_next_free_vgpr 50
		.amdhsa_next_free_sgpr 34
		.amdhsa_named_barrier_count 0
		.amdhsa_reserve_vcc 1
		.amdhsa_float_round_mode_32 0
		.amdhsa_float_round_mode_16_64 0
		.amdhsa_float_denorm_mode_32 3
		.amdhsa_float_denorm_mode_16_64 3
		.amdhsa_fp16_overflow 0
		.amdhsa_memory_ordered 1
		.amdhsa_forward_progress 1
		.amdhsa_inst_pref_size 1
		.amdhsa_round_robin_scheduling 0
		.amdhsa_exception_fp_ieee_invalid_op 0
		.amdhsa_exception_fp_denorm_src 0
		.amdhsa_exception_fp_ieee_div_zero 0
		.amdhsa_exception_fp_ieee_overflow 0
		.amdhsa_exception_fp_ieee_underflow 0
		.amdhsa_exception_fp_ieee_inexact 0
		.amdhsa_exception_int_div_zero 0
	.end_amdhsa_kernel
	.section	.text._ZL15flash_attn_tileILi96ELi96ELi2ELi1ELb1EEvPKcS1_S1_S1_S1_PKiPfP15HIP_vector_typeIfLj2EEffffjfiS5_IjLj3EEiiiiiiiiiiiliiliiiiil,"axG",@progbits,_ZL15flash_attn_tileILi96ELi96ELi2ELi1ELb1EEvPKcS1_S1_S1_S1_PKiPfP15HIP_vector_typeIfLj2EEffffjfiS5_IjLj3EEiiiiiiiiiiiliiliiiiil,comdat
.Lfunc_end94:
	.size	_ZL15flash_attn_tileILi96ELi96ELi2ELi1ELb1EEvPKcS1_S1_S1_S1_PKiPfP15HIP_vector_typeIfLj2EEffffjfiS5_IjLj3EEiiiiiiiiiiiliiliiiiil, .Lfunc_end94-_ZL15flash_attn_tileILi96ELi96ELi2ELi1ELb1EEvPKcS1_S1_S1_S1_PKiPfP15HIP_vector_typeIfLj2EEffffjfiS5_IjLj3EEiiiiiiiiiiiliiliiiiil
                                        ; -- End function
	.set _ZL15flash_attn_tileILi96ELi96ELi2ELi1ELb1EEvPKcS1_S1_S1_S1_PKiPfP15HIP_vector_typeIfLj2EEffffjfiS5_IjLj3EEiiiiiiiiiiiliiliiiiil.num_vgpr, max(0, .L_ZL14no_device_codePKciS0_iS0_.num_vgpr)
	.set _ZL15flash_attn_tileILi96ELi96ELi2ELi1ELb1EEvPKcS1_S1_S1_S1_PKiPfP15HIP_vector_typeIfLj2EEffffjfiS5_IjLj3EEiiiiiiiiiiiliiliiiiil.num_agpr, max(0, .L_ZL14no_device_codePKciS0_iS0_.num_agpr)
	.set _ZL15flash_attn_tileILi96ELi96ELi2ELi1ELb1EEvPKcS1_S1_S1_S1_PKiPfP15HIP_vector_typeIfLj2EEffffjfiS5_IjLj3EEiiiiiiiiiiiliiliiiiil.numbered_sgpr, max(33, .L_ZL14no_device_codePKciS0_iS0_.numbered_sgpr)
	.set _ZL15flash_attn_tileILi96ELi96ELi2ELi1ELb1EEvPKcS1_S1_S1_S1_PKiPfP15HIP_vector_typeIfLj2EEffffjfiS5_IjLj3EEiiiiiiiiiiiliiliiiiil.num_named_barrier, max(0, .L_ZL14no_device_codePKciS0_iS0_.num_named_barrier)
	.set _ZL15flash_attn_tileILi96ELi96ELi2ELi1ELb1EEvPKcS1_S1_S1_S1_PKiPfP15HIP_vector_typeIfLj2EEffffjfiS5_IjLj3EEiiiiiiiiiiiliiliiiiil.private_seg_size, 0+max(.L_ZL14no_device_codePKciS0_iS0_.private_seg_size)
	.set _ZL15flash_attn_tileILi96ELi96ELi2ELi1ELb1EEvPKcS1_S1_S1_S1_PKiPfP15HIP_vector_typeIfLj2EEffffjfiS5_IjLj3EEiiiiiiiiiiiliiliiiiil.uses_vcc, or(1, .L_ZL14no_device_codePKciS0_iS0_.uses_vcc)
	.set _ZL15flash_attn_tileILi96ELi96ELi2ELi1ELb1EEvPKcS1_S1_S1_S1_PKiPfP15HIP_vector_typeIfLj2EEffffjfiS5_IjLj3EEiiiiiiiiiiiliiliiiiil.uses_flat_scratch, or(0, .L_ZL14no_device_codePKciS0_iS0_.uses_flat_scratch)
	.set _ZL15flash_attn_tileILi96ELi96ELi2ELi1ELb1EEvPKcS1_S1_S1_S1_PKiPfP15HIP_vector_typeIfLj2EEffffjfiS5_IjLj3EEiiiiiiiiiiiliiliiiiil.has_dyn_sized_stack, or(0, .L_ZL14no_device_codePKciS0_iS0_.has_dyn_sized_stack)
	.set _ZL15flash_attn_tileILi96ELi96ELi2ELi1ELb1EEvPKcS1_S1_S1_S1_PKiPfP15HIP_vector_typeIfLj2EEffffjfiS5_IjLj3EEiiiiiiiiiiiliiliiiiil.has_recursion, or(0, .L_ZL14no_device_codePKciS0_iS0_.has_recursion)
	.set _ZL15flash_attn_tileILi96ELi96ELi2ELi1ELb1EEvPKcS1_S1_S1_S1_PKiPfP15HIP_vector_typeIfLj2EEffffjfiS5_IjLj3EEiiiiiiiiiiiliiliiiiil.has_indirect_call, or(0, .L_ZL14no_device_codePKciS0_iS0_.has_indirect_call)
	.section	.AMDGPU.csdata,"",@progbits
; Kernel info:
; codeLenInByte = 32
; TotalNumSgprs: 36
; NumVgprs: 50
; ScratchSize: 16
; MemoryBound: 0
; FloatMode: 240
; IeeeMode: 1
; LDSByteSize: 0 bytes/workgroup (compile time only)
; SGPRBlocks: 0
; VGPRBlocks: 3
; NumSGPRsForWavesPerEU: 36
; NumVGPRsForWavesPerEU: 50
; NamedBarCnt: 0
; Occupancy: 16
; WaveLimiterHint : 1
; COMPUTE_PGM_RSRC2:SCRATCH_EN: 1
; COMPUTE_PGM_RSRC2:USER_SGPR: 2
; COMPUTE_PGM_RSRC2:TRAP_HANDLER: 0
; COMPUTE_PGM_RSRC2:TGID_X_EN: 1
; COMPUTE_PGM_RSRC2:TGID_Y_EN: 0
; COMPUTE_PGM_RSRC2:TGID_Z_EN: 0
; COMPUTE_PGM_RSRC2:TIDIG_COMP_CNT: 0
	.text
	.p2alignl 7, 3214868480
	.fill 96, 4, 3214868480
	.section	.AMDGPU.gpr_maximums,"",@progbits
	.set amdgpu.max_num_vgpr, 50
	.set amdgpu.max_num_agpr, 0
	.set amdgpu.max_num_sgpr, 34
	.text
	.type	.str.3,@object                  ; @.str.3
	.section	.rodata.str1.1,"aMS",@progbits,1
.str.3:
	.asciz	"/root/src/amdgpu-assembly/repos/ggml-org__llama.cpp/ggml/src/ggml-cuda/template-instances/../fattn-tile.cuh"
	.size	.str.3, 108

	.type	__FUNCTION__._ZL15flash_attn_tileILi96ELi96ELi8ELi8ELb1EEvPKcS1_S1_S1_S1_PKiPfP15HIP_vector_typeIfLj2EEffffjfiS5_IjLj3EEiiiiiiiiiiiliiliiiiil,@object ; @__FUNCTION__._ZL15flash_attn_tileILi96ELi96ELi8ELi8ELb1EEvPKcS1_S1_S1_S1_PKiPfP15HIP_vector_typeIfLj2EEffffjfiS5_IjLj3EEiiiiiiiiiiiliiliiiiil
__FUNCTION__._ZL15flash_attn_tileILi96ELi96ELi8ELi8ELb1EEvPKcS1_S1_S1_S1_PKiPfP15HIP_vector_typeIfLj2EEffffjfiS5_IjLj3EEiiiiiiiiiiiliiliiiiil:
	.asciz	"flash_attn_tile"
	.size	__FUNCTION__._ZL15flash_attn_tileILi96ELi96ELi8ELi8ELb1EEvPKcS1_S1_S1_S1_PKiPfP15HIP_vector_typeIfLj2EEffffjfiS5_IjLj3EEiiiiiiiiiiiliiliiiiil, 16

	.type	.str.5,@object                  ; @.str.5
.str.5:
	.asciz	"%s:%d: ERROR: HIP kernel %s has no device code compatible with HIP arch %d.\n"
	.size	.str.5, 77

	.type	__hip_cuid_7503dfa28ff4a8c,@object ; @__hip_cuid_7503dfa28ff4a8c
	.section	.bss,"aw",@nobits
	.globl	__hip_cuid_7503dfa28ff4a8c
__hip_cuid_7503dfa28ff4a8c:
	.byte	0                               ; 0x0
	.size	__hip_cuid_7503dfa28ff4a8c, 1

	.ident	"AMD clang version 22.0.0git (https://github.com/RadeonOpenCompute/llvm-project roc-7.2.4 26084 f58b06dce1f9c15707c5f808fd002e18c2accf7e)"
	.section	".note.GNU-stack","",@progbits
	.addrsig
	.addrsig_sym __hip_cuid_7503dfa28ff4a8c
	.amdgpu_metadata
---
amdhsa.kernels:
  - .args:
      - .address_space:  global
        .offset:         0
        .size:           8
        .value_kind:     global_buffer
      - .address_space:  global
        .offset:         8
        .size:           8
        .value_kind:     global_buffer
      - .address_space:  global
        .offset:         16
        .size:           8
        .value_kind:     global_buffer
      - .address_space:  global
        .offset:         24
        .size:           8
        .value_kind:     global_buffer
      - .address_space:  global
        .offset:         32
        .size:           8
        .value_kind:     global_buffer
      - .address_space:  global
        .offset:         40
        .size:           8
        .value_kind:     global_buffer
      - .address_space:  global
        .offset:         48
        .size:           8
        .value_kind:     global_buffer
      - .address_space:  global
        .offset:         56
        .size:           8
        .value_kind:     global_buffer
      - .offset:         64
        .size:           4
        .value_kind:     by_value
      - .offset:         68
        .size:           4
        .value_kind:     by_value
      - .offset:         72
        .size:           4
        .value_kind:     by_value
      - .offset:         76
        .size:           4
        .value_kind:     by_value
      - .offset:         80
        .size:           4
        .value_kind:     by_value
      - .offset:         84
        .size:           4
        .value_kind:     by_value
      - .offset:         88
        .size:           4
        .value_kind:     by_value
      - .offset:         92
        .size:           12
        .value_kind:     by_value
      - .offset:         104
        .size:           4
        .value_kind:     by_value
      - .offset:         108
        .size:           4
        .value_kind:     by_value
      - .offset:         112
        .size:           4
        .value_kind:     by_value
      - .offset:         116
        .size:           4
        .value_kind:     by_value
      - .offset:         120
        .size:           4
        .value_kind:     by_value
      - .offset:         124
        .size:           4
        .value_kind:     by_value
      - .offset:         128
        .size:           4
        .value_kind:     by_value
      - .offset:         132
        .size:           4
        .value_kind:     by_value
      - .offset:         136
        .size:           4
        .value_kind:     by_value
      - .offset:         140
        .size:           4
        .value_kind:     by_value
      - .offset:         144
        .size:           4
        .value_kind:     by_value
      - .offset:         152
        .size:           8
        .value_kind:     by_value
      - .offset:         160
        .size:           4
        .value_kind:     by_value
      - .offset:         164
        .size:           4
        .value_kind:     by_value
      - .offset:         168
        .size:           8
        .value_kind:     by_value
      - .offset:         176
        .size:           4
        .value_kind:     by_value
      - .offset:         180
        .size:           4
        .value_kind:     by_value
      - .offset:         184
        .size:           4
        .value_kind:     by_value
      - .offset:         188
        .size:           4
        .value_kind:     by_value
      - .offset:         192
        .size:           4
        .value_kind:     by_value
      - .offset:         200
        .size:           8
        .value_kind:     by_value
      - .offset:         208
        .size:           4
        .value_kind:     hidden_block_count_x
      - .offset:         212
        .size:           4
        .value_kind:     hidden_block_count_y
      - .offset:         216
        .size:           4
        .value_kind:     hidden_block_count_z
      - .offset:         220
        .size:           2
        .value_kind:     hidden_group_size_x
      - .offset:         222
        .size:           2
        .value_kind:     hidden_group_size_y
      - .offset:         224
        .size:           2
        .value_kind:     hidden_group_size_z
      - .offset:         226
        .size:           2
        .value_kind:     hidden_remainder_x
      - .offset:         228
        .size:           2
        .value_kind:     hidden_remainder_y
      - .offset:         230
        .size:           2
        .value_kind:     hidden_remainder_z
      - .offset:         248
        .size:           8
        .value_kind:     hidden_global_offset_x
      - .offset:         256
        .size:           8
        .value_kind:     hidden_global_offset_y
      - .offset:         264
        .size:           8
        .value_kind:     hidden_global_offset_z
      - .offset:         272
        .size:           2
        .value_kind:     hidden_grid_dims
    .group_segment_fixed_size: 20096
    .kernarg_segment_align: 8
    .kernarg_segment_size: 464
    .language:       OpenCL C
    .language_version:
      - 2
      - 0
    .max_flat_workgroup_size: 256
    .name:           _ZL15flash_attn_tileILi96ELi96ELi8ELi8ELb0EEvPKcS1_S1_S1_S1_PKiPfP15HIP_vector_typeIfLj2EEffffjfiS5_IjLj3EEiiiiiiiiiiiliiliiiiil
    .private_segment_fixed_size: 0
    .sgpr_count:     56
    .sgpr_spill_count: 0
    .symbol:         _ZL15flash_attn_tileILi96ELi96ELi8ELi8ELb0EEvPKcS1_S1_S1_S1_PKiPfP15HIP_vector_typeIfLj2EEffffjfiS5_IjLj3EEiiiiiiiiiiiliiliiiiil.kd
    .uniform_work_group_size: 1
    .uses_dynamic_stack: false
    .vgpr_count:     244
    .vgpr_spill_count: 0
    .wavefront_size: 32
  - .args:
      - .actual_access:  read_only
        .address_space:  global
        .offset:         0
        .size:           8
        .value_kind:     global_buffer
      - .actual_access:  write_only
        .address_space:  global
        .offset:         8
        .size:           8
        .value_kind:     global_buffer
      - .offset:         16
        .size:           4
        .value_kind:     by_value
      - .offset:         20
        .size:           4
        .value_kind:     by_value
      - .offset:         24
        .size:           4
        .value_kind:     by_value
      - .offset:         32
        .size:           4
        .value_kind:     hidden_block_count_x
      - .offset:         36
        .size:           4
        .value_kind:     hidden_block_count_y
      - .offset:         40
        .size:           4
        .value_kind:     hidden_block_count_z
      - .offset:         44
        .size:           2
        .value_kind:     hidden_group_size_x
      - .offset:         46
        .size:           2
        .value_kind:     hidden_group_size_y
      - .offset:         48
        .size:           2
        .value_kind:     hidden_group_size_z
      - .offset:         50
        .size:           2
        .value_kind:     hidden_remainder_x
      - .offset:         52
        .size:           2
        .value_kind:     hidden_remainder_y
      - .offset:         54
        .size:           2
        .value_kind:     hidden_remainder_z
      - .offset:         72
        .size:           8
        .value_kind:     hidden_global_offset_x
      - .offset:         80
        .size:           8
        .value_kind:     hidden_global_offset_y
      - .offset:         88
        .size:           8
        .value_kind:     hidden_global_offset_z
      - .offset:         96
        .size:           2
        .value_kind:     hidden_grid_dims
    .group_segment_fixed_size: 128
    .kernarg_segment_align: 8
    .kernarg_segment_size: 288
    .language:       OpenCL C
    .language_version:
      - 2
      - 0
    .max_flat_workgroup_size: 128
    .name:           _ZL25flash_attn_mask_to_KV_maxILi8EEvPK7__half2Piiii
    .private_segment_fixed_size: 0
    .sgpr_count:     29
    .sgpr_spill_count: 0
    .symbol:         _ZL25flash_attn_mask_to_KV_maxILi8EEvPK7__half2Piiii.kd
    .uniform_work_group_size: 1
    .uses_dynamic_stack: false
    .vgpr_count:     6
    .vgpr_spill_count: 0
    .wavefront_size: 32
  - .args:
      - .address_space:  global
        .offset:         0
        .size:           8
        .value_kind:     global_buffer
      - .address_space:  global
        .offset:         8
        .size:           8
        .value_kind:     global_buffer
      - .offset:         16
        .size:           4
        .value_kind:     by_value
      - .offset:         20
        .size:           4
        .value_kind:     by_value
      - .offset:         24
        .size:           4
        .value_kind:     by_value
      - .offset:         28
        .size:           4
        .value_kind:     by_value
      - .offset:         32
        .size:           4
        .value_kind:     by_value
      - .offset:         36
        .size:           4
        .value_kind:     by_value
      - .offset:         40
        .size:           12
        .value_kind:     by_value
      - .offset:         52
        .size:           12
        .value_kind:     by_value
      - .offset:         64
        .size:           12
        .value_kind:     by_value
    .group_segment_fixed_size: 0
    .kernarg_segment_align: 8
    .kernarg_segment_size: 76
    .language:       OpenCL C
    .language_version:
      - 2
      - 0
    .max_flat_workgroup_size: 96
    .name:           _ZL33flash_attn_stream_k_fixup_uniformILi96ELi8ELi8EEvPfPK15HIP_vector_typeIfLj2EEiiiiiiS1_IjLj3EES5_S5_
    .private_segment_fixed_size: 0
    .sgpr_count:     23
    .sgpr_spill_count: 0
    .symbol:         _ZL33flash_attn_stream_k_fixup_uniformILi96ELi8ELi8EEvPfPK15HIP_vector_typeIfLj2EEiiiiiiS1_IjLj3EES5_S5_.kd
    .uniform_work_group_size: 1
    .uses_dynamic_stack: false
    .vgpr_count:     12
    .vgpr_spill_count: 0
    .wavefront_size: 32
  - .args:
      - .address_space:  global
        .offset:         0
        .size:           8
        .value_kind:     global_buffer
      - .address_space:  global
        .offset:         8
        .size:           8
        .value_kind:     global_buffer
      - .offset:         16
        .size:           4
        .value_kind:     by_value
      - .offset:         20
        .size:           4
        .value_kind:     by_value
      - .offset:         24
        .size:           4
        .value_kind:     by_value
      - .offset:         28
        .size:           4
        .value_kind:     by_value
      - .offset:         32
        .size:           12
        .value_kind:     by_value
      - .offset:         44
        .size:           12
        .value_kind:     by_value
      - .offset:         56
        .size:           12
        .value_kind:     by_value
      - .offset:         68
        .size:           12
        .value_kind:     by_value
      - .offset:         80
        .size:           4
        .value_kind:     hidden_block_count_x
      - .offset:         84
        .size:           4
        .value_kind:     hidden_block_count_y
      - .offset:         88
        .size:           4
        .value_kind:     hidden_block_count_z
      - .offset:         92
        .size:           2
        .value_kind:     hidden_group_size_x
      - .offset:         94
        .size:           2
        .value_kind:     hidden_group_size_y
      - .offset:         96
        .size:           2
        .value_kind:     hidden_group_size_z
      - .offset:         98
        .size:           2
        .value_kind:     hidden_remainder_x
      - .offset:         100
        .size:           2
        .value_kind:     hidden_remainder_y
      - .offset:         102
        .size:           2
        .value_kind:     hidden_remainder_z
      - .offset:         120
        .size:           8
        .value_kind:     hidden_global_offset_x
      - .offset:         128
        .size:           8
        .value_kind:     hidden_global_offset_y
      - .offset:         136
        .size:           8
        .value_kind:     hidden_global_offset_z
      - .offset:         144
        .size:           2
        .value_kind:     hidden_grid_dims
    .group_segment_fixed_size: 0
    .kernarg_segment_align: 8
    .kernarg_segment_size: 336
    .language:       OpenCL C
    .language_version:
      - 2
      - 0
    .max_flat_workgroup_size: 96
    .name:           _ZL33flash_attn_stream_k_fixup_generalILi96ELi8ELi8EEvPfPK15HIP_vector_typeIfLj2EEiiiiS1_IjLj3EES5_S5_S5_
    .private_segment_fixed_size: 0
    .sgpr_count:     48
    .sgpr_spill_count: 0
    .symbol:         _ZL33flash_attn_stream_k_fixup_generalILi96ELi8ELi8EEvPfPK15HIP_vector_typeIfLj2EEiiiiS1_IjLj3EES5_S5_S5_.kd
    .uniform_work_group_size: 1
    .uses_dynamic_stack: false
    .vgpr_count:     12
    .vgpr_spill_count: 0
    .wavefront_size: 32
  - .args:
      - .address_space:  global
        .offset:         0
        .size:           8
        .value_kind:     global_buffer
      - .address_space:  global
        .offset:         8
        .size:           8
        .value_kind:     global_buffer
      - .address_space:  global
        .offset:         16
        .size:           8
        .value_kind:     global_buffer
      - .offset:         24
        .size:           4
        .value_kind:     by_value
      - .offset:         32
        .size:           4
        .value_kind:     hidden_block_count_x
      - .offset:         36
        .size:           4
        .value_kind:     hidden_block_count_y
      - .offset:         40
        .size:           4
        .value_kind:     hidden_block_count_z
      - .offset:         44
        .size:           2
        .value_kind:     hidden_group_size_x
      - .offset:         46
        .size:           2
        .value_kind:     hidden_group_size_y
      - .offset:         48
        .size:           2
        .value_kind:     hidden_group_size_z
      - .offset:         50
        .size:           2
        .value_kind:     hidden_remainder_x
      - .offset:         52
        .size:           2
        .value_kind:     hidden_remainder_y
      - .offset:         54
        .size:           2
        .value_kind:     hidden_remainder_z
      - .offset:         72
        .size:           8
        .value_kind:     hidden_global_offset_x
      - .offset:         80
        .size:           8
        .value_kind:     hidden_global_offset_y
      - .offset:         88
        .size:           8
        .value_kind:     hidden_global_offset_z
      - .offset:         96
        .size:           2
        .value_kind:     hidden_grid_dims
      - .offset:         152
        .size:           4
        .value_kind:     hidden_dynamic_lds_size
    .group_segment_fixed_size: 0
    .kernarg_segment_align: 8
    .kernarg_segment_size: 288
    .language:       OpenCL C
    .language_version:
      - 2
      - 0
    .max_flat_workgroup_size: 96
    .name:           _ZL26flash_attn_combine_resultsILi96EEvPKfPK15HIP_vector_typeIfLj2EEPfi
    .private_segment_fixed_size: 0
    .sgpr_count:     49
    .sgpr_spill_count: 0
    .symbol:         _ZL26flash_attn_combine_resultsILi96EEvPKfPK15HIP_vector_typeIfLj2EEPfi.kd
    .uniform_work_group_size: 1
    .uses_dynamic_stack: false
    .vgpr_count:     38
    .vgpr_spill_count: 0
    .wavefront_size: 32
  - .args:
      - .address_space:  global
        .offset:         0
        .size:           8
        .value_kind:     global_buffer
      - .address_space:  global
        .offset:         8
        .size:           8
        .value_kind:     global_buffer
      - .address_space:  global
        .offset:         16
        .size:           8
        .value_kind:     global_buffer
      - .address_space:  global
        .offset:         24
        .size:           8
        .value_kind:     global_buffer
      - .address_space:  global
        .offset:         32
        .size:           8
        .value_kind:     global_buffer
      - .address_space:  global
        .offset:         40
        .size:           8
        .value_kind:     global_buffer
      - .address_space:  global
        .offset:         48
        .size:           8
        .value_kind:     global_buffer
      - .address_space:  global
        .offset:         56
        .size:           8
        .value_kind:     global_buffer
      - .offset:         64
        .size:           4
        .value_kind:     by_value
      - .offset:         68
        .size:           4
        .value_kind:     by_value
      - .offset:         72
        .size:           4
        .value_kind:     by_value
      - .offset:         76
        .size:           4
        .value_kind:     by_value
      - .offset:         80
        .size:           4
        .value_kind:     by_value
      - .offset:         84
        .size:           4
        .value_kind:     by_value
      - .offset:         88
        .size:           4
        .value_kind:     by_value
      - .offset:         92
        .size:           12
        .value_kind:     by_value
      - .offset:         104
        .size:           4
        .value_kind:     by_value
      - .offset:         108
        .size:           4
        .value_kind:     by_value
      - .offset:         112
        .size:           4
        .value_kind:     by_value
      - .offset:         116
        .size:           4
        .value_kind:     by_value
      - .offset:         120
        .size:           4
        .value_kind:     by_value
      - .offset:         124
        .size:           4
        .value_kind:     by_value
      - .offset:         128
        .size:           4
        .value_kind:     by_value
      - .offset:         132
        .size:           4
        .value_kind:     by_value
      - .offset:         136
        .size:           4
        .value_kind:     by_value
      - .offset:         140
        .size:           4
        .value_kind:     by_value
      - .offset:         144
        .size:           4
        .value_kind:     by_value
      - .offset:         152
        .size:           8
        .value_kind:     by_value
      - .offset:         160
        .size:           4
        .value_kind:     by_value
      - .offset:         164
        .size:           4
        .value_kind:     by_value
      - .offset:         168
        .size:           8
        .value_kind:     by_value
      - .offset:         176
        .size:           4
        .value_kind:     by_value
      - .offset:         180
        .size:           4
        .value_kind:     by_value
      - .offset:         184
        .size:           4
        .value_kind:     by_value
      - .offset:         188
        .size:           4
        .value_kind:     by_value
      - .offset:         192
        .size:           4
        .value_kind:     by_value
      - .offset:         200
        .size:           8
        .value_kind:     by_value
      - .offset:         208
        .size:           4
        .value_kind:     hidden_block_count_x
      - .offset:         212
        .size:           4
        .value_kind:     hidden_block_count_y
      - .offset:         216
        .size:           4
        .value_kind:     hidden_block_count_z
      - .offset:         220
        .size:           2
        .value_kind:     hidden_group_size_x
      - .offset:         222
        .size:           2
        .value_kind:     hidden_group_size_y
      - .offset:         224
        .size:           2
        .value_kind:     hidden_group_size_z
      - .offset:         226
        .size:           2
        .value_kind:     hidden_remainder_x
      - .offset:         228
        .size:           2
        .value_kind:     hidden_remainder_y
      - .offset:         230
        .size:           2
        .value_kind:     hidden_remainder_z
      - .offset:         248
        .size:           8
        .value_kind:     hidden_global_offset_x
      - .offset:         256
        .size:           8
        .value_kind:     hidden_global_offset_y
      - .offset:         264
        .size:           8
        .value_kind:     hidden_global_offset_z
      - .offset:         272
        .size:           2
        .value_kind:     hidden_grid_dims
    .group_segment_fixed_size: 11904
    .kernarg_segment_align: 8
    .kernarg_segment_size: 464
    .language:       OpenCL C
    .language_version:
      - 2
      - 0
    .max_flat_workgroup_size: 256
    .name:           _ZL15flash_attn_tileILi96ELi96ELi4ELi8ELb0EEvPKcS1_S1_S1_S1_PKiPfP15HIP_vector_typeIfLj2EEffffjfiS5_IjLj3EEiiiiiiiiiiiliiliiiiil
    .private_segment_fixed_size: 0
    .sgpr_count:     46
    .sgpr_spill_count: 0
    .symbol:         _ZL15flash_attn_tileILi96ELi96ELi4ELi8ELb0EEvPKcS1_S1_S1_S1_PKiPfP15HIP_vector_typeIfLj2EEffffjfiS5_IjLj3EEiiiiiiiiiiiliiliiiiil.kd
    .uniform_work_group_size: 1
    .uses_dynamic_stack: false
    .vgpr_count:     162
    .vgpr_spill_count: 0
    .wavefront_size: 32
  - .args:
      - .actual_access:  read_only
        .address_space:  global
        .offset:         0
        .size:           8
        .value_kind:     global_buffer
      - .actual_access:  write_only
        .address_space:  global
        .offset:         8
        .size:           8
        .value_kind:     global_buffer
      - .offset:         16
        .size:           4
        .value_kind:     by_value
      - .offset:         20
        .size:           4
        .value_kind:     by_value
      - .offset:         24
        .size:           4
        .value_kind:     by_value
      - .offset:         32
        .size:           4
        .value_kind:     hidden_block_count_x
      - .offset:         36
        .size:           4
        .value_kind:     hidden_block_count_y
      - .offset:         40
        .size:           4
        .value_kind:     hidden_block_count_z
      - .offset:         44
        .size:           2
        .value_kind:     hidden_group_size_x
      - .offset:         46
        .size:           2
        .value_kind:     hidden_group_size_y
      - .offset:         48
        .size:           2
        .value_kind:     hidden_group_size_z
      - .offset:         50
        .size:           2
        .value_kind:     hidden_remainder_x
      - .offset:         52
        .size:           2
        .value_kind:     hidden_remainder_y
      - .offset:         54
        .size:           2
        .value_kind:     hidden_remainder_z
      - .offset:         72
        .size:           8
        .value_kind:     hidden_global_offset_x
      - .offset:         80
        .size:           8
        .value_kind:     hidden_global_offset_y
      - .offset:         88
        .size:           8
        .value_kind:     hidden_global_offset_z
      - .offset:         96
        .size:           2
        .value_kind:     hidden_grid_dims
    .group_segment_fixed_size: 128
    .kernarg_segment_align: 8
    .kernarg_segment_size: 288
    .language:       OpenCL C
    .language_version:
      - 2
      - 0
    .max_flat_workgroup_size: 128
    .name:           _ZL25flash_attn_mask_to_KV_maxILi4EEvPK7__half2Piiii
    .private_segment_fixed_size: 0
    .sgpr_count:     21
    .sgpr_spill_count: 0
    .symbol:         _ZL25flash_attn_mask_to_KV_maxILi4EEvPK7__half2Piiii.kd
    .uniform_work_group_size: 1
    .uses_dynamic_stack: false
    .vgpr_count:     6
    .vgpr_spill_count: 0
    .wavefront_size: 32
  - .args:
      - .address_space:  global
        .offset:         0
        .size:           8
        .value_kind:     global_buffer
      - .address_space:  global
        .offset:         8
        .size:           8
        .value_kind:     global_buffer
      - .offset:         16
        .size:           4
        .value_kind:     by_value
      - .offset:         20
        .size:           4
        .value_kind:     by_value
      - .offset:         24
        .size:           4
        .value_kind:     by_value
      - .offset:         28
        .size:           4
        .value_kind:     by_value
      - .offset:         32
        .size:           4
        .value_kind:     by_value
      - .offset:         36
        .size:           4
        .value_kind:     by_value
      - .offset:         40
        .size:           12
        .value_kind:     by_value
      - .offset:         52
        .size:           12
        .value_kind:     by_value
      - .offset:         64
        .size:           12
        .value_kind:     by_value
    .group_segment_fixed_size: 0
    .kernarg_segment_align: 8
    .kernarg_segment_size: 76
    .language:       OpenCL C
    .language_version:
      - 2
      - 0
    .max_flat_workgroup_size: 96
    .name:           _ZL33flash_attn_stream_k_fixup_uniformILi96ELi4ELi8EEvPfPK15HIP_vector_typeIfLj2EEiiiiiiS1_IjLj3EES5_S5_
    .private_segment_fixed_size: 0
    .sgpr_count:     23
    .sgpr_spill_count: 0
    .symbol:         _ZL33flash_attn_stream_k_fixup_uniformILi96ELi4ELi8EEvPfPK15HIP_vector_typeIfLj2EEiiiiiiS1_IjLj3EES5_S5_.kd
    .uniform_work_group_size: 1
    .uses_dynamic_stack: false
    .vgpr_count:     12
    .vgpr_spill_count: 0
    .wavefront_size: 32
  - .args:
      - .address_space:  global
        .offset:         0
        .size:           8
        .value_kind:     global_buffer
      - .address_space:  global
        .offset:         8
        .size:           8
        .value_kind:     global_buffer
      - .offset:         16
        .size:           4
        .value_kind:     by_value
      - .offset:         20
        .size:           4
        .value_kind:     by_value
      - .offset:         24
        .size:           4
        .value_kind:     by_value
      - .offset:         28
        .size:           4
        .value_kind:     by_value
      - .offset:         32
        .size:           12
        .value_kind:     by_value
      - .offset:         44
        .size:           12
        .value_kind:     by_value
      - .offset:         56
        .size:           12
        .value_kind:     by_value
      - .offset:         68
        .size:           12
        .value_kind:     by_value
      - .offset:         80
        .size:           4
        .value_kind:     hidden_block_count_x
      - .offset:         84
        .size:           4
        .value_kind:     hidden_block_count_y
      - .offset:         88
        .size:           4
        .value_kind:     hidden_block_count_z
      - .offset:         92
        .size:           2
        .value_kind:     hidden_group_size_x
      - .offset:         94
        .size:           2
        .value_kind:     hidden_group_size_y
      - .offset:         96
        .size:           2
        .value_kind:     hidden_group_size_z
      - .offset:         98
        .size:           2
        .value_kind:     hidden_remainder_x
      - .offset:         100
        .size:           2
        .value_kind:     hidden_remainder_y
      - .offset:         102
        .size:           2
        .value_kind:     hidden_remainder_z
      - .offset:         120
        .size:           8
        .value_kind:     hidden_global_offset_x
      - .offset:         128
        .size:           8
        .value_kind:     hidden_global_offset_y
      - .offset:         136
        .size:           8
        .value_kind:     hidden_global_offset_z
      - .offset:         144
        .size:           2
        .value_kind:     hidden_grid_dims
    .group_segment_fixed_size: 0
    .kernarg_segment_align: 8
    .kernarg_segment_size: 336
    .language:       OpenCL C
    .language_version:
      - 2
      - 0
    .max_flat_workgroup_size: 96
    .name:           _ZL33flash_attn_stream_k_fixup_generalILi96ELi4ELi8EEvPfPK15HIP_vector_typeIfLj2EEiiiiS1_IjLj3EES5_S5_S5_
    .private_segment_fixed_size: 0
    .sgpr_count:     48
    .sgpr_spill_count: 0
    .symbol:         _ZL33flash_attn_stream_k_fixup_generalILi96ELi4ELi8EEvPfPK15HIP_vector_typeIfLj2EEiiiiS1_IjLj3EES5_S5_S5_.kd
    .uniform_work_group_size: 1
    .uses_dynamic_stack: false
    .vgpr_count:     12
    .vgpr_spill_count: 0
    .wavefront_size: 32
  - .args:
      - .address_space:  global
        .offset:         0
        .size:           8
        .value_kind:     global_buffer
      - .address_space:  global
        .offset:         8
        .size:           8
        .value_kind:     global_buffer
      - .address_space:  global
        .offset:         16
        .size:           8
        .value_kind:     global_buffer
      - .address_space:  global
        .offset:         24
        .size:           8
        .value_kind:     global_buffer
      - .address_space:  global
        .offset:         32
        .size:           8
        .value_kind:     global_buffer
      - .address_space:  global
        .offset:         40
        .size:           8
        .value_kind:     global_buffer
      - .address_space:  global
        .offset:         48
        .size:           8
        .value_kind:     global_buffer
      - .address_space:  global
        .offset:         56
        .size:           8
        .value_kind:     global_buffer
      - .offset:         64
        .size:           4
        .value_kind:     by_value
      - .offset:         68
        .size:           4
        .value_kind:     by_value
      - .offset:         72
        .size:           4
        .value_kind:     by_value
      - .offset:         76
        .size:           4
        .value_kind:     by_value
      - .offset:         80
        .size:           4
        .value_kind:     by_value
      - .offset:         84
        .size:           4
        .value_kind:     by_value
      - .offset:         88
        .size:           4
        .value_kind:     by_value
      - .offset:         92
        .size:           12
        .value_kind:     by_value
      - .offset:         104
        .size:           4
        .value_kind:     by_value
      - .offset:         108
        .size:           4
        .value_kind:     by_value
      - .offset:         112
        .size:           4
        .value_kind:     by_value
      - .offset:         116
        .size:           4
        .value_kind:     by_value
      - .offset:         120
        .size:           4
        .value_kind:     by_value
      - .offset:         124
        .size:           4
        .value_kind:     by_value
      - .offset:         128
        .size:           4
        .value_kind:     by_value
      - .offset:         132
        .size:           4
        .value_kind:     by_value
      - .offset:         136
        .size:           4
        .value_kind:     by_value
      - .offset:         140
        .size:           4
        .value_kind:     by_value
      - .offset:         144
        .size:           4
        .value_kind:     by_value
      - .offset:         152
        .size:           8
        .value_kind:     by_value
      - .offset:         160
        .size:           4
        .value_kind:     by_value
      - .offset:         164
        .size:           4
        .value_kind:     by_value
      - .offset:         168
        .size:           8
        .value_kind:     by_value
      - .offset:         176
        .size:           4
        .value_kind:     by_value
      - .offset:         180
        .size:           4
        .value_kind:     by_value
      - .offset:         184
        .size:           4
        .value_kind:     by_value
      - .offset:         188
        .size:           4
        .value_kind:     by_value
      - .offset:         192
        .size:           4
        .value_kind:     by_value
      - .offset:         200
        .size:           8
        .value_kind:     by_value
      - .offset:         208
        .size:           4
        .value_kind:     hidden_block_count_x
      - .offset:         212
        .size:           4
        .value_kind:     hidden_block_count_y
      - .offset:         216
        .size:           4
        .value_kind:     hidden_block_count_z
      - .offset:         220
        .size:           2
        .value_kind:     hidden_group_size_x
      - .offset:         222
        .size:           2
        .value_kind:     hidden_group_size_y
      - .offset:         224
        .size:           2
        .value_kind:     hidden_group_size_z
      - .offset:         226
        .size:           2
        .value_kind:     hidden_remainder_x
      - .offset:         228
        .size:           2
        .value_kind:     hidden_remainder_y
      - .offset:         230
        .size:           2
        .value_kind:     hidden_remainder_z
      - .offset:         248
        .size:           8
        .value_kind:     hidden_global_offset_x
      - .offset:         256
        .size:           8
        .value_kind:     hidden_global_offset_y
      - .offset:         264
        .size:           8
        .value_kind:     hidden_global_offset_z
      - .offset:         272
        .size:           2
        .value_kind:     hidden_grid_dims
    .group_segment_fixed_size: 7808
    .kernarg_segment_align: 8
    .kernarg_segment_size: 464
    .language:       OpenCL C
    .language_version:
      - 2
      - 0
    .max_flat_workgroup_size: 256
    .name:           _ZL15flash_attn_tileILi96ELi96ELi2ELi8ELb0EEvPKcS1_S1_S1_S1_PKiPfP15HIP_vector_typeIfLj2EEffffjfiS5_IjLj3EEiiiiiiiiiiiliiliiiiil
    .private_segment_fixed_size: 0
    .sgpr_count:     44
    .sgpr_spill_count: 0
    .symbol:         _ZL15flash_attn_tileILi96ELi96ELi2ELi8ELb0EEvPKcS1_S1_S1_S1_PKiPfP15HIP_vector_typeIfLj2EEffffjfiS5_IjLj3EEiiiiiiiiiiiliiliiiiil.kd
    .uniform_work_group_size: 1
    .uses_dynamic_stack: false
    .vgpr_count:     110
    .vgpr_spill_count: 0
    .wavefront_size: 32
  - .args:
      - .actual_access:  read_only
        .address_space:  global
        .offset:         0
        .size:           8
        .value_kind:     global_buffer
      - .actual_access:  write_only
        .address_space:  global
        .offset:         8
        .size:           8
        .value_kind:     global_buffer
      - .offset:         16
        .size:           4
        .value_kind:     by_value
      - .offset:         20
        .size:           4
        .value_kind:     by_value
      - .offset:         24
        .size:           4
        .value_kind:     by_value
      - .offset:         32
        .size:           4
        .value_kind:     hidden_block_count_x
      - .offset:         36
        .size:           4
        .value_kind:     hidden_block_count_y
      - .offset:         40
        .size:           4
        .value_kind:     hidden_block_count_z
      - .offset:         44
        .size:           2
        .value_kind:     hidden_group_size_x
      - .offset:         46
        .size:           2
        .value_kind:     hidden_group_size_y
      - .offset:         48
        .size:           2
        .value_kind:     hidden_group_size_z
      - .offset:         50
        .size:           2
        .value_kind:     hidden_remainder_x
      - .offset:         52
        .size:           2
        .value_kind:     hidden_remainder_y
      - .offset:         54
        .size:           2
        .value_kind:     hidden_remainder_z
      - .offset:         72
        .size:           8
        .value_kind:     hidden_global_offset_x
      - .offset:         80
        .size:           8
        .value_kind:     hidden_global_offset_y
      - .offset:         88
        .size:           8
        .value_kind:     hidden_global_offset_z
      - .offset:         96
        .size:           2
        .value_kind:     hidden_grid_dims
    .group_segment_fixed_size: 128
    .kernarg_segment_align: 8
    .kernarg_segment_size: 288
    .language:       OpenCL C
    .language_version:
      - 2
      - 0
    .max_flat_workgroup_size: 128
    .name:           _ZL25flash_attn_mask_to_KV_maxILi2EEvPK7__half2Piiii
    .private_segment_fixed_size: 0
    .sgpr_count:     17
    .sgpr_spill_count: 0
    .symbol:         _ZL25flash_attn_mask_to_KV_maxILi2EEvPK7__half2Piiii.kd
    .uniform_work_group_size: 1
    .uses_dynamic_stack: false
    .vgpr_count:     6
    .vgpr_spill_count: 0
    .wavefront_size: 32
  - .args:
      - .address_space:  global
        .offset:         0
        .size:           8
        .value_kind:     global_buffer
      - .address_space:  global
        .offset:         8
        .size:           8
        .value_kind:     global_buffer
      - .offset:         16
        .size:           4
        .value_kind:     by_value
      - .offset:         20
        .size:           4
        .value_kind:     by_value
      - .offset:         24
        .size:           4
        .value_kind:     by_value
      - .offset:         28
        .size:           4
        .value_kind:     by_value
      - .offset:         32
        .size:           4
        .value_kind:     by_value
      - .offset:         36
        .size:           4
        .value_kind:     by_value
      - .offset:         40
        .size:           12
        .value_kind:     by_value
      - .offset:         52
        .size:           12
        .value_kind:     by_value
      - .offset:         64
        .size:           12
        .value_kind:     by_value
    .group_segment_fixed_size: 0
    .kernarg_segment_align: 8
    .kernarg_segment_size: 76
    .language:       OpenCL C
    .language_version:
      - 2
      - 0
    .max_flat_workgroup_size: 96
    .name:           _ZL33flash_attn_stream_k_fixup_uniformILi96ELi2ELi8EEvPfPK15HIP_vector_typeIfLj2EEiiiiiiS1_IjLj3EES5_S5_
    .private_segment_fixed_size: 0
    .sgpr_count:     23
    .sgpr_spill_count: 0
    .symbol:         _ZL33flash_attn_stream_k_fixup_uniformILi96ELi2ELi8EEvPfPK15HIP_vector_typeIfLj2EEiiiiiiS1_IjLj3EES5_S5_.kd
    .uniform_work_group_size: 1
    .uses_dynamic_stack: false
    .vgpr_count:     12
    .vgpr_spill_count: 0
    .wavefront_size: 32
  - .args:
      - .address_space:  global
        .offset:         0
        .size:           8
        .value_kind:     global_buffer
      - .address_space:  global
        .offset:         8
        .size:           8
        .value_kind:     global_buffer
      - .offset:         16
        .size:           4
        .value_kind:     by_value
      - .offset:         20
        .size:           4
        .value_kind:     by_value
      - .offset:         24
        .size:           4
        .value_kind:     by_value
      - .offset:         28
        .size:           4
        .value_kind:     by_value
      - .offset:         32
        .size:           12
        .value_kind:     by_value
      - .offset:         44
        .size:           12
        .value_kind:     by_value
      - .offset:         56
        .size:           12
        .value_kind:     by_value
      - .offset:         68
        .size:           12
        .value_kind:     by_value
      - .offset:         80
        .size:           4
        .value_kind:     hidden_block_count_x
      - .offset:         84
        .size:           4
        .value_kind:     hidden_block_count_y
      - .offset:         88
        .size:           4
        .value_kind:     hidden_block_count_z
      - .offset:         92
        .size:           2
        .value_kind:     hidden_group_size_x
      - .offset:         94
        .size:           2
        .value_kind:     hidden_group_size_y
      - .offset:         96
        .size:           2
        .value_kind:     hidden_group_size_z
      - .offset:         98
        .size:           2
        .value_kind:     hidden_remainder_x
      - .offset:         100
        .size:           2
        .value_kind:     hidden_remainder_y
      - .offset:         102
        .size:           2
        .value_kind:     hidden_remainder_z
      - .offset:         120
        .size:           8
        .value_kind:     hidden_global_offset_x
      - .offset:         128
        .size:           8
        .value_kind:     hidden_global_offset_y
      - .offset:         136
        .size:           8
        .value_kind:     hidden_global_offset_z
      - .offset:         144
        .size:           2
        .value_kind:     hidden_grid_dims
    .group_segment_fixed_size: 0
    .kernarg_segment_align: 8
    .kernarg_segment_size: 336
    .language:       OpenCL C
    .language_version:
      - 2
      - 0
    .max_flat_workgroup_size: 96
    .name:           _ZL33flash_attn_stream_k_fixup_generalILi96ELi2ELi8EEvPfPK15HIP_vector_typeIfLj2EEiiiiS1_IjLj3EES5_S5_S5_
    .private_segment_fixed_size: 0
    .sgpr_count:     48
    .sgpr_spill_count: 0
    .symbol:         _ZL33flash_attn_stream_k_fixup_generalILi96ELi2ELi8EEvPfPK15HIP_vector_typeIfLj2EEiiiiS1_IjLj3EES5_S5_S5_.kd
    .uniform_work_group_size: 1
    .uses_dynamic_stack: false
    .vgpr_count:     12
    .vgpr_spill_count: 0
    .wavefront_size: 32
  - .args:
      - .address_space:  global
        .offset:         0
        .size:           8
        .value_kind:     global_buffer
      - .address_space:  global
        .offset:         8
        .size:           8
        .value_kind:     global_buffer
      - .address_space:  global
        .offset:         16
        .size:           8
        .value_kind:     global_buffer
      - .address_space:  global
        .offset:         24
        .size:           8
        .value_kind:     global_buffer
      - .address_space:  global
        .offset:         32
        .size:           8
        .value_kind:     global_buffer
      - .address_space:  global
        .offset:         40
        .size:           8
        .value_kind:     global_buffer
      - .address_space:  global
        .offset:         48
        .size:           8
        .value_kind:     global_buffer
      - .address_space:  global
        .offset:         56
        .size:           8
        .value_kind:     global_buffer
      - .offset:         64
        .size:           4
        .value_kind:     by_value
      - .offset:         68
        .size:           4
        .value_kind:     by_value
      - .offset:         72
        .size:           4
        .value_kind:     by_value
      - .offset:         76
        .size:           4
        .value_kind:     by_value
      - .offset:         80
        .size:           4
        .value_kind:     by_value
      - .offset:         84
        .size:           4
        .value_kind:     by_value
      - .offset:         88
        .size:           4
        .value_kind:     by_value
      - .offset:         92
        .size:           12
        .value_kind:     by_value
      - .offset:         104
        .size:           4
        .value_kind:     by_value
      - .offset:         108
        .size:           4
        .value_kind:     by_value
      - .offset:         112
        .size:           4
        .value_kind:     by_value
      - .offset:         116
        .size:           4
        .value_kind:     by_value
      - .offset:         120
        .size:           4
        .value_kind:     by_value
      - .offset:         124
        .size:           4
        .value_kind:     by_value
      - .offset:         128
        .size:           4
        .value_kind:     by_value
      - .offset:         132
        .size:           4
        .value_kind:     by_value
      - .offset:         136
        .size:           4
        .value_kind:     by_value
      - .offset:         140
        .size:           4
        .value_kind:     by_value
      - .offset:         144
        .size:           4
        .value_kind:     by_value
      - .offset:         152
        .size:           8
        .value_kind:     by_value
      - .offset:         160
        .size:           4
        .value_kind:     by_value
      - .offset:         164
        .size:           4
        .value_kind:     by_value
      - .offset:         168
        .size:           8
        .value_kind:     by_value
      - .offset:         176
        .size:           4
        .value_kind:     by_value
      - .offset:         180
        .size:           4
        .value_kind:     by_value
      - .offset:         184
        .size:           4
        .value_kind:     by_value
      - .offset:         188
        .size:           4
        .value_kind:     by_value
      - .offset:         192
        .size:           4
        .value_kind:     by_value
      - .offset:         200
        .size:           8
        .value_kind:     by_value
      - .offset:         208
        .size:           4
        .value_kind:     hidden_block_count_x
      - .offset:         212
        .size:           4
        .value_kind:     hidden_block_count_y
      - .offset:         216
        .size:           4
        .value_kind:     hidden_block_count_z
      - .offset:         220
        .size:           2
        .value_kind:     hidden_group_size_x
      - .offset:         222
        .size:           2
        .value_kind:     hidden_group_size_y
      - .offset:         224
        .size:           2
        .value_kind:     hidden_group_size_z
      - .offset:         226
        .size:           2
        .value_kind:     hidden_remainder_x
      - .offset:         228
        .size:           2
        .value_kind:     hidden_remainder_y
      - .offset:         230
        .size:           2
        .value_kind:     hidden_remainder_z
      - .offset:         248
        .size:           8
        .value_kind:     hidden_global_offset_x
      - .offset:         256
        .size:           8
        .value_kind:     hidden_global_offset_y
      - .offset:         264
        .size:           8
        .value_kind:     hidden_global_offset_z
      - .offset:         272
        .size:           2
        .value_kind:     hidden_grid_dims
    .group_segment_fixed_size: 5760
    .kernarg_segment_align: 8
    .kernarg_segment_size: 464
    .language:       OpenCL C
    .language_version:
      - 2
      - 0
    .max_flat_workgroup_size: 256
    .name:           _ZL15flash_attn_tileILi96ELi96ELi1ELi8ELb0EEvPKcS1_S1_S1_S1_PKiPfP15HIP_vector_typeIfLj2EEffffjfiS5_IjLj3EEiiiiiiiiiiiliiliiiiil
    .private_segment_fixed_size: 0
    .sgpr_count:     48
    .sgpr_spill_count: 0
    .symbol:         _ZL15flash_attn_tileILi96ELi96ELi1ELi8ELb0EEvPKcS1_S1_S1_S1_PKiPfP15HIP_vector_typeIfLj2EEffffjfiS5_IjLj3EEiiiiiiiiiiiliiliiiiil.kd
    .uniform_work_group_size: 1
    .uses_dynamic_stack: false
    .vgpr_count:     88
    .vgpr_spill_count: 0
    .wavefront_size: 32
  - .args:
      - .actual_access:  read_only
        .address_space:  global
        .offset:         0
        .size:           8
        .value_kind:     global_buffer
      - .actual_access:  write_only
        .address_space:  global
        .offset:         8
        .size:           8
        .value_kind:     global_buffer
      - .offset:         16
        .size:           4
        .value_kind:     by_value
      - .offset:         20
        .size:           4
        .value_kind:     by_value
      - .offset:         24
        .size:           4
        .value_kind:     by_value
      - .offset:         32
        .size:           4
        .value_kind:     hidden_block_count_x
      - .offset:         36
        .size:           4
        .value_kind:     hidden_block_count_y
      - .offset:         40
        .size:           4
        .value_kind:     hidden_block_count_z
      - .offset:         44
        .size:           2
        .value_kind:     hidden_group_size_x
      - .offset:         46
        .size:           2
        .value_kind:     hidden_group_size_y
      - .offset:         48
        .size:           2
        .value_kind:     hidden_group_size_z
      - .offset:         50
        .size:           2
        .value_kind:     hidden_remainder_x
      - .offset:         52
        .size:           2
        .value_kind:     hidden_remainder_y
      - .offset:         54
        .size:           2
        .value_kind:     hidden_remainder_z
      - .offset:         72
        .size:           8
        .value_kind:     hidden_global_offset_x
      - .offset:         80
        .size:           8
        .value_kind:     hidden_global_offset_y
      - .offset:         88
        .size:           8
        .value_kind:     hidden_global_offset_z
      - .offset:         96
        .size:           2
        .value_kind:     hidden_grid_dims
    .group_segment_fixed_size: 128
    .kernarg_segment_align: 8
    .kernarg_segment_size: 288
    .language:       OpenCL C
    .language_version:
      - 2
      - 0
    .max_flat_workgroup_size: 128
    .name:           _ZL25flash_attn_mask_to_KV_maxILi1EEvPK7__half2Piiii
    .private_segment_fixed_size: 0
    .sgpr_count:     15
    .sgpr_spill_count: 0
    .symbol:         _ZL25flash_attn_mask_to_KV_maxILi1EEvPK7__half2Piiii.kd
    .uniform_work_group_size: 1
    .uses_dynamic_stack: false
    .vgpr_count:     5
    .vgpr_spill_count: 0
    .wavefront_size: 32
  - .args:
      - .address_space:  global
        .offset:         0
        .size:           8
        .value_kind:     global_buffer
      - .address_space:  global
        .offset:         8
        .size:           8
        .value_kind:     global_buffer
      - .offset:         16
        .size:           4
        .value_kind:     by_value
      - .offset:         20
        .size:           4
        .value_kind:     by_value
      - .offset:         24
        .size:           4
        .value_kind:     by_value
      - .offset:         28
        .size:           4
        .value_kind:     by_value
      - .offset:         32
        .size:           4
        .value_kind:     by_value
      - .offset:         36
        .size:           4
        .value_kind:     by_value
      - .offset:         40
        .size:           12
        .value_kind:     by_value
      - .offset:         52
        .size:           12
        .value_kind:     by_value
      - .offset:         64
        .size:           12
        .value_kind:     by_value
    .group_segment_fixed_size: 0
    .kernarg_segment_align: 8
    .kernarg_segment_size: 76
    .language:       OpenCL C
    .language_version:
      - 2
      - 0
    .max_flat_workgroup_size: 96
    .name:           _ZL33flash_attn_stream_k_fixup_uniformILi96ELi1ELi8EEvPfPK15HIP_vector_typeIfLj2EEiiiiiiS1_IjLj3EES5_S5_
    .private_segment_fixed_size: 0
    .sgpr_count:     23
    .sgpr_spill_count: 0
    .symbol:         _ZL33flash_attn_stream_k_fixup_uniformILi96ELi1ELi8EEvPfPK15HIP_vector_typeIfLj2EEiiiiiiS1_IjLj3EES5_S5_.kd
    .uniform_work_group_size: 1
    .uses_dynamic_stack: false
    .vgpr_count:     12
    .vgpr_spill_count: 0
    .wavefront_size: 32
  - .args:
      - .address_space:  global
        .offset:         0
        .size:           8
        .value_kind:     global_buffer
      - .address_space:  global
        .offset:         8
        .size:           8
        .value_kind:     global_buffer
      - .offset:         16
        .size:           4
        .value_kind:     by_value
      - .offset:         20
        .size:           4
        .value_kind:     by_value
      - .offset:         24
        .size:           4
        .value_kind:     by_value
      - .offset:         28
        .size:           4
        .value_kind:     by_value
      - .offset:         32
        .size:           12
        .value_kind:     by_value
      - .offset:         44
        .size:           12
        .value_kind:     by_value
      - .offset:         56
        .size:           12
        .value_kind:     by_value
      - .offset:         68
        .size:           12
        .value_kind:     by_value
      - .offset:         80
        .size:           4
        .value_kind:     hidden_block_count_x
      - .offset:         84
        .size:           4
        .value_kind:     hidden_block_count_y
      - .offset:         88
        .size:           4
        .value_kind:     hidden_block_count_z
      - .offset:         92
        .size:           2
        .value_kind:     hidden_group_size_x
      - .offset:         94
        .size:           2
        .value_kind:     hidden_group_size_y
      - .offset:         96
        .size:           2
        .value_kind:     hidden_group_size_z
      - .offset:         98
        .size:           2
        .value_kind:     hidden_remainder_x
      - .offset:         100
        .size:           2
        .value_kind:     hidden_remainder_y
      - .offset:         102
        .size:           2
        .value_kind:     hidden_remainder_z
      - .offset:         120
        .size:           8
        .value_kind:     hidden_global_offset_x
      - .offset:         128
        .size:           8
        .value_kind:     hidden_global_offset_y
      - .offset:         136
        .size:           8
        .value_kind:     hidden_global_offset_z
      - .offset:         144
        .size:           2
        .value_kind:     hidden_grid_dims
    .group_segment_fixed_size: 0
    .kernarg_segment_align: 8
    .kernarg_segment_size: 336
    .language:       OpenCL C
    .language_version:
      - 2
      - 0
    .max_flat_workgroup_size: 96
    .name:           _ZL33flash_attn_stream_k_fixup_generalILi96ELi1ELi8EEvPfPK15HIP_vector_typeIfLj2EEiiiiS1_IjLj3EES5_S5_S5_
    .private_segment_fixed_size: 0
    .sgpr_count:     48
    .sgpr_spill_count: 0
    .symbol:         _ZL33flash_attn_stream_k_fixup_generalILi96ELi1ELi8EEvPfPK15HIP_vector_typeIfLj2EEiiiiS1_IjLj3EES5_S5_S5_.kd
    .uniform_work_group_size: 1
    .uses_dynamic_stack: false
    .vgpr_count:     12
    .vgpr_spill_count: 0
    .wavefront_size: 32
  - .args:
      - .address_space:  global
        .offset:         0
        .size:           8
        .value_kind:     global_buffer
      - .address_space:  global
        .offset:         8
        .size:           8
        .value_kind:     global_buffer
      - .address_space:  global
        .offset:         16
        .size:           8
        .value_kind:     global_buffer
      - .address_space:  global
        .offset:         24
        .size:           8
        .value_kind:     global_buffer
      - .address_space:  global
        .offset:         32
        .size:           8
        .value_kind:     global_buffer
      - .address_space:  global
        .offset:         40
        .size:           8
        .value_kind:     global_buffer
      - .address_space:  global
        .offset:         48
        .size:           8
        .value_kind:     global_buffer
      - .address_space:  global
        .offset:         56
        .size:           8
        .value_kind:     global_buffer
      - .offset:         64
        .size:           4
        .value_kind:     by_value
      - .offset:         68
        .size:           4
        .value_kind:     by_value
      - .offset:         72
        .size:           4
        .value_kind:     by_value
      - .offset:         76
        .size:           4
        .value_kind:     by_value
      - .offset:         80
        .size:           4
        .value_kind:     by_value
      - .offset:         84
        .size:           4
        .value_kind:     by_value
      - .offset:         88
        .size:           4
        .value_kind:     by_value
      - .offset:         92
        .size:           12
        .value_kind:     by_value
      - .offset:         104
        .size:           4
        .value_kind:     by_value
      - .offset:         108
        .size:           4
        .value_kind:     by_value
      - .offset:         112
        .size:           4
        .value_kind:     by_value
      - .offset:         116
        .size:           4
        .value_kind:     by_value
      - .offset:         120
        .size:           4
        .value_kind:     by_value
      - .offset:         124
        .size:           4
        .value_kind:     by_value
      - .offset:         128
        .size:           4
        .value_kind:     by_value
      - .offset:         132
        .size:           4
        .value_kind:     by_value
      - .offset:         136
        .size:           4
        .value_kind:     by_value
      - .offset:         140
        .size:           4
        .value_kind:     by_value
      - .offset:         144
        .size:           4
        .value_kind:     by_value
      - .offset:         152
        .size:           8
        .value_kind:     by_value
      - .offset:         160
        .size:           4
        .value_kind:     by_value
      - .offset:         164
        .size:           4
        .value_kind:     by_value
      - .offset:         168
        .size:           8
        .value_kind:     by_value
      - .offset:         176
        .size:           4
        .value_kind:     by_value
      - .offset:         180
        .size:           4
        .value_kind:     by_value
      - .offset:         184
        .size:           4
        .value_kind:     by_value
      - .offset:         188
        .size:           4
        .value_kind:     by_value
      - .offset:         192
        .size:           4
        .value_kind:     by_value
      - .offset:         200
        .size:           8
        .value_kind:     by_value
      - .offset:         208
        .size:           4
        .value_kind:     hidden_block_count_x
      - .offset:         212
        .size:           4
        .value_kind:     hidden_block_count_y
      - .offset:         216
        .size:           4
        .value_kind:     hidden_block_count_z
      - .offset:         220
        .size:           2
        .value_kind:     hidden_group_size_x
      - .offset:         222
        .size:           2
        .value_kind:     hidden_group_size_y
      - .offset:         224
        .size:           2
        .value_kind:     hidden_group_size_z
      - .offset:         226
        .size:           2
        .value_kind:     hidden_remainder_x
      - .offset:         228
        .size:           2
        .value_kind:     hidden_remainder_y
      - .offset:         230
        .size:           2
        .value_kind:     hidden_remainder_z
      - .offset:         248
        .size:           8
        .value_kind:     hidden_global_offset_x
      - .offset:         256
        .size:           8
        .value_kind:     hidden_global_offset_y
      - .offset:         264
        .size:           8
        .value_kind:     hidden_global_offset_z
      - .offset:         272
        .size:           2
        .value_kind:     hidden_grid_dims
    .group_segment_fixed_size: 20096
    .kernarg_segment_align: 8
    .kernarg_segment_size: 464
    .language:       OpenCL C
    .language_version:
      - 2
      - 0
    .max_flat_workgroup_size: 256
    .name:           _ZL15flash_attn_tileILi96ELi96ELi16ELi4ELb0EEvPKcS1_S1_S1_S1_PKiPfP15HIP_vector_typeIfLj2EEffffjfiS5_IjLj3EEiiiiiiiiiiiliiliiiiil
    .private_segment_fixed_size: 0
    .sgpr_count:     56
    .sgpr_spill_count: 0
    .symbol:         _ZL15flash_attn_tileILi96ELi96ELi16ELi4ELb0EEvPKcS1_S1_S1_S1_PKiPfP15HIP_vector_typeIfLj2EEffffjfiS5_IjLj3EEiiiiiiiiiiiliiliiiiil.kd
    .uniform_work_group_size: 1
    .uses_dynamic_stack: false
    .vgpr_count:     249
    .vgpr_spill_count: 0
    .wavefront_size: 32
  - .args:
      - .actual_access:  read_only
        .address_space:  global
        .offset:         0
        .size:           8
        .value_kind:     global_buffer
      - .actual_access:  write_only
        .address_space:  global
        .offset:         8
        .size:           8
        .value_kind:     global_buffer
      - .offset:         16
        .size:           4
        .value_kind:     by_value
      - .offset:         20
        .size:           4
        .value_kind:     by_value
      - .offset:         24
        .size:           4
        .value_kind:     by_value
      - .offset:         32
        .size:           4
        .value_kind:     hidden_block_count_x
      - .offset:         36
        .size:           4
        .value_kind:     hidden_block_count_y
      - .offset:         40
        .size:           4
        .value_kind:     hidden_block_count_z
      - .offset:         44
        .size:           2
        .value_kind:     hidden_group_size_x
      - .offset:         46
        .size:           2
        .value_kind:     hidden_group_size_y
      - .offset:         48
        .size:           2
        .value_kind:     hidden_group_size_z
      - .offset:         50
        .size:           2
        .value_kind:     hidden_remainder_x
      - .offset:         52
        .size:           2
        .value_kind:     hidden_remainder_y
      - .offset:         54
        .size:           2
        .value_kind:     hidden_remainder_z
      - .offset:         72
        .size:           8
        .value_kind:     hidden_global_offset_x
      - .offset:         80
        .size:           8
        .value_kind:     hidden_global_offset_y
      - .offset:         88
        .size:           8
        .value_kind:     hidden_global_offset_z
      - .offset:         96
        .size:           2
        .value_kind:     hidden_grid_dims
    .group_segment_fixed_size: 128
    .kernarg_segment_align: 8
    .kernarg_segment_size: 288
    .language:       OpenCL C
    .language_version:
      - 2
      - 0
    .max_flat_workgroup_size: 128
    .name:           _ZL25flash_attn_mask_to_KV_maxILi16EEvPK7__half2Piiii
    .private_segment_fixed_size: 0
    .sgpr_count:     46
    .sgpr_spill_count: 0
    .symbol:         _ZL25flash_attn_mask_to_KV_maxILi16EEvPK7__half2Piiii.kd
    .uniform_work_group_size: 1
    .uses_dynamic_stack: false
    .vgpr_count:     6
    .vgpr_spill_count: 0
    .wavefront_size: 32
  - .args:
      - .address_space:  global
        .offset:         0
        .size:           8
        .value_kind:     global_buffer
      - .address_space:  global
        .offset:         8
        .size:           8
        .value_kind:     global_buffer
      - .offset:         16
        .size:           4
        .value_kind:     by_value
      - .offset:         20
        .size:           4
        .value_kind:     by_value
      - .offset:         24
        .size:           4
        .value_kind:     by_value
      - .offset:         28
        .size:           4
        .value_kind:     by_value
      - .offset:         32
        .size:           4
        .value_kind:     by_value
      - .offset:         36
        .size:           4
        .value_kind:     by_value
      - .offset:         40
        .size:           12
        .value_kind:     by_value
      - .offset:         52
        .size:           12
        .value_kind:     by_value
      - .offset:         64
        .size:           12
        .value_kind:     by_value
    .group_segment_fixed_size: 0
    .kernarg_segment_align: 8
    .kernarg_segment_size: 76
    .language:       OpenCL C
    .language_version:
      - 2
      - 0
    .max_flat_workgroup_size: 96
    .name:           _ZL33flash_attn_stream_k_fixup_uniformILi96ELi16ELi4EEvPfPK15HIP_vector_typeIfLj2EEiiiiiiS1_IjLj3EES5_S5_
    .private_segment_fixed_size: 0
    .sgpr_count:     23
    .sgpr_spill_count: 0
    .symbol:         _ZL33flash_attn_stream_k_fixup_uniformILi96ELi16ELi4EEvPfPK15HIP_vector_typeIfLj2EEiiiiiiS1_IjLj3EES5_S5_.kd
    .uniform_work_group_size: 1
    .uses_dynamic_stack: false
    .vgpr_count:     12
    .vgpr_spill_count: 0
    .wavefront_size: 32
  - .args:
      - .address_space:  global
        .offset:         0
        .size:           8
        .value_kind:     global_buffer
      - .address_space:  global
        .offset:         8
        .size:           8
        .value_kind:     global_buffer
      - .offset:         16
        .size:           4
        .value_kind:     by_value
      - .offset:         20
        .size:           4
        .value_kind:     by_value
      - .offset:         24
        .size:           4
        .value_kind:     by_value
      - .offset:         28
        .size:           4
        .value_kind:     by_value
      - .offset:         32
        .size:           12
        .value_kind:     by_value
      - .offset:         44
        .size:           12
        .value_kind:     by_value
      - .offset:         56
        .size:           12
        .value_kind:     by_value
      - .offset:         68
        .size:           12
        .value_kind:     by_value
      - .offset:         80
        .size:           4
        .value_kind:     hidden_block_count_x
      - .offset:         84
        .size:           4
        .value_kind:     hidden_block_count_y
      - .offset:         88
        .size:           4
        .value_kind:     hidden_block_count_z
      - .offset:         92
        .size:           2
        .value_kind:     hidden_group_size_x
      - .offset:         94
        .size:           2
        .value_kind:     hidden_group_size_y
      - .offset:         96
        .size:           2
        .value_kind:     hidden_group_size_z
      - .offset:         98
        .size:           2
        .value_kind:     hidden_remainder_x
      - .offset:         100
        .size:           2
        .value_kind:     hidden_remainder_y
      - .offset:         102
        .size:           2
        .value_kind:     hidden_remainder_z
      - .offset:         120
        .size:           8
        .value_kind:     hidden_global_offset_x
      - .offset:         128
        .size:           8
        .value_kind:     hidden_global_offset_y
      - .offset:         136
        .size:           8
        .value_kind:     hidden_global_offset_z
      - .offset:         144
        .size:           2
        .value_kind:     hidden_grid_dims
    .group_segment_fixed_size: 0
    .kernarg_segment_align: 8
    .kernarg_segment_size: 336
    .language:       OpenCL C
    .language_version:
      - 2
      - 0
    .max_flat_workgroup_size: 96
    .name:           _ZL33flash_attn_stream_k_fixup_generalILi96ELi16ELi4EEvPfPK15HIP_vector_typeIfLj2EEiiiiS1_IjLj3EES5_S5_S5_
    .private_segment_fixed_size: 0
    .sgpr_count:     48
    .sgpr_spill_count: 0
    .symbol:         _ZL33flash_attn_stream_k_fixup_generalILi96ELi16ELi4EEvPfPK15HIP_vector_typeIfLj2EEiiiiS1_IjLj3EES5_S5_S5_.kd
    .uniform_work_group_size: 1
    .uses_dynamic_stack: false
    .vgpr_count:     12
    .vgpr_spill_count: 0
    .wavefront_size: 32
  - .args:
      - .address_space:  global
        .offset:         0
        .size:           8
        .value_kind:     global_buffer
      - .address_space:  global
        .offset:         8
        .size:           8
        .value_kind:     global_buffer
      - .address_space:  global
        .offset:         16
        .size:           8
        .value_kind:     global_buffer
      - .address_space:  global
        .offset:         24
        .size:           8
        .value_kind:     global_buffer
      - .address_space:  global
        .offset:         32
        .size:           8
        .value_kind:     global_buffer
      - .address_space:  global
        .offset:         40
        .size:           8
        .value_kind:     global_buffer
      - .address_space:  global
        .offset:         48
        .size:           8
        .value_kind:     global_buffer
      - .address_space:  global
        .offset:         56
        .size:           8
        .value_kind:     global_buffer
      - .offset:         64
        .size:           4
        .value_kind:     by_value
      - .offset:         68
        .size:           4
        .value_kind:     by_value
      - .offset:         72
        .size:           4
        .value_kind:     by_value
      - .offset:         76
        .size:           4
        .value_kind:     by_value
      - .offset:         80
        .size:           4
        .value_kind:     by_value
      - .offset:         84
        .size:           4
        .value_kind:     by_value
      - .offset:         88
        .size:           4
        .value_kind:     by_value
      - .offset:         92
        .size:           12
        .value_kind:     by_value
      - .offset:         104
        .size:           4
        .value_kind:     by_value
      - .offset:         108
        .size:           4
        .value_kind:     by_value
      - .offset:         112
        .size:           4
        .value_kind:     by_value
      - .offset:         116
        .size:           4
        .value_kind:     by_value
      - .offset:         120
        .size:           4
        .value_kind:     by_value
      - .offset:         124
        .size:           4
        .value_kind:     by_value
      - .offset:         128
        .size:           4
        .value_kind:     by_value
      - .offset:         132
        .size:           4
        .value_kind:     by_value
      - .offset:         136
        .size:           4
        .value_kind:     by_value
      - .offset:         140
        .size:           4
        .value_kind:     by_value
      - .offset:         144
        .size:           4
        .value_kind:     by_value
      - .offset:         152
        .size:           8
        .value_kind:     by_value
      - .offset:         160
        .size:           4
        .value_kind:     by_value
      - .offset:         164
        .size:           4
        .value_kind:     by_value
      - .offset:         168
        .size:           8
        .value_kind:     by_value
      - .offset:         176
        .size:           4
        .value_kind:     by_value
      - .offset:         180
        .size:           4
        .value_kind:     by_value
      - .offset:         184
        .size:           4
        .value_kind:     by_value
      - .offset:         188
        .size:           4
        .value_kind:     by_value
      - .offset:         192
        .size:           4
        .value_kind:     by_value
      - .offset:         200
        .size:           8
        .value_kind:     by_value
      - .offset:         208
        .size:           4
        .value_kind:     hidden_block_count_x
      - .offset:         212
        .size:           4
        .value_kind:     hidden_block_count_y
      - .offset:         216
        .size:           4
        .value_kind:     hidden_block_count_z
      - .offset:         220
        .size:           2
        .value_kind:     hidden_group_size_x
      - .offset:         222
        .size:           2
        .value_kind:     hidden_group_size_y
      - .offset:         224
        .size:           2
        .value_kind:     hidden_group_size_z
      - .offset:         226
        .size:           2
        .value_kind:     hidden_remainder_x
      - .offset:         228
        .size:           2
        .value_kind:     hidden_remainder_y
      - .offset:         230
        .size:           2
        .value_kind:     hidden_remainder_z
      - .offset:         248
        .size:           8
        .value_kind:     hidden_global_offset_x
      - .offset:         256
        .size:           8
        .value_kind:     hidden_global_offset_y
      - .offset:         264
        .size:           8
        .value_kind:     hidden_global_offset_z
      - .offset:         272
        .size:           2
        .value_kind:     hidden_grid_dims
    .group_segment_fixed_size: 11904
    .kernarg_segment_align: 8
    .kernarg_segment_size: 464
    .language:       OpenCL C
    .language_version:
      - 2
      - 0
    .max_flat_workgroup_size: 256
    .name:           _ZL15flash_attn_tileILi96ELi96ELi8ELi4ELb0EEvPKcS1_S1_S1_S1_PKiPfP15HIP_vector_typeIfLj2EEffffjfiS5_IjLj3EEiiiiiiiiiiiliiliiiiil
    .private_segment_fixed_size: 0
    .sgpr_count:     48
    .sgpr_spill_count: 0
    .symbol:         _ZL15flash_attn_tileILi96ELi96ELi8ELi4ELb0EEvPKcS1_S1_S1_S1_PKiPfP15HIP_vector_typeIfLj2EEffffjfiS5_IjLj3EEiiiiiiiiiiiliiliiiiil.kd
    .uniform_work_group_size: 1
    .uses_dynamic_stack: false
    .vgpr_count:     161
    .vgpr_spill_count: 0
    .wavefront_size: 32
  - .args:
      - .address_space:  global
        .offset:         0
        .size:           8
        .value_kind:     global_buffer
      - .address_space:  global
        .offset:         8
        .size:           8
        .value_kind:     global_buffer
      - .offset:         16
        .size:           4
        .value_kind:     by_value
      - .offset:         20
        .size:           4
        .value_kind:     by_value
      - .offset:         24
        .size:           4
        .value_kind:     by_value
      - .offset:         28
        .size:           4
        .value_kind:     by_value
      - .offset:         32
        .size:           4
        .value_kind:     by_value
      - .offset:         36
        .size:           4
        .value_kind:     by_value
      - .offset:         40
        .size:           12
        .value_kind:     by_value
      - .offset:         52
        .size:           12
        .value_kind:     by_value
      - .offset:         64
        .size:           12
        .value_kind:     by_value
    .group_segment_fixed_size: 0
    .kernarg_segment_align: 8
    .kernarg_segment_size: 76
    .language:       OpenCL C
    .language_version:
      - 2
      - 0
    .max_flat_workgroup_size: 96
    .name:           _ZL33flash_attn_stream_k_fixup_uniformILi96ELi8ELi4EEvPfPK15HIP_vector_typeIfLj2EEiiiiiiS1_IjLj3EES5_S5_
    .private_segment_fixed_size: 0
    .sgpr_count:     23
    .sgpr_spill_count: 0
    .symbol:         _ZL33flash_attn_stream_k_fixup_uniformILi96ELi8ELi4EEvPfPK15HIP_vector_typeIfLj2EEiiiiiiS1_IjLj3EES5_S5_.kd
    .uniform_work_group_size: 1
    .uses_dynamic_stack: false
    .vgpr_count:     12
    .vgpr_spill_count: 0
    .wavefront_size: 32
  - .args:
      - .address_space:  global
        .offset:         0
        .size:           8
        .value_kind:     global_buffer
      - .address_space:  global
        .offset:         8
        .size:           8
        .value_kind:     global_buffer
      - .offset:         16
        .size:           4
        .value_kind:     by_value
      - .offset:         20
        .size:           4
        .value_kind:     by_value
      - .offset:         24
        .size:           4
        .value_kind:     by_value
      - .offset:         28
        .size:           4
        .value_kind:     by_value
      - .offset:         32
        .size:           12
        .value_kind:     by_value
      - .offset:         44
        .size:           12
        .value_kind:     by_value
      - .offset:         56
        .size:           12
        .value_kind:     by_value
      - .offset:         68
        .size:           12
        .value_kind:     by_value
      - .offset:         80
        .size:           4
        .value_kind:     hidden_block_count_x
      - .offset:         84
        .size:           4
        .value_kind:     hidden_block_count_y
      - .offset:         88
        .size:           4
        .value_kind:     hidden_block_count_z
      - .offset:         92
        .size:           2
        .value_kind:     hidden_group_size_x
      - .offset:         94
        .size:           2
        .value_kind:     hidden_group_size_y
      - .offset:         96
        .size:           2
        .value_kind:     hidden_group_size_z
      - .offset:         98
        .size:           2
        .value_kind:     hidden_remainder_x
      - .offset:         100
        .size:           2
        .value_kind:     hidden_remainder_y
      - .offset:         102
        .size:           2
        .value_kind:     hidden_remainder_z
      - .offset:         120
        .size:           8
        .value_kind:     hidden_global_offset_x
      - .offset:         128
        .size:           8
        .value_kind:     hidden_global_offset_y
      - .offset:         136
        .size:           8
        .value_kind:     hidden_global_offset_z
      - .offset:         144
        .size:           2
        .value_kind:     hidden_grid_dims
    .group_segment_fixed_size: 0
    .kernarg_segment_align: 8
    .kernarg_segment_size: 336
    .language:       OpenCL C
    .language_version:
      - 2
      - 0
    .max_flat_workgroup_size: 96
    .name:           _ZL33flash_attn_stream_k_fixup_generalILi96ELi8ELi4EEvPfPK15HIP_vector_typeIfLj2EEiiiiS1_IjLj3EES5_S5_S5_
    .private_segment_fixed_size: 0
    .sgpr_count:     48
    .sgpr_spill_count: 0
    .symbol:         _ZL33flash_attn_stream_k_fixup_generalILi96ELi8ELi4EEvPfPK15HIP_vector_typeIfLj2EEiiiiS1_IjLj3EES5_S5_S5_.kd
    .uniform_work_group_size: 1
    .uses_dynamic_stack: false
    .vgpr_count:     12
    .vgpr_spill_count: 0
    .wavefront_size: 32
  - .args:
      - .address_space:  global
        .offset:         0
        .size:           8
        .value_kind:     global_buffer
      - .address_space:  global
        .offset:         8
        .size:           8
        .value_kind:     global_buffer
      - .address_space:  global
        .offset:         16
        .size:           8
        .value_kind:     global_buffer
      - .address_space:  global
        .offset:         24
        .size:           8
        .value_kind:     global_buffer
      - .address_space:  global
        .offset:         32
        .size:           8
        .value_kind:     global_buffer
      - .address_space:  global
        .offset:         40
        .size:           8
        .value_kind:     global_buffer
      - .address_space:  global
        .offset:         48
        .size:           8
        .value_kind:     global_buffer
      - .address_space:  global
        .offset:         56
        .size:           8
        .value_kind:     global_buffer
      - .offset:         64
        .size:           4
        .value_kind:     by_value
      - .offset:         68
        .size:           4
        .value_kind:     by_value
      - .offset:         72
        .size:           4
        .value_kind:     by_value
      - .offset:         76
        .size:           4
        .value_kind:     by_value
      - .offset:         80
        .size:           4
        .value_kind:     by_value
      - .offset:         84
        .size:           4
        .value_kind:     by_value
      - .offset:         88
        .size:           4
        .value_kind:     by_value
      - .offset:         92
        .size:           12
        .value_kind:     by_value
      - .offset:         104
        .size:           4
        .value_kind:     by_value
      - .offset:         108
        .size:           4
        .value_kind:     by_value
      - .offset:         112
        .size:           4
        .value_kind:     by_value
      - .offset:         116
        .size:           4
        .value_kind:     by_value
      - .offset:         120
        .size:           4
        .value_kind:     by_value
      - .offset:         124
        .size:           4
        .value_kind:     by_value
      - .offset:         128
        .size:           4
        .value_kind:     by_value
      - .offset:         132
        .size:           4
        .value_kind:     by_value
      - .offset:         136
        .size:           4
        .value_kind:     by_value
      - .offset:         140
        .size:           4
        .value_kind:     by_value
      - .offset:         144
        .size:           4
        .value_kind:     by_value
      - .offset:         152
        .size:           8
        .value_kind:     by_value
      - .offset:         160
        .size:           4
        .value_kind:     by_value
      - .offset:         164
        .size:           4
        .value_kind:     by_value
      - .offset:         168
        .size:           8
        .value_kind:     by_value
      - .offset:         176
        .size:           4
        .value_kind:     by_value
      - .offset:         180
        .size:           4
        .value_kind:     by_value
      - .offset:         184
        .size:           4
        .value_kind:     by_value
      - .offset:         188
        .size:           4
        .value_kind:     by_value
      - .offset:         192
        .size:           4
        .value_kind:     by_value
      - .offset:         200
        .size:           8
        .value_kind:     by_value
      - .offset:         208
        .size:           4
        .value_kind:     hidden_block_count_x
      - .offset:         212
        .size:           4
        .value_kind:     hidden_block_count_y
      - .offset:         216
        .size:           4
        .value_kind:     hidden_block_count_z
      - .offset:         220
        .size:           2
        .value_kind:     hidden_group_size_x
      - .offset:         222
        .size:           2
        .value_kind:     hidden_group_size_y
      - .offset:         224
        .size:           2
        .value_kind:     hidden_group_size_z
      - .offset:         226
        .size:           2
        .value_kind:     hidden_remainder_x
      - .offset:         228
        .size:           2
        .value_kind:     hidden_remainder_y
      - .offset:         230
        .size:           2
        .value_kind:     hidden_remainder_z
      - .offset:         248
        .size:           8
        .value_kind:     hidden_global_offset_x
      - .offset:         256
        .size:           8
        .value_kind:     hidden_global_offset_y
      - .offset:         264
        .size:           8
        .value_kind:     hidden_global_offset_z
      - .offset:         272
        .size:           2
        .value_kind:     hidden_grid_dims
    .group_segment_fixed_size: 7808
    .kernarg_segment_align: 8
    .kernarg_segment_size: 464
    .language:       OpenCL C
    .language_version:
      - 2
      - 0
    .max_flat_workgroup_size: 256
    .name:           _ZL15flash_attn_tileILi96ELi96ELi4ELi4ELb0EEvPKcS1_S1_S1_S1_PKiPfP15HIP_vector_typeIfLj2EEffffjfiS5_IjLj3EEiiiiiiiiiiiliiliiiiil
    .private_segment_fixed_size: 0
    .sgpr_count:     44
    .sgpr_spill_count: 0
    .symbol:         _ZL15flash_attn_tileILi96ELi96ELi4ELi4ELb0EEvPKcS1_S1_S1_S1_PKiPfP15HIP_vector_typeIfLj2EEffffjfiS5_IjLj3EEiiiiiiiiiiiliiliiiiil.kd
    .uniform_work_group_size: 1
    .uses_dynamic_stack: false
    .vgpr_count:     110
    .vgpr_spill_count: 0
    .wavefront_size: 32
  - .args:
      - .address_space:  global
        .offset:         0
        .size:           8
        .value_kind:     global_buffer
      - .address_space:  global
        .offset:         8
        .size:           8
        .value_kind:     global_buffer
      - .offset:         16
        .size:           4
        .value_kind:     by_value
      - .offset:         20
        .size:           4
        .value_kind:     by_value
      - .offset:         24
        .size:           4
        .value_kind:     by_value
      - .offset:         28
        .size:           4
        .value_kind:     by_value
      - .offset:         32
        .size:           4
        .value_kind:     by_value
      - .offset:         36
        .size:           4
        .value_kind:     by_value
      - .offset:         40
        .size:           12
        .value_kind:     by_value
      - .offset:         52
        .size:           12
        .value_kind:     by_value
      - .offset:         64
        .size:           12
        .value_kind:     by_value
    .group_segment_fixed_size: 0
    .kernarg_segment_align: 8
    .kernarg_segment_size: 76
    .language:       OpenCL C
    .language_version:
      - 2
      - 0
    .max_flat_workgroup_size: 96
    .name:           _ZL33flash_attn_stream_k_fixup_uniformILi96ELi4ELi4EEvPfPK15HIP_vector_typeIfLj2EEiiiiiiS1_IjLj3EES5_S5_
    .private_segment_fixed_size: 0
    .sgpr_count:     23
    .sgpr_spill_count: 0
    .symbol:         _ZL33flash_attn_stream_k_fixup_uniformILi96ELi4ELi4EEvPfPK15HIP_vector_typeIfLj2EEiiiiiiS1_IjLj3EES5_S5_.kd
    .uniform_work_group_size: 1
    .uses_dynamic_stack: false
    .vgpr_count:     12
    .vgpr_spill_count: 0
    .wavefront_size: 32
  - .args:
      - .address_space:  global
        .offset:         0
        .size:           8
        .value_kind:     global_buffer
      - .address_space:  global
        .offset:         8
        .size:           8
        .value_kind:     global_buffer
      - .offset:         16
        .size:           4
        .value_kind:     by_value
      - .offset:         20
        .size:           4
        .value_kind:     by_value
      - .offset:         24
        .size:           4
        .value_kind:     by_value
      - .offset:         28
        .size:           4
        .value_kind:     by_value
      - .offset:         32
        .size:           12
        .value_kind:     by_value
      - .offset:         44
        .size:           12
        .value_kind:     by_value
      - .offset:         56
        .size:           12
        .value_kind:     by_value
      - .offset:         68
        .size:           12
        .value_kind:     by_value
      - .offset:         80
        .size:           4
        .value_kind:     hidden_block_count_x
      - .offset:         84
        .size:           4
        .value_kind:     hidden_block_count_y
      - .offset:         88
        .size:           4
        .value_kind:     hidden_block_count_z
      - .offset:         92
        .size:           2
        .value_kind:     hidden_group_size_x
      - .offset:         94
        .size:           2
        .value_kind:     hidden_group_size_y
      - .offset:         96
        .size:           2
        .value_kind:     hidden_group_size_z
      - .offset:         98
        .size:           2
        .value_kind:     hidden_remainder_x
      - .offset:         100
        .size:           2
        .value_kind:     hidden_remainder_y
      - .offset:         102
        .size:           2
        .value_kind:     hidden_remainder_z
      - .offset:         120
        .size:           8
        .value_kind:     hidden_global_offset_x
      - .offset:         128
        .size:           8
        .value_kind:     hidden_global_offset_y
      - .offset:         136
        .size:           8
        .value_kind:     hidden_global_offset_z
      - .offset:         144
        .size:           2
        .value_kind:     hidden_grid_dims
    .group_segment_fixed_size: 0
    .kernarg_segment_align: 8
    .kernarg_segment_size: 336
    .language:       OpenCL C
    .language_version:
      - 2
      - 0
    .max_flat_workgroup_size: 96
    .name:           _ZL33flash_attn_stream_k_fixup_generalILi96ELi4ELi4EEvPfPK15HIP_vector_typeIfLj2EEiiiiS1_IjLj3EES5_S5_S5_
    .private_segment_fixed_size: 0
    .sgpr_count:     48
    .sgpr_spill_count: 0
    .symbol:         _ZL33flash_attn_stream_k_fixup_generalILi96ELi4ELi4EEvPfPK15HIP_vector_typeIfLj2EEiiiiS1_IjLj3EES5_S5_S5_.kd
    .uniform_work_group_size: 1
    .uses_dynamic_stack: false
    .vgpr_count:     12
    .vgpr_spill_count: 0
    .wavefront_size: 32
  - .args:
      - .address_space:  global
        .offset:         0
        .size:           8
        .value_kind:     global_buffer
      - .address_space:  global
        .offset:         8
        .size:           8
        .value_kind:     global_buffer
      - .address_space:  global
        .offset:         16
        .size:           8
        .value_kind:     global_buffer
      - .address_space:  global
        .offset:         24
        .size:           8
        .value_kind:     global_buffer
      - .address_space:  global
        .offset:         32
        .size:           8
        .value_kind:     global_buffer
      - .address_space:  global
        .offset:         40
        .size:           8
        .value_kind:     global_buffer
      - .address_space:  global
        .offset:         48
        .size:           8
        .value_kind:     global_buffer
      - .address_space:  global
        .offset:         56
        .size:           8
        .value_kind:     global_buffer
      - .offset:         64
        .size:           4
        .value_kind:     by_value
      - .offset:         68
        .size:           4
        .value_kind:     by_value
      - .offset:         72
        .size:           4
        .value_kind:     by_value
      - .offset:         76
        .size:           4
        .value_kind:     by_value
      - .offset:         80
        .size:           4
        .value_kind:     by_value
      - .offset:         84
        .size:           4
        .value_kind:     by_value
      - .offset:         88
        .size:           4
        .value_kind:     by_value
      - .offset:         92
        .size:           12
        .value_kind:     by_value
      - .offset:         104
        .size:           4
        .value_kind:     by_value
      - .offset:         108
        .size:           4
        .value_kind:     by_value
      - .offset:         112
        .size:           4
        .value_kind:     by_value
      - .offset:         116
        .size:           4
        .value_kind:     by_value
      - .offset:         120
        .size:           4
        .value_kind:     by_value
      - .offset:         124
        .size:           4
        .value_kind:     by_value
      - .offset:         128
        .size:           4
        .value_kind:     by_value
      - .offset:         132
        .size:           4
        .value_kind:     by_value
      - .offset:         136
        .size:           4
        .value_kind:     by_value
      - .offset:         140
        .size:           4
        .value_kind:     by_value
      - .offset:         144
        .size:           4
        .value_kind:     by_value
      - .offset:         152
        .size:           8
        .value_kind:     by_value
      - .offset:         160
        .size:           4
        .value_kind:     by_value
      - .offset:         164
        .size:           4
        .value_kind:     by_value
      - .offset:         168
        .size:           8
        .value_kind:     by_value
      - .offset:         176
        .size:           4
        .value_kind:     by_value
      - .offset:         180
        .size:           4
        .value_kind:     by_value
      - .offset:         184
        .size:           4
        .value_kind:     by_value
      - .offset:         188
        .size:           4
        .value_kind:     by_value
      - .offset:         192
        .size:           4
        .value_kind:     by_value
      - .offset:         200
        .size:           8
        .value_kind:     by_value
      - .offset:         208
        .size:           4
        .value_kind:     hidden_block_count_x
      - .offset:         212
        .size:           4
        .value_kind:     hidden_block_count_y
      - .offset:         216
        .size:           4
        .value_kind:     hidden_block_count_z
      - .offset:         220
        .size:           2
        .value_kind:     hidden_group_size_x
      - .offset:         222
        .size:           2
        .value_kind:     hidden_group_size_y
      - .offset:         224
        .size:           2
        .value_kind:     hidden_group_size_z
      - .offset:         226
        .size:           2
        .value_kind:     hidden_remainder_x
      - .offset:         228
        .size:           2
        .value_kind:     hidden_remainder_y
      - .offset:         230
        .size:           2
        .value_kind:     hidden_remainder_z
      - .offset:         248
        .size:           8
        .value_kind:     hidden_global_offset_x
      - .offset:         256
        .size:           8
        .value_kind:     hidden_global_offset_y
      - .offset:         264
        .size:           8
        .value_kind:     hidden_global_offset_z
      - .offset:         272
        .size:           2
        .value_kind:     hidden_grid_dims
    .group_segment_fixed_size: 5760
    .kernarg_segment_align: 8
    .kernarg_segment_size: 464
    .language:       OpenCL C
    .language_version:
      - 2
      - 0
    .max_flat_workgroup_size: 256
    .name:           _ZL15flash_attn_tileILi96ELi96ELi2ELi4ELb0EEvPKcS1_S1_S1_S1_PKiPfP15HIP_vector_typeIfLj2EEffffjfiS5_IjLj3EEiiiiiiiiiiiliiliiiiil
    .private_segment_fixed_size: 0
    .sgpr_count:     48
    .sgpr_spill_count: 0
    .symbol:         _ZL15flash_attn_tileILi96ELi96ELi2ELi4ELb0EEvPKcS1_S1_S1_S1_PKiPfP15HIP_vector_typeIfLj2EEffffjfiS5_IjLj3EEiiiiiiiiiiiliiliiiiil.kd
    .uniform_work_group_size: 1
    .uses_dynamic_stack: false
    .vgpr_count:     88
    .vgpr_spill_count: 0
    .wavefront_size: 32
  - .args:
      - .address_space:  global
        .offset:         0
        .size:           8
        .value_kind:     global_buffer
      - .address_space:  global
        .offset:         8
        .size:           8
        .value_kind:     global_buffer
      - .offset:         16
        .size:           4
        .value_kind:     by_value
      - .offset:         20
        .size:           4
        .value_kind:     by_value
      - .offset:         24
        .size:           4
        .value_kind:     by_value
      - .offset:         28
        .size:           4
        .value_kind:     by_value
      - .offset:         32
        .size:           4
        .value_kind:     by_value
      - .offset:         36
        .size:           4
        .value_kind:     by_value
      - .offset:         40
        .size:           12
        .value_kind:     by_value
      - .offset:         52
        .size:           12
        .value_kind:     by_value
      - .offset:         64
        .size:           12
        .value_kind:     by_value
    .group_segment_fixed_size: 0
    .kernarg_segment_align: 8
    .kernarg_segment_size: 76
    .language:       OpenCL C
    .language_version:
      - 2
      - 0
    .max_flat_workgroup_size: 96
    .name:           _ZL33flash_attn_stream_k_fixup_uniformILi96ELi2ELi4EEvPfPK15HIP_vector_typeIfLj2EEiiiiiiS1_IjLj3EES5_S5_
    .private_segment_fixed_size: 0
    .sgpr_count:     23
    .sgpr_spill_count: 0
    .symbol:         _ZL33flash_attn_stream_k_fixup_uniformILi96ELi2ELi4EEvPfPK15HIP_vector_typeIfLj2EEiiiiiiS1_IjLj3EES5_S5_.kd
    .uniform_work_group_size: 1
    .uses_dynamic_stack: false
    .vgpr_count:     12
    .vgpr_spill_count: 0
    .wavefront_size: 32
  - .args:
      - .address_space:  global
        .offset:         0
        .size:           8
        .value_kind:     global_buffer
      - .address_space:  global
        .offset:         8
        .size:           8
        .value_kind:     global_buffer
      - .offset:         16
        .size:           4
        .value_kind:     by_value
      - .offset:         20
        .size:           4
        .value_kind:     by_value
      - .offset:         24
        .size:           4
        .value_kind:     by_value
      - .offset:         28
        .size:           4
        .value_kind:     by_value
      - .offset:         32
        .size:           12
        .value_kind:     by_value
      - .offset:         44
        .size:           12
        .value_kind:     by_value
      - .offset:         56
        .size:           12
        .value_kind:     by_value
      - .offset:         68
        .size:           12
        .value_kind:     by_value
      - .offset:         80
        .size:           4
        .value_kind:     hidden_block_count_x
      - .offset:         84
        .size:           4
        .value_kind:     hidden_block_count_y
      - .offset:         88
        .size:           4
        .value_kind:     hidden_block_count_z
      - .offset:         92
        .size:           2
        .value_kind:     hidden_group_size_x
      - .offset:         94
        .size:           2
        .value_kind:     hidden_group_size_y
      - .offset:         96
        .size:           2
        .value_kind:     hidden_group_size_z
      - .offset:         98
        .size:           2
        .value_kind:     hidden_remainder_x
      - .offset:         100
        .size:           2
        .value_kind:     hidden_remainder_y
      - .offset:         102
        .size:           2
        .value_kind:     hidden_remainder_z
      - .offset:         120
        .size:           8
        .value_kind:     hidden_global_offset_x
      - .offset:         128
        .size:           8
        .value_kind:     hidden_global_offset_y
      - .offset:         136
        .size:           8
        .value_kind:     hidden_global_offset_z
      - .offset:         144
        .size:           2
        .value_kind:     hidden_grid_dims
    .group_segment_fixed_size: 0
    .kernarg_segment_align: 8
    .kernarg_segment_size: 336
    .language:       OpenCL C
    .language_version:
      - 2
      - 0
    .max_flat_workgroup_size: 96
    .name:           _ZL33flash_attn_stream_k_fixup_generalILi96ELi2ELi4EEvPfPK15HIP_vector_typeIfLj2EEiiiiS1_IjLj3EES5_S5_S5_
    .private_segment_fixed_size: 0
    .sgpr_count:     48
    .sgpr_spill_count: 0
    .symbol:         _ZL33flash_attn_stream_k_fixup_generalILi96ELi2ELi4EEvPfPK15HIP_vector_typeIfLj2EEiiiiS1_IjLj3EES5_S5_S5_.kd
    .uniform_work_group_size: 1
    .uses_dynamic_stack: false
    .vgpr_count:     12
    .vgpr_spill_count: 0
    .wavefront_size: 32
  - .args:
      - .address_space:  global
        .offset:         0
        .size:           8
        .value_kind:     global_buffer
      - .address_space:  global
        .offset:         8
        .size:           8
        .value_kind:     global_buffer
      - .address_space:  global
        .offset:         16
        .size:           8
        .value_kind:     global_buffer
      - .address_space:  global
        .offset:         24
        .size:           8
        .value_kind:     global_buffer
      - .address_space:  global
        .offset:         32
        .size:           8
        .value_kind:     global_buffer
      - .address_space:  global
        .offset:         40
        .size:           8
        .value_kind:     global_buffer
      - .address_space:  global
        .offset:         48
        .size:           8
        .value_kind:     global_buffer
      - .address_space:  global
        .offset:         56
        .size:           8
        .value_kind:     global_buffer
      - .offset:         64
        .size:           4
        .value_kind:     by_value
      - .offset:         68
        .size:           4
        .value_kind:     by_value
      - .offset:         72
        .size:           4
        .value_kind:     by_value
      - .offset:         76
        .size:           4
        .value_kind:     by_value
      - .offset:         80
        .size:           4
        .value_kind:     by_value
      - .offset:         84
        .size:           4
        .value_kind:     by_value
      - .offset:         88
        .size:           4
        .value_kind:     by_value
      - .offset:         92
        .size:           12
        .value_kind:     by_value
      - .offset:         104
        .size:           4
        .value_kind:     by_value
      - .offset:         108
        .size:           4
        .value_kind:     by_value
      - .offset:         112
        .size:           4
        .value_kind:     by_value
      - .offset:         116
        .size:           4
        .value_kind:     by_value
      - .offset:         120
        .size:           4
        .value_kind:     by_value
      - .offset:         124
        .size:           4
        .value_kind:     by_value
      - .offset:         128
        .size:           4
        .value_kind:     by_value
      - .offset:         132
        .size:           4
        .value_kind:     by_value
      - .offset:         136
        .size:           4
        .value_kind:     by_value
      - .offset:         140
        .size:           4
        .value_kind:     by_value
      - .offset:         144
        .size:           4
        .value_kind:     by_value
      - .offset:         152
        .size:           8
        .value_kind:     by_value
      - .offset:         160
        .size:           4
        .value_kind:     by_value
      - .offset:         164
        .size:           4
        .value_kind:     by_value
      - .offset:         168
        .size:           8
        .value_kind:     by_value
      - .offset:         176
        .size:           4
        .value_kind:     by_value
      - .offset:         180
        .size:           4
        .value_kind:     by_value
      - .offset:         184
        .size:           4
        .value_kind:     by_value
      - .offset:         188
        .size:           4
        .value_kind:     by_value
      - .offset:         192
        .size:           4
        .value_kind:     by_value
      - .offset:         200
        .size:           8
        .value_kind:     by_value
      - .offset:         208
        .size:           4
        .value_kind:     hidden_block_count_x
      - .offset:         212
        .size:           4
        .value_kind:     hidden_block_count_y
      - .offset:         216
        .size:           4
        .value_kind:     hidden_block_count_z
      - .offset:         220
        .size:           2
        .value_kind:     hidden_group_size_x
      - .offset:         222
        .size:           2
        .value_kind:     hidden_group_size_y
      - .offset:         224
        .size:           2
        .value_kind:     hidden_group_size_z
      - .offset:         226
        .size:           2
        .value_kind:     hidden_remainder_x
      - .offset:         228
        .size:           2
        .value_kind:     hidden_remainder_y
      - .offset:         230
        .size:           2
        .value_kind:     hidden_remainder_z
      - .offset:         248
        .size:           8
        .value_kind:     hidden_global_offset_x
      - .offset:         256
        .size:           8
        .value_kind:     hidden_global_offset_y
      - .offset:         264
        .size:           8
        .value_kind:     hidden_global_offset_z
      - .offset:         272
        .size:           2
        .value_kind:     hidden_grid_dims
    .group_segment_fixed_size: 4736
    .kernarg_segment_align: 8
    .kernarg_segment_size: 464
    .language:       OpenCL C
    .language_version:
      - 2
      - 0
    .max_flat_workgroup_size: 128
    .name:           _ZL15flash_attn_tileILi96ELi96ELi1ELi4ELb0EEvPKcS1_S1_S1_S1_PKiPfP15HIP_vector_typeIfLj2EEffffjfiS5_IjLj3EEiiiiiiiiiiiliiliiiiil
    .private_segment_fixed_size: 0
    .sgpr_count:     48
    .sgpr_spill_count: 0
    .symbol:         _ZL15flash_attn_tileILi96ELi96ELi1ELi4ELb0EEvPKcS1_S1_S1_S1_PKiPfP15HIP_vector_typeIfLj2EEffffjfiS5_IjLj3EEiiiiiiiiiiiliiliiiiil.kd
    .uniform_work_group_size: 1
    .uses_dynamic_stack: false
    .vgpr_count:     90
    .vgpr_spill_count: 0
    .wavefront_size: 32
  - .args:
      - .address_space:  global
        .offset:         0
        .size:           8
        .value_kind:     global_buffer
      - .address_space:  global
        .offset:         8
        .size:           8
        .value_kind:     global_buffer
      - .offset:         16
        .size:           4
        .value_kind:     by_value
      - .offset:         20
        .size:           4
        .value_kind:     by_value
      - .offset:         24
        .size:           4
        .value_kind:     by_value
      - .offset:         28
        .size:           4
        .value_kind:     by_value
      - .offset:         32
        .size:           4
        .value_kind:     by_value
      - .offset:         36
        .size:           4
        .value_kind:     by_value
      - .offset:         40
        .size:           12
        .value_kind:     by_value
      - .offset:         52
        .size:           12
        .value_kind:     by_value
      - .offset:         64
        .size:           12
        .value_kind:     by_value
    .group_segment_fixed_size: 0
    .kernarg_segment_align: 8
    .kernarg_segment_size: 76
    .language:       OpenCL C
    .language_version:
      - 2
      - 0
    .max_flat_workgroup_size: 96
    .name:           _ZL33flash_attn_stream_k_fixup_uniformILi96ELi1ELi4EEvPfPK15HIP_vector_typeIfLj2EEiiiiiiS1_IjLj3EES5_S5_
    .private_segment_fixed_size: 0
    .sgpr_count:     23
    .sgpr_spill_count: 0
    .symbol:         _ZL33flash_attn_stream_k_fixup_uniformILi96ELi1ELi4EEvPfPK15HIP_vector_typeIfLj2EEiiiiiiS1_IjLj3EES5_S5_.kd
    .uniform_work_group_size: 1
    .uses_dynamic_stack: false
    .vgpr_count:     12
    .vgpr_spill_count: 0
    .wavefront_size: 32
  - .args:
      - .address_space:  global
        .offset:         0
        .size:           8
        .value_kind:     global_buffer
      - .address_space:  global
        .offset:         8
        .size:           8
        .value_kind:     global_buffer
      - .offset:         16
        .size:           4
        .value_kind:     by_value
      - .offset:         20
        .size:           4
        .value_kind:     by_value
      - .offset:         24
        .size:           4
        .value_kind:     by_value
      - .offset:         28
        .size:           4
        .value_kind:     by_value
      - .offset:         32
        .size:           12
        .value_kind:     by_value
      - .offset:         44
        .size:           12
        .value_kind:     by_value
      - .offset:         56
        .size:           12
        .value_kind:     by_value
      - .offset:         68
        .size:           12
        .value_kind:     by_value
      - .offset:         80
        .size:           4
        .value_kind:     hidden_block_count_x
      - .offset:         84
        .size:           4
        .value_kind:     hidden_block_count_y
      - .offset:         88
        .size:           4
        .value_kind:     hidden_block_count_z
      - .offset:         92
        .size:           2
        .value_kind:     hidden_group_size_x
      - .offset:         94
        .size:           2
        .value_kind:     hidden_group_size_y
      - .offset:         96
        .size:           2
        .value_kind:     hidden_group_size_z
      - .offset:         98
        .size:           2
        .value_kind:     hidden_remainder_x
      - .offset:         100
        .size:           2
        .value_kind:     hidden_remainder_y
      - .offset:         102
        .size:           2
        .value_kind:     hidden_remainder_z
      - .offset:         120
        .size:           8
        .value_kind:     hidden_global_offset_x
      - .offset:         128
        .size:           8
        .value_kind:     hidden_global_offset_y
      - .offset:         136
        .size:           8
        .value_kind:     hidden_global_offset_z
      - .offset:         144
        .size:           2
        .value_kind:     hidden_grid_dims
    .group_segment_fixed_size: 0
    .kernarg_segment_align: 8
    .kernarg_segment_size: 336
    .language:       OpenCL C
    .language_version:
      - 2
      - 0
    .max_flat_workgroup_size: 96
    .name:           _ZL33flash_attn_stream_k_fixup_generalILi96ELi1ELi4EEvPfPK15HIP_vector_typeIfLj2EEiiiiS1_IjLj3EES5_S5_S5_
    .private_segment_fixed_size: 0
    .sgpr_count:     48
    .sgpr_spill_count: 0
    .symbol:         _ZL33flash_attn_stream_k_fixup_generalILi96ELi1ELi4EEvPfPK15HIP_vector_typeIfLj2EEiiiiS1_IjLj3EES5_S5_S5_.kd
    .uniform_work_group_size: 1
    .uses_dynamic_stack: false
    .vgpr_count:     12
    .vgpr_spill_count: 0
    .wavefront_size: 32
  - .args:
      - .address_space:  global
        .offset:         0
        .size:           8
        .value_kind:     global_buffer
      - .address_space:  global
        .offset:         8
        .size:           8
        .value_kind:     global_buffer
      - .address_space:  global
        .offset:         16
        .size:           8
        .value_kind:     global_buffer
      - .address_space:  global
        .offset:         24
        .size:           8
        .value_kind:     global_buffer
      - .address_space:  global
        .offset:         32
        .size:           8
        .value_kind:     global_buffer
      - .address_space:  global
        .offset:         40
        .size:           8
        .value_kind:     global_buffer
      - .address_space:  global
        .offset:         48
        .size:           8
        .value_kind:     global_buffer
      - .address_space:  global
        .offset:         56
        .size:           8
        .value_kind:     global_buffer
      - .offset:         64
        .size:           4
        .value_kind:     by_value
      - .offset:         68
        .size:           4
        .value_kind:     by_value
      - .offset:         72
        .size:           4
        .value_kind:     by_value
      - .offset:         76
        .size:           4
        .value_kind:     by_value
      - .offset:         80
        .size:           4
        .value_kind:     by_value
      - .offset:         84
        .size:           4
        .value_kind:     by_value
      - .offset:         88
        .size:           4
        .value_kind:     by_value
      - .offset:         92
        .size:           12
        .value_kind:     by_value
      - .offset:         104
        .size:           4
        .value_kind:     by_value
      - .offset:         108
        .size:           4
        .value_kind:     by_value
      - .offset:         112
        .size:           4
        .value_kind:     by_value
      - .offset:         116
        .size:           4
        .value_kind:     by_value
      - .offset:         120
        .size:           4
        .value_kind:     by_value
      - .offset:         124
        .size:           4
        .value_kind:     by_value
      - .offset:         128
        .size:           4
        .value_kind:     by_value
      - .offset:         132
        .size:           4
        .value_kind:     by_value
      - .offset:         136
        .size:           4
        .value_kind:     by_value
      - .offset:         140
        .size:           4
        .value_kind:     by_value
      - .offset:         144
        .size:           4
        .value_kind:     by_value
      - .offset:         152
        .size:           8
        .value_kind:     by_value
      - .offset:         160
        .size:           4
        .value_kind:     by_value
      - .offset:         164
        .size:           4
        .value_kind:     by_value
      - .offset:         168
        .size:           8
        .value_kind:     by_value
      - .offset:         176
        .size:           4
        .value_kind:     by_value
      - .offset:         180
        .size:           4
        .value_kind:     by_value
      - .offset:         184
        .size:           4
        .value_kind:     by_value
      - .offset:         188
        .size:           4
        .value_kind:     by_value
      - .offset:         192
        .size:           4
        .value_kind:     by_value
      - .offset:         200
        .size:           8
        .value_kind:     by_value
      - .offset:         208
        .size:           4
        .value_kind:     hidden_block_count_x
      - .offset:         212
        .size:           4
        .value_kind:     hidden_block_count_y
      - .offset:         216
        .size:           4
        .value_kind:     hidden_block_count_z
      - .offset:         220
        .size:           2
        .value_kind:     hidden_group_size_x
      - .offset:         222
        .size:           2
        .value_kind:     hidden_group_size_y
      - .offset:         224
        .size:           2
        .value_kind:     hidden_group_size_z
      - .offset:         226
        .size:           2
        .value_kind:     hidden_remainder_x
      - .offset:         228
        .size:           2
        .value_kind:     hidden_remainder_y
      - .offset:         230
        .size:           2
        .value_kind:     hidden_remainder_z
      - .offset:         248
        .size:           8
        .value_kind:     hidden_global_offset_x
      - .offset:         256
        .size:           8
        .value_kind:     hidden_global_offset_y
      - .offset:         264
        .size:           8
        .value_kind:     hidden_global_offset_z
      - .offset:         272
        .size:           2
        .value_kind:     hidden_grid_dims
    .group_segment_fixed_size: 20096
    .kernarg_segment_align: 8
    .kernarg_segment_size: 464
    .language:       OpenCL C
    .language_version:
      - 2
      - 0
    .max_flat_workgroup_size: 256
    .name:           _ZL15flash_attn_tileILi96ELi96ELi32ELi2ELb0EEvPKcS1_S1_S1_S1_PKiPfP15HIP_vector_typeIfLj2EEffffjfiS5_IjLj3EEiiiiiiiiiiiliiliiiiil
    .private_segment_fixed_size: 0
    .sgpr_count:     56
    .sgpr_spill_count: 0
    .symbol:         _ZL15flash_attn_tileILi96ELi96ELi32ELi2ELb0EEvPKcS1_S1_S1_S1_PKiPfP15HIP_vector_typeIfLj2EEffffjfiS5_IjLj3EEiiiiiiiiiiiliiliiiiil.kd
    .uniform_work_group_size: 1
    .uses_dynamic_stack: false
    .vgpr_count:     260
    .vgpr_spill_count: 0
    .wavefront_size: 32
  - .args:
      - .actual_access:  read_only
        .address_space:  global
        .offset:         0
        .size:           8
        .value_kind:     global_buffer
      - .actual_access:  write_only
        .address_space:  global
        .offset:         8
        .size:           8
        .value_kind:     global_buffer
      - .offset:         16
        .size:           4
        .value_kind:     by_value
      - .offset:         20
        .size:           4
        .value_kind:     by_value
      - .offset:         24
        .size:           4
        .value_kind:     by_value
      - .offset:         32
        .size:           4
        .value_kind:     hidden_block_count_x
      - .offset:         36
        .size:           4
        .value_kind:     hidden_block_count_y
      - .offset:         40
        .size:           4
        .value_kind:     hidden_block_count_z
      - .offset:         44
        .size:           2
        .value_kind:     hidden_group_size_x
      - .offset:         46
        .size:           2
        .value_kind:     hidden_group_size_y
      - .offset:         48
        .size:           2
        .value_kind:     hidden_group_size_z
      - .offset:         50
        .size:           2
        .value_kind:     hidden_remainder_x
      - .offset:         52
        .size:           2
        .value_kind:     hidden_remainder_y
      - .offset:         54
        .size:           2
        .value_kind:     hidden_remainder_z
      - .offset:         72
        .size:           8
        .value_kind:     hidden_global_offset_x
      - .offset:         80
        .size:           8
        .value_kind:     hidden_global_offset_y
      - .offset:         88
        .size:           8
        .value_kind:     hidden_global_offset_z
      - .offset:         96
        .size:           2
        .value_kind:     hidden_grid_dims
    .group_segment_fixed_size: 128
    .kernarg_segment_align: 8
    .kernarg_segment_size: 288
    .language:       OpenCL C
    .language_version:
      - 2
      - 0
    .max_flat_workgroup_size: 128
    .name:           _ZL25flash_attn_mask_to_KV_maxILi32EEvPK7__half2Piiii
    .private_segment_fixed_size: 0
    .sgpr_count:     78
    .sgpr_spill_count: 0
    .symbol:         _ZL25flash_attn_mask_to_KV_maxILi32EEvPK7__half2Piiii.kd
    .uniform_work_group_size: 1
    .uses_dynamic_stack: false
    .vgpr_count:     6
    .vgpr_spill_count: 0
    .wavefront_size: 32
  - .args:
      - .address_space:  global
        .offset:         0
        .size:           8
        .value_kind:     global_buffer
      - .address_space:  global
        .offset:         8
        .size:           8
        .value_kind:     global_buffer
      - .offset:         16
        .size:           4
        .value_kind:     by_value
      - .offset:         20
        .size:           4
        .value_kind:     by_value
      - .offset:         24
        .size:           4
        .value_kind:     by_value
      - .offset:         28
        .size:           4
        .value_kind:     by_value
      - .offset:         32
        .size:           4
        .value_kind:     by_value
      - .offset:         36
        .size:           4
        .value_kind:     by_value
      - .offset:         40
        .size:           12
        .value_kind:     by_value
      - .offset:         52
        .size:           12
        .value_kind:     by_value
      - .offset:         64
        .size:           12
        .value_kind:     by_value
    .group_segment_fixed_size: 0
    .kernarg_segment_align: 8
    .kernarg_segment_size: 76
    .language:       OpenCL C
    .language_version:
      - 2
      - 0
    .max_flat_workgroup_size: 96
    .name:           _ZL33flash_attn_stream_k_fixup_uniformILi96ELi32ELi2EEvPfPK15HIP_vector_typeIfLj2EEiiiiiiS1_IjLj3EES5_S5_
    .private_segment_fixed_size: 0
    .sgpr_count:     23
    .sgpr_spill_count: 0
    .symbol:         _ZL33flash_attn_stream_k_fixup_uniformILi96ELi32ELi2EEvPfPK15HIP_vector_typeIfLj2EEiiiiiiS1_IjLj3EES5_S5_.kd
    .uniform_work_group_size: 1
    .uses_dynamic_stack: false
    .vgpr_count:     12
    .vgpr_spill_count: 0
    .wavefront_size: 32
  - .args:
      - .address_space:  global
        .offset:         0
        .size:           8
        .value_kind:     global_buffer
      - .address_space:  global
        .offset:         8
        .size:           8
        .value_kind:     global_buffer
      - .offset:         16
        .size:           4
        .value_kind:     by_value
      - .offset:         20
        .size:           4
        .value_kind:     by_value
      - .offset:         24
        .size:           4
        .value_kind:     by_value
      - .offset:         28
        .size:           4
        .value_kind:     by_value
      - .offset:         32
        .size:           12
        .value_kind:     by_value
      - .offset:         44
        .size:           12
        .value_kind:     by_value
      - .offset:         56
        .size:           12
        .value_kind:     by_value
      - .offset:         68
        .size:           12
        .value_kind:     by_value
      - .offset:         80
        .size:           4
        .value_kind:     hidden_block_count_x
      - .offset:         84
        .size:           4
        .value_kind:     hidden_block_count_y
      - .offset:         88
        .size:           4
        .value_kind:     hidden_block_count_z
      - .offset:         92
        .size:           2
        .value_kind:     hidden_group_size_x
      - .offset:         94
        .size:           2
        .value_kind:     hidden_group_size_y
      - .offset:         96
        .size:           2
        .value_kind:     hidden_group_size_z
      - .offset:         98
        .size:           2
        .value_kind:     hidden_remainder_x
      - .offset:         100
        .size:           2
        .value_kind:     hidden_remainder_y
      - .offset:         102
        .size:           2
        .value_kind:     hidden_remainder_z
      - .offset:         120
        .size:           8
        .value_kind:     hidden_global_offset_x
      - .offset:         128
        .size:           8
        .value_kind:     hidden_global_offset_y
      - .offset:         136
        .size:           8
        .value_kind:     hidden_global_offset_z
      - .offset:         144
        .size:           2
        .value_kind:     hidden_grid_dims
    .group_segment_fixed_size: 0
    .kernarg_segment_align: 8
    .kernarg_segment_size: 336
    .language:       OpenCL C
    .language_version:
      - 2
      - 0
    .max_flat_workgroup_size: 96
    .name:           _ZL33flash_attn_stream_k_fixup_generalILi96ELi32ELi2EEvPfPK15HIP_vector_typeIfLj2EEiiiiS1_IjLj3EES5_S5_S5_
    .private_segment_fixed_size: 0
    .sgpr_count:     48
    .sgpr_spill_count: 0
    .symbol:         _ZL33flash_attn_stream_k_fixup_generalILi96ELi32ELi2EEvPfPK15HIP_vector_typeIfLj2EEiiiiS1_IjLj3EES5_S5_S5_.kd
    .uniform_work_group_size: 1
    .uses_dynamic_stack: false
    .vgpr_count:     12
    .vgpr_spill_count: 0
    .wavefront_size: 32
  - .args:
      - .address_space:  global
        .offset:         0
        .size:           8
        .value_kind:     global_buffer
      - .address_space:  global
        .offset:         8
        .size:           8
        .value_kind:     global_buffer
      - .address_space:  global
        .offset:         16
        .size:           8
        .value_kind:     global_buffer
      - .address_space:  global
        .offset:         24
        .size:           8
        .value_kind:     global_buffer
      - .address_space:  global
        .offset:         32
        .size:           8
        .value_kind:     global_buffer
      - .address_space:  global
        .offset:         40
        .size:           8
        .value_kind:     global_buffer
      - .address_space:  global
        .offset:         48
        .size:           8
        .value_kind:     global_buffer
      - .address_space:  global
        .offset:         56
        .size:           8
        .value_kind:     global_buffer
      - .offset:         64
        .size:           4
        .value_kind:     by_value
      - .offset:         68
        .size:           4
        .value_kind:     by_value
      - .offset:         72
        .size:           4
        .value_kind:     by_value
      - .offset:         76
        .size:           4
        .value_kind:     by_value
      - .offset:         80
        .size:           4
        .value_kind:     by_value
      - .offset:         84
        .size:           4
        .value_kind:     by_value
      - .offset:         88
        .size:           4
        .value_kind:     by_value
      - .offset:         92
        .size:           12
        .value_kind:     by_value
      - .offset:         104
        .size:           4
        .value_kind:     by_value
      - .offset:         108
        .size:           4
        .value_kind:     by_value
      - .offset:         112
        .size:           4
        .value_kind:     by_value
      - .offset:         116
        .size:           4
        .value_kind:     by_value
      - .offset:         120
        .size:           4
        .value_kind:     by_value
      - .offset:         124
        .size:           4
        .value_kind:     by_value
      - .offset:         128
        .size:           4
        .value_kind:     by_value
      - .offset:         132
        .size:           4
        .value_kind:     by_value
      - .offset:         136
        .size:           4
        .value_kind:     by_value
      - .offset:         140
        .size:           4
        .value_kind:     by_value
      - .offset:         144
        .size:           4
        .value_kind:     by_value
      - .offset:         152
        .size:           8
        .value_kind:     by_value
      - .offset:         160
        .size:           4
        .value_kind:     by_value
      - .offset:         164
        .size:           4
        .value_kind:     by_value
      - .offset:         168
        .size:           8
        .value_kind:     by_value
      - .offset:         176
        .size:           4
        .value_kind:     by_value
      - .offset:         180
        .size:           4
        .value_kind:     by_value
      - .offset:         184
        .size:           4
        .value_kind:     by_value
      - .offset:         188
        .size:           4
        .value_kind:     by_value
      - .offset:         192
        .size:           4
        .value_kind:     by_value
      - .offset:         200
        .size:           8
        .value_kind:     by_value
      - .offset:         208
        .size:           4
        .value_kind:     hidden_block_count_x
      - .offset:         212
        .size:           4
        .value_kind:     hidden_block_count_y
      - .offset:         216
        .size:           4
        .value_kind:     hidden_block_count_z
      - .offset:         220
        .size:           2
        .value_kind:     hidden_group_size_x
      - .offset:         222
        .size:           2
        .value_kind:     hidden_group_size_y
      - .offset:         224
        .size:           2
        .value_kind:     hidden_group_size_z
      - .offset:         226
        .size:           2
        .value_kind:     hidden_remainder_x
      - .offset:         228
        .size:           2
        .value_kind:     hidden_remainder_y
      - .offset:         230
        .size:           2
        .value_kind:     hidden_remainder_z
      - .offset:         248
        .size:           8
        .value_kind:     hidden_global_offset_x
      - .offset:         256
        .size:           8
        .value_kind:     hidden_global_offset_y
      - .offset:         264
        .size:           8
        .value_kind:     hidden_global_offset_z
      - .offset:         272
        .size:           2
        .value_kind:     hidden_grid_dims
    .group_segment_fixed_size: 11904
    .kernarg_segment_align: 8
    .kernarg_segment_size: 464
    .language:       OpenCL C
    .language_version:
      - 2
      - 0
    .max_flat_workgroup_size: 256
    .name:           _ZL15flash_attn_tileILi96ELi96ELi16ELi2ELb0EEvPKcS1_S1_S1_S1_PKiPfP15HIP_vector_typeIfLj2EEffffjfiS5_IjLj3EEiiiiiiiiiiiliiliiiiil
    .private_segment_fixed_size: 0
    .sgpr_count:     49
    .sgpr_spill_count: 0
    .symbol:         _ZL15flash_attn_tileILi96ELi96ELi16ELi2ELb0EEvPKcS1_S1_S1_S1_PKiPfP15HIP_vector_typeIfLj2EEffffjfiS5_IjLj3EEiiiiiiiiiiiliiliiiiil.kd
    .uniform_work_group_size: 1
    .uses_dynamic_stack: false
    .vgpr_count:     164
    .vgpr_spill_count: 0
    .wavefront_size: 32
  - .args:
      - .address_space:  global
        .offset:         0
        .size:           8
        .value_kind:     global_buffer
      - .address_space:  global
        .offset:         8
        .size:           8
        .value_kind:     global_buffer
      - .offset:         16
        .size:           4
        .value_kind:     by_value
      - .offset:         20
        .size:           4
        .value_kind:     by_value
      - .offset:         24
        .size:           4
        .value_kind:     by_value
      - .offset:         28
        .size:           4
        .value_kind:     by_value
      - .offset:         32
        .size:           4
        .value_kind:     by_value
      - .offset:         36
        .size:           4
        .value_kind:     by_value
      - .offset:         40
        .size:           12
        .value_kind:     by_value
      - .offset:         52
        .size:           12
        .value_kind:     by_value
      - .offset:         64
        .size:           12
        .value_kind:     by_value
    .group_segment_fixed_size: 0
    .kernarg_segment_align: 8
    .kernarg_segment_size: 76
    .language:       OpenCL C
    .language_version:
      - 2
      - 0
    .max_flat_workgroup_size: 96
    .name:           _ZL33flash_attn_stream_k_fixup_uniformILi96ELi16ELi2EEvPfPK15HIP_vector_typeIfLj2EEiiiiiiS1_IjLj3EES5_S5_
    .private_segment_fixed_size: 0
    .sgpr_count:     23
    .sgpr_spill_count: 0
    .symbol:         _ZL33flash_attn_stream_k_fixup_uniformILi96ELi16ELi2EEvPfPK15HIP_vector_typeIfLj2EEiiiiiiS1_IjLj3EES5_S5_.kd
    .uniform_work_group_size: 1
    .uses_dynamic_stack: false
    .vgpr_count:     12
    .vgpr_spill_count: 0
    .wavefront_size: 32
  - .args:
      - .address_space:  global
        .offset:         0
        .size:           8
        .value_kind:     global_buffer
      - .address_space:  global
        .offset:         8
        .size:           8
        .value_kind:     global_buffer
      - .offset:         16
        .size:           4
        .value_kind:     by_value
      - .offset:         20
        .size:           4
        .value_kind:     by_value
      - .offset:         24
        .size:           4
        .value_kind:     by_value
      - .offset:         28
        .size:           4
        .value_kind:     by_value
      - .offset:         32
        .size:           12
        .value_kind:     by_value
      - .offset:         44
        .size:           12
        .value_kind:     by_value
      - .offset:         56
        .size:           12
        .value_kind:     by_value
      - .offset:         68
        .size:           12
        .value_kind:     by_value
      - .offset:         80
        .size:           4
        .value_kind:     hidden_block_count_x
      - .offset:         84
        .size:           4
        .value_kind:     hidden_block_count_y
      - .offset:         88
        .size:           4
        .value_kind:     hidden_block_count_z
      - .offset:         92
        .size:           2
        .value_kind:     hidden_group_size_x
      - .offset:         94
        .size:           2
        .value_kind:     hidden_group_size_y
      - .offset:         96
        .size:           2
        .value_kind:     hidden_group_size_z
      - .offset:         98
        .size:           2
        .value_kind:     hidden_remainder_x
      - .offset:         100
        .size:           2
        .value_kind:     hidden_remainder_y
      - .offset:         102
        .size:           2
        .value_kind:     hidden_remainder_z
      - .offset:         120
        .size:           8
        .value_kind:     hidden_global_offset_x
      - .offset:         128
        .size:           8
        .value_kind:     hidden_global_offset_y
      - .offset:         136
        .size:           8
        .value_kind:     hidden_global_offset_z
      - .offset:         144
        .size:           2
        .value_kind:     hidden_grid_dims
    .group_segment_fixed_size: 0
    .kernarg_segment_align: 8
    .kernarg_segment_size: 336
    .language:       OpenCL C
    .language_version:
      - 2
      - 0
    .max_flat_workgroup_size: 96
    .name:           _ZL33flash_attn_stream_k_fixup_generalILi96ELi16ELi2EEvPfPK15HIP_vector_typeIfLj2EEiiiiS1_IjLj3EES5_S5_S5_
    .private_segment_fixed_size: 0
    .sgpr_count:     48
    .sgpr_spill_count: 0
    .symbol:         _ZL33flash_attn_stream_k_fixup_generalILi96ELi16ELi2EEvPfPK15HIP_vector_typeIfLj2EEiiiiS1_IjLj3EES5_S5_S5_.kd
    .uniform_work_group_size: 1
    .uses_dynamic_stack: false
    .vgpr_count:     12
    .vgpr_spill_count: 0
    .wavefront_size: 32
  - .args:
      - .address_space:  global
        .offset:         0
        .size:           8
        .value_kind:     global_buffer
      - .address_space:  global
        .offset:         8
        .size:           8
        .value_kind:     global_buffer
      - .address_space:  global
        .offset:         16
        .size:           8
        .value_kind:     global_buffer
      - .address_space:  global
        .offset:         24
        .size:           8
        .value_kind:     global_buffer
      - .address_space:  global
        .offset:         32
        .size:           8
        .value_kind:     global_buffer
      - .address_space:  global
        .offset:         40
        .size:           8
        .value_kind:     global_buffer
      - .address_space:  global
        .offset:         48
        .size:           8
        .value_kind:     global_buffer
      - .address_space:  global
        .offset:         56
        .size:           8
        .value_kind:     global_buffer
      - .offset:         64
        .size:           4
        .value_kind:     by_value
      - .offset:         68
        .size:           4
        .value_kind:     by_value
      - .offset:         72
        .size:           4
        .value_kind:     by_value
      - .offset:         76
        .size:           4
        .value_kind:     by_value
      - .offset:         80
        .size:           4
        .value_kind:     by_value
      - .offset:         84
        .size:           4
        .value_kind:     by_value
      - .offset:         88
        .size:           4
        .value_kind:     by_value
      - .offset:         92
        .size:           12
        .value_kind:     by_value
      - .offset:         104
        .size:           4
        .value_kind:     by_value
      - .offset:         108
        .size:           4
        .value_kind:     by_value
      - .offset:         112
        .size:           4
        .value_kind:     by_value
      - .offset:         116
        .size:           4
        .value_kind:     by_value
      - .offset:         120
        .size:           4
        .value_kind:     by_value
      - .offset:         124
        .size:           4
        .value_kind:     by_value
      - .offset:         128
        .size:           4
        .value_kind:     by_value
      - .offset:         132
        .size:           4
        .value_kind:     by_value
      - .offset:         136
        .size:           4
        .value_kind:     by_value
      - .offset:         140
        .size:           4
        .value_kind:     by_value
      - .offset:         144
        .size:           4
        .value_kind:     by_value
      - .offset:         152
        .size:           8
        .value_kind:     by_value
      - .offset:         160
        .size:           4
        .value_kind:     by_value
      - .offset:         164
        .size:           4
        .value_kind:     by_value
      - .offset:         168
        .size:           8
        .value_kind:     by_value
      - .offset:         176
        .size:           4
        .value_kind:     by_value
      - .offset:         180
        .size:           4
        .value_kind:     by_value
      - .offset:         184
        .size:           4
        .value_kind:     by_value
      - .offset:         188
        .size:           4
        .value_kind:     by_value
      - .offset:         192
        .size:           4
        .value_kind:     by_value
      - .offset:         200
        .size:           8
        .value_kind:     by_value
      - .offset:         208
        .size:           4
        .value_kind:     hidden_block_count_x
      - .offset:         212
        .size:           4
        .value_kind:     hidden_block_count_y
      - .offset:         216
        .size:           4
        .value_kind:     hidden_block_count_z
      - .offset:         220
        .size:           2
        .value_kind:     hidden_group_size_x
      - .offset:         222
        .size:           2
        .value_kind:     hidden_group_size_y
      - .offset:         224
        .size:           2
        .value_kind:     hidden_group_size_z
      - .offset:         226
        .size:           2
        .value_kind:     hidden_remainder_x
      - .offset:         228
        .size:           2
        .value_kind:     hidden_remainder_y
      - .offset:         230
        .size:           2
        .value_kind:     hidden_remainder_z
      - .offset:         248
        .size:           8
        .value_kind:     hidden_global_offset_x
      - .offset:         256
        .size:           8
        .value_kind:     hidden_global_offset_y
      - .offset:         264
        .size:           8
        .value_kind:     hidden_global_offset_z
      - .offset:         272
        .size:           2
        .value_kind:     hidden_grid_dims
    .group_segment_fixed_size: 7808
    .kernarg_segment_align: 8
    .kernarg_segment_size: 464
    .language:       OpenCL C
    .language_version:
      - 2
      - 0
    .max_flat_workgroup_size: 256
    .name:           _ZL15flash_attn_tileILi96ELi96ELi8ELi2ELb0EEvPKcS1_S1_S1_S1_PKiPfP15HIP_vector_typeIfLj2EEffffjfiS5_IjLj3EEiiiiiiiiiiiliiliiiiil
    .private_segment_fixed_size: 0
    .sgpr_count:     45
    .sgpr_spill_count: 0
    .symbol:         _ZL15flash_attn_tileILi96ELi96ELi8ELi2ELb0EEvPKcS1_S1_S1_S1_PKiPfP15HIP_vector_typeIfLj2EEffffjfiS5_IjLj3EEiiiiiiiiiiiliiliiiiil.kd
    .uniform_work_group_size: 1
    .uses_dynamic_stack: false
    .vgpr_count:     109
    .vgpr_spill_count: 0
    .wavefront_size: 32
  - .args:
      - .address_space:  global
        .offset:         0
        .size:           8
        .value_kind:     global_buffer
      - .address_space:  global
        .offset:         8
        .size:           8
        .value_kind:     global_buffer
      - .offset:         16
        .size:           4
        .value_kind:     by_value
      - .offset:         20
        .size:           4
        .value_kind:     by_value
      - .offset:         24
        .size:           4
        .value_kind:     by_value
      - .offset:         28
        .size:           4
        .value_kind:     by_value
      - .offset:         32
        .size:           4
        .value_kind:     by_value
      - .offset:         36
        .size:           4
        .value_kind:     by_value
      - .offset:         40
        .size:           12
        .value_kind:     by_value
      - .offset:         52
        .size:           12
        .value_kind:     by_value
      - .offset:         64
        .size:           12
        .value_kind:     by_value
    .group_segment_fixed_size: 0
    .kernarg_segment_align: 8
    .kernarg_segment_size: 76
    .language:       OpenCL C
    .language_version:
      - 2
      - 0
    .max_flat_workgroup_size: 96
    .name:           _ZL33flash_attn_stream_k_fixup_uniformILi96ELi8ELi2EEvPfPK15HIP_vector_typeIfLj2EEiiiiiiS1_IjLj3EES5_S5_
    .private_segment_fixed_size: 0
    .sgpr_count:     23
    .sgpr_spill_count: 0
    .symbol:         _ZL33flash_attn_stream_k_fixup_uniformILi96ELi8ELi2EEvPfPK15HIP_vector_typeIfLj2EEiiiiiiS1_IjLj3EES5_S5_.kd
    .uniform_work_group_size: 1
    .uses_dynamic_stack: false
    .vgpr_count:     12
    .vgpr_spill_count: 0
    .wavefront_size: 32
  - .args:
      - .address_space:  global
        .offset:         0
        .size:           8
        .value_kind:     global_buffer
      - .address_space:  global
        .offset:         8
        .size:           8
        .value_kind:     global_buffer
      - .offset:         16
        .size:           4
        .value_kind:     by_value
      - .offset:         20
        .size:           4
        .value_kind:     by_value
      - .offset:         24
        .size:           4
        .value_kind:     by_value
      - .offset:         28
        .size:           4
        .value_kind:     by_value
      - .offset:         32
        .size:           12
        .value_kind:     by_value
      - .offset:         44
        .size:           12
        .value_kind:     by_value
      - .offset:         56
        .size:           12
        .value_kind:     by_value
      - .offset:         68
        .size:           12
        .value_kind:     by_value
      - .offset:         80
        .size:           4
        .value_kind:     hidden_block_count_x
      - .offset:         84
        .size:           4
        .value_kind:     hidden_block_count_y
      - .offset:         88
        .size:           4
        .value_kind:     hidden_block_count_z
      - .offset:         92
        .size:           2
        .value_kind:     hidden_group_size_x
      - .offset:         94
        .size:           2
        .value_kind:     hidden_group_size_y
      - .offset:         96
        .size:           2
        .value_kind:     hidden_group_size_z
      - .offset:         98
        .size:           2
        .value_kind:     hidden_remainder_x
      - .offset:         100
        .size:           2
        .value_kind:     hidden_remainder_y
      - .offset:         102
        .size:           2
        .value_kind:     hidden_remainder_z
      - .offset:         120
        .size:           8
        .value_kind:     hidden_global_offset_x
      - .offset:         128
        .size:           8
        .value_kind:     hidden_global_offset_y
      - .offset:         136
        .size:           8
        .value_kind:     hidden_global_offset_z
      - .offset:         144
        .size:           2
        .value_kind:     hidden_grid_dims
    .group_segment_fixed_size: 0
    .kernarg_segment_align: 8
    .kernarg_segment_size: 336
    .language:       OpenCL C
    .language_version:
      - 2
      - 0
    .max_flat_workgroup_size: 96
    .name:           _ZL33flash_attn_stream_k_fixup_generalILi96ELi8ELi2EEvPfPK15HIP_vector_typeIfLj2EEiiiiS1_IjLj3EES5_S5_S5_
    .private_segment_fixed_size: 0
    .sgpr_count:     48
    .sgpr_spill_count: 0
    .symbol:         _ZL33flash_attn_stream_k_fixup_generalILi96ELi8ELi2EEvPfPK15HIP_vector_typeIfLj2EEiiiiS1_IjLj3EES5_S5_S5_.kd
    .uniform_work_group_size: 1
    .uses_dynamic_stack: false
    .vgpr_count:     12
    .vgpr_spill_count: 0
    .wavefront_size: 32
  - .args:
      - .address_space:  global
        .offset:         0
        .size:           8
        .value_kind:     global_buffer
      - .address_space:  global
        .offset:         8
        .size:           8
        .value_kind:     global_buffer
      - .address_space:  global
        .offset:         16
        .size:           8
        .value_kind:     global_buffer
      - .address_space:  global
        .offset:         24
        .size:           8
        .value_kind:     global_buffer
      - .address_space:  global
        .offset:         32
        .size:           8
        .value_kind:     global_buffer
      - .address_space:  global
        .offset:         40
        .size:           8
        .value_kind:     global_buffer
      - .address_space:  global
        .offset:         48
        .size:           8
        .value_kind:     global_buffer
      - .address_space:  global
        .offset:         56
        .size:           8
        .value_kind:     global_buffer
      - .offset:         64
        .size:           4
        .value_kind:     by_value
      - .offset:         68
        .size:           4
        .value_kind:     by_value
      - .offset:         72
        .size:           4
        .value_kind:     by_value
      - .offset:         76
        .size:           4
        .value_kind:     by_value
      - .offset:         80
        .size:           4
        .value_kind:     by_value
      - .offset:         84
        .size:           4
        .value_kind:     by_value
      - .offset:         88
        .size:           4
        .value_kind:     by_value
      - .offset:         92
        .size:           12
        .value_kind:     by_value
      - .offset:         104
        .size:           4
        .value_kind:     by_value
      - .offset:         108
        .size:           4
        .value_kind:     by_value
      - .offset:         112
        .size:           4
        .value_kind:     by_value
      - .offset:         116
        .size:           4
        .value_kind:     by_value
      - .offset:         120
        .size:           4
        .value_kind:     by_value
      - .offset:         124
        .size:           4
        .value_kind:     by_value
      - .offset:         128
        .size:           4
        .value_kind:     by_value
      - .offset:         132
        .size:           4
        .value_kind:     by_value
      - .offset:         136
        .size:           4
        .value_kind:     by_value
      - .offset:         140
        .size:           4
        .value_kind:     by_value
      - .offset:         144
        .size:           4
        .value_kind:     by_value
      - .offset:         152
        .size:           8
        .value_kind:     by_value
      - .offset:         160
        .size:           4
        .value_kind:     by_value
      - .offset:         164
        .size:           4
        .value_kind:     by_value
      - .offset:         168
        .size:           8
        .value_kind:     by_value
      - .offset:         176
        .size:           4
        .value_kind:     by_value
      - .offset:         180
        .size:           4
        .value_kind:     by_value
      - .offset:         184
        .size:           4
        .value_kind:     by_value
      - .offset:         188
        .size:           4
        .value_kind:     by_value
      - .offset:         192
        .size:           4
        .value_kind:     by_value
      - .offset:         200
        .size:           8
        .value_kind:     by_value
      - .offset:         208
        .size:           4
        .value_kind:     hidden_block_count_x
      - .offset:         212
        .size:           4
        .value_kind:     hidden_block_count_y
      - .offset:         216
        .size:           4
        .value_kind:     hidden_block_count_z
      - .offset:         220
        .size:           2
        .value_kind:     hidden_group_size_x
      - .offset:         222
        .size:           2
        .value_kind:     hidden_group_size_y
      - .offset:         224
        .size:           2
        .value_kind:     hidden_group_size_z
      - .offset:         226
        .size:           2
        .value_kind:     hidden_remainder_x
      - .offset:         228
        .size:           2
        .value_kind:     hidden_remainder_y
      - .offset:         230
        .size:           2
        .value_kind:     hidden_remainder_z
      - .offset:         248
        .size:           8
        .value_kind:     hidden_global_offset_x
      - .offset:         256
        .size:           8
        .value_kind:     hidden_global_offset_y
      - .offset:         264
        .size:           8
        .value_kind:     hidden_global_offset_z
      - .offset:         272
        .size:           2
        .value_kind:     hidden_grid_dims
    .group_segment_fixed_size: 5760
    .kernarg_segment_align: 8
    .kernarg_segment_size: 464
    .language:       OpenCL C
    .language_version:
      - 2
      - 0
    .max_flat_workgroup_size: 256
    .name:           _ZL15flash_attn_tileILi96ELi96ELi4ELi2ELb0EEvPKcS1_S1_S1_S1_PKiPfP15HIP_vector_typeIfLj2EEffffjfiS5_IjLj3EEiiiiiiiiiiiliiliiiiil
    .private_segment_fixed_size: 0
    .sgpr_count:     48
    .sgpr_spill_count: 0
    .symbol:         _ZL15flash_attn_tileILi96ELi96ELi4ELi2ELb0EEvPKcS1_S1_S1_S1_PKiPfP15HIP_vector_typeIfLj2EEffffjfiS5_IjLj3EEiiiiiiiiiiiliiliiiiil.kd
    .uniform_work_group_size: 1
    .uses_dynamic_stack: false
    .vgpr_count:     88
    .vgpr_spill_count: 0
    .wavefront_size: 32
  - .args:
      - .address_space:  global
        .offset:         0
        .size:           8
        .value_kind:     global_buffer
      - .address_space:  global
        .offset:         8
        .size:           8
        .value_kind:     global_buffer
      - .offset:         16
        .size:           4
        .value_kind:     by_value
      - .offset:         20
        .size:           4
        .value_kind:     by_value
      - .offset:         24
        .size:           4
        .value_kind:     by_value
      - .offset:         28
        .size:           4
        .value_kind:     by_value
      - .offset:         32
        .size:           4
        .value_kind:     by_value
      - .offset:         36
        .size:           4
        .value_kind:     by_value
      - .offset:         40
        .size:           12
        .value_kind:     by_value
      - .offset:         52
        .size:           12
        .value_kind:     by_value
      - .offset:         64
        .size:           12
        .value_kind:     by_value
    .group_segment_fixed_size: 0
    .kernarg_segment_align: 8
    .kernarg_segment_size: 76
    .language:       OpenCL C
    .language_version:
      - 2
      - 0
    .max_flat_workgroup_size: 96
    .name:           _ZL33flash_attn_stream_k_fixup_uniformILi96ELi4ELi2EEvPfPK15HIP_vector_typeIfLj2EEiiiiiiS1_IjLj3EES5_S5_
    .private_segment_fixed_size: 0
    .sgpr_count:     23
    .sgpr_spill_count: 0
    .symbol:         _ZL33flash_attn_stream_k_fixup_uniformILi96ELi4ELi2EEvPfPK15HIP_vector_typeIfLj2EEiiiiiiS1_IjLj3EES5_S5_.kd
    .uniform_work_group_size: 1
    .uses_dynamic_stack: false
    .vgpr_count:     12
    .vgpr_spill_count: 0
    .wavefront_size: 32
  - .args:
      - .address_space:  global
        .offset:         0
        .size:           8
        .value_kind:     global_buffer
      - .address_space:  global
        .offset:         8
        .size:           8
        .value_kind:     global_buffer
      - .offset:         16
        .size:           4
        .value_kind:     by_value
      - .offset:         20
        .size:           4
        .value_kind:     by_value
      - .offset:         24
        .size:           4
        .value_kind:     by_value
      - .offset:         28
        .size:           4
        .value_kind:     by_value
      - .offset:         32
        .size:           12
        .value_kind:     by_value
      - .offset:         44
        .size:           12
        .value_kind:     by_value
      - .offset:         56
        .size:           12
        .value_kind:     by_value
      - .offset:         68
        .size:           12
        .value_kind:     by_value
      - .offset:         80
        .size:           4
        .value_kind:     hidden_block_count_x
      - .offset:         84
        .size:           4
        .value_kind:     hidden_block_count_y
      - .offset:         88
        .size:           4
        .value_kind:     hidden_block_count_z
      - .offset:         92
        .size:           2
        .value_kind:     hidden_group_size_x
      - .offset:         94
        .size:           2
        .value_kind:     hidden_group_size_y
      - .offset:         96
        .size:           2
        .value_kind:     hidden_group_size_z
      - .offset:         98
        .size:           2
        .value_kind:     hidden_remainder_x
      - .offset:         100
        .size:           2
        .value_kind:     hidden_remainder_y
      - .offset:         102
        .size:           2
        .value_kind:     hidden_remainder_z
      - .offset:         120
        .size:           8
        .value_kind:     hidden_global_offset_x
      - .offset:         128
        .size:           8
        .value_kind:     hidden_global_offset_y
      - .offset:         136
        .size:           8
        .value_kind:     hidden_global_offset_z
      - .offset:         144
        .size:           2
        .value_kind:     hidden_grid_dims
    .group_segment_fixed_size: 0
    .kernarg_segment_align: 8
    .kernarg_segment_size: 336
    .language:       OpenCL C
    .language_version:
      - 2
      - 0
    .max_flat_workgroup_size: 96
    .name:           _ZL33flash_attn_stream_k_fixup_generalILi96ELi4ELi2EEvPfPK15HIP_vector_typeIfLj2EEiiiiS1_IjLj3EES5_S5_S5_
    .private_segment_fixed_size: 0
    .sgpr_count:     48
    .sgpr_spill_count: 0
    .symbol:         _ZL33flash_attn_stream_k_fixup_generalILi96ELi4ELi2EEvPfPK15HIP_vector_typeIfLj2EEiiiiS1_IjLj3EES5_S5_S5_.kd
    .uniform_work_group_size: 1
    .uses_dynamic_stack: false
    .vgpr_count:     12
    .vgpr_spill_count: 0
    .wavefront_size: 32
  - .args:
      - .address_space:  global
        .offset:         0
        .size:           8
        .value_kind:     global_buffer
      - .address_space:  global
        .offset:         8
        .size:           8
        .value_kind:     global_buffer
      - .address_space:  global
        .offset:         16
        .size:           8
        .value_kind:     global_buffer
      - .address_space:  global
        .offset:         24
        .size:           8
        .value_kind:     global_buffer
      - .address_space:  global
        .offset:         32
        .size:           8
        .value_kind:     global_buffer
      - .address_space:  global
        .offset:         40
        .size:           8
        .value_kind:     global_buffer
      - .address_space:  global
        .offset:         48
        .size:           8
        .value_kind:     global_buffer
      - .address_space:  global
        .offset:         56
        .size:           8
        .value_kind:     global_buffer
      - .offset:         64
        .size:           4
        .value_kind:     by_value
      - .offset:         68
        .size:           4
        .value_kind:     by_value
      - .offset:         72
        .size:           4
        .value_kind:     by_value
      - .offset:         76
        .size:           4
        .value_kind:     by_value
      - .offset:         80
        .size:           4
        .value_kind:     by_value
      - .offset:         84
        .size:           4
        .value_kind:     by_value
      - .offset:         88
        .size:           4
        .value_kind:     by_value
      - .offset:         92
        .size:           12
        .value_kind:     by_value
      - .offset:         104
        .size:           4
        .value_kind:     by_value
      - .offset:         108
        .size:           4
        .value_kind:     by_value
      - .offset:         112
        .size:           4
        .value_kind:     by_value
      - .offset:         116
        .size:           4
        .value_kind:     by_value
      - .offset:         120
        .size:           4
        .value_kind:     by_value
      - .offset:         124
        .size:           4
        .value_kind:     by_value
      - .offset:         128
        .size:           4
        .value_kind:     by_value
      - .offset:         132
        .size:           4
        .value_kind:     by_value
      - .offset:         136
        .size:           4
        .value_kind:     by_value
      - .offset:         140
        .size:           4
        .value_kind:     by_value
      - .offset:         144
        .size:           4
        .value_kind:     by_value
      - .offset:         152
        .size:           8
        .value_kind:     by_value
      - .offset:         160
        .size:           4
        .value_kind:     by_value
      - .offset:         164
        .size:           4
        .value_kind:     by_value
      - .offset:         168
        .size:           8
        .value_kind:     by_value
      - .offset:         176
        .size:           4
        .value_kind:     by_value
      - .offset:         180
        .size:           4
        .value_kind:     by_value
      - .offset:         184
        .size:           4
        .value_kind:     by_value
      - .offset:         188
        .size:           4
        .value_kind:     by_value
      - .offset:         192
        .size:           4
        .value_kind:     by_value
      - .offset:         200
        .size:           8
        .value_kind:     by_value
      - .offset:         208
        .size:           4
        .value_kind:     hidden_block_count_x
      - .offset:         212
        .size:           4
        .value_kind:     hidden_block_count_y
      - .offset:         216
        .size:           4
        .value_kind:     hidden_block_count_z
      - .offset:         220
        .size:           2
        .value_kind:     hidden_group_size_x
      - .offset:         222
        .size:           2
        .value_kind:     hidden_group_size_y
      - .offset:         224
        .size:           2
        .value_kind:     hidden_group_size_z
      - .offset:         226
        .size:           2
        .value_kind:     hidden_remainder_x
      - .offset:         228
        .size:           2
        .value_kind:     hidden_remainder_y
      - .offset:         230
        .size:           2
        .value_kind:     hidden_remainder_z
      - .offset:         248
        .size:           8
        .value_kind:     hidden_global_offset_x
      - .offset:         256
        .size:           8
        .value_kind:     hidden_global_offset_y
      - .offset:         264
        .size:           8
        .value_kind:     hidden_global_offset_z
      - .offset:         272
        .size:           2
        .value_kind:     hidden_grid_dims
    .group_segment_fixed_size: 4736
    .kernarg_segment_align: 8
    .kernarg_segment_size: 464
    .language:       OpenCL C
    .language_version:
      - 2
      - 0
    .max_flat_workgroup_size: 128
    .name:           _ZL15flash_attn_tileILi96ELi96ELi2ELi2ELb0EEvPKcS1_S1_S1_S1_PKiPfP15HIP_vector_typeIfLj2EEffffjfiS5_IjLj3EEiiiiiiiiiiiliiliiiiil
    .private_segment_fixed_size: 0
    .sgpr_count:     48
    .sgpr_spill_count: 0
    .symbol:         _ZL15flash_attn_tileILi96ELi96ELi2ELi2ELb0EEvPKcS1_S1_S1_S1_PKiPfP15HIP_vector_typeIfLj2EEffffjfiS5_IjLj3EEiiiiiiiiiiiliiliiiiil.kd
    .uniform_work_group_size: 1
    .uses_dynamic_stack: false
    .vgpr_count:     89
    .vgpr_spill_count: 0
    .wavefront_size: 32
  - .args:
      - .address_space:  global
        .offset:         0
        .size:           8
        .value_kind:     global_buffer
      - .address_space:  global
        .offset:         8
        .size:           8
        .value_kind:     global_buffer
      - .offset:         16
        .size:           4
        .value_kind:     by_value
      - .offset:         20
        .size:           4
        .value_kind:     by_value
      - .offset:         24
        .size:           4
        .value_kind:     by_value
      - .offset:         28
        .size:           4
        .value_kind:     by_value
      - .offset:         32
        .size:           4
        .value_kind:     by_value
      - .offset:         36
        .size:           4
        .value_kind:     by_value
      - .offset:         40
        .size:           12
        .value_kind:     by_value
      - .offset:         52
        .size:           12
        .value_kind:     by_value
      - .offset:         64
        .size:           12
        .value_kind:     by_value
    .group_segment_fixed_size: 0
    .kernarg_segment_align: 8
    .kernarg_segment_size: 76
    .language:       OpenCL C
    .language_version:
      - 2
      - 0
    .max_flat_workgroup_size: 96
    .name:           _ZL33flash_attn_stream_k_fixup_uniformILi96ELi2ELi2EEvPfPK15HIP_vector_typeIfLj2EEiiiiiiS1_IjLj3EES5_S5_
    .private_segment_fixed_size: 0
    .sgpr_count:     23
    .sgpr_spill_count: 0
    .symbol:         _ZL33flash_attn_stream_k_fixup_uniformILi96ELi2ELi2EEvPfPK15HIP_vector_typeIfLj2EEiiiiiiS1_IjLj3EES5_S5_.kd
    .uniform_work_group_size: 1
    .uses_dynamic_stack: false
    .vgpr_count:     12
    .vgpr_spill_count: 0
    .wavefront_size: 32
  - .args:
      - .address_space:  global
        .offset:         0
        .size:           8
        .value_kind:     global_buffer
      - .address_space:  global
        .offset:         8
        .size:           8
        .value_kind:     global_buffer
      - .offset:         16
        .size:           4
        .value_kind:     by_value
      - .offset:         20
        .size:           4
        .value_kind:     by_value
      - .offset:         24
        .size:           4
        .value_kind:     by_value
      - .offset:         28
        .size:           4
        .value_kind:     by_value
      - .offset:         32
        .size:           12
        .value_kind:     by_value
      - .offset:         44
        .size:           12
        .value_kind:     by_value
      - .offset:         56
        .size:           12
        .value_kind:     by_value
      - .offset:         68
        .size:           12
        .value_kind:     by_value
      - .offset:         80
        .size:           4
        .value_kind:     hidden_block_count_x
      - .offset:         84
        .size:           4
        .value_kind:     hidden_block_count_y
      - .offset:         88
        .size:           4
        .value_kind:     hidden_block_count_z
      - .offset:         92
        .size:           2
        .value_kind:     hidden_group_size_x
      - .offset:         94
        .size:           2
        .value_kind:     hidden_group_size_y
      - .offset:         96
        .size:           2
        .value_kind:     hidden_group_size_z
      - .offset:         98
        .size:           2
        .value_kind:     hidden_remainder_x
      - .offset:         100
        .size:           2
        .value_kind:     hidden_remainder_y
      - .offset:         102
        .size:           2
        .value_kind:     hidden_remainder_z
      - .offset:         120
        .size:           8
        .value_kind:     hidden_global_offset_x
      - .offset:         128
        .size:           8
        .value_kind:     hidden_global_offset_y
      - .offset:         136
        .size:           8
        .value_kind:     hidden_global_offset_z
      - .offset:         144
        .size:           2
        .value_kind:     hidden_grid_dims
    .group_segment_fixed_size: 0
    .kernarg_segment_align: 8
    .kernarg_segment_size: 336
    .language:       OpenCL C
    .language_version:
      - 2
      - 0
    .max_flat_workgroup_size: 96
    .name:           _ZL33flash_attn_stream_k_fixup_generalILi96ELi2ELi2EEvPfPK15HIP_vector_typeIfLj2EEiiiiS1_IjLj3EES5_S5_S5_
    .private_segment_fixed_size: 0
    .sgpr_count:     48
    .sgpr_spill_count: 0
    .symbol:         _ZL33flash_attn_stream_k_fixup_generalILi96ELi2ELi2EEvPfPK15HIP_vector_typeIfLj2EEiiiiS1_IjLj3EES5_S5_S5_.kd
    .uniform_work_group_size: 1
    .uses_dynamic_stack: false
    .vgpr_count:     12
    .vgpr_spill_count: 0
    .wavefront_size: 32
  - .args:
      - .address_space:  global
        .offset:         0
        .size:           8
        .value_kind:     global_buffer
      - .address_space:  global
        .offset:         8
        .size:           8
        .value_kind:     global_buffer
      - .address_space:  global
        .offset:         16
        .size:           8
        .value_kind:     global_buffer
      - .address_space:  global
        .offset:         24
        .size:           8
        .value_kind:     global_buffer
      - .address_space:  global
        .offset:         32
        .size:           8
        .value_kind:     global_buffer
      - .address_space:  global
        .offset:         40
        .size:           8
        .value_kind:     global_buffer
      - .address_space:  global
        .offset:         48
        .size:           8
        .value_kind:     global_buffer
      - .address_space:  global
        .offset:         56
        .size:           8
        .value_kind:     global_buffer
      - .offset:         64
        .size:           4
        .value_kind:     by_value
      - .offset:         68
        .size:           4
        .value_kind:     by_value
      - .offset:         72
        .size:           4
        .value_kind:     by_value
      - .offset:         76
        .size:           4
        .value_kind:     by_value
      - .offset:         80
        .size:           4
        .value_kind:     by_value
      - .offset:         84
        .size:           4
        .value_kind:     by_value
      - .offset:         88
        .size:           4
        .value_kind:     by_value
      - .offset:         92
        .size:           12
        .value_kind:     by_value
      - .offset:         104
        .size:           4
        .value_kind:     by_value
      - .offset:         108
        .size:           4
        .value_kind:     by_value
      - .offset:         112
        .size:           4
        .value_kind:     by_value
      - .offset:         116
        .size:           4
        .value_kind:     by_value
      - .offset:         120
        .size:           4
        .value_kind:     by_value
      - .offset:         124
        .size:           4
        .value_kind:     by_value
      - .offset:         128
        .size:           4
        .value_kind:     by_value
      - .offset:         132
        .size:           4
        .value_kind:     by_value
      - .offset:         136
        .size:           4
        .value_kind:     by_value
      - .offset:         140
        .size:           4
        .value_kind:     by_value
      - .offset:         144
        .size:           4
        .value_kind:     by_value
      - .offset:         152
        .size:           8
        .value_kind:     by_value
      - .offset:         160
        .size:           4
        .value_kind:     by_value
      - .offset:         164
        .size:           4
        .value_kind:     by_value
      - .offset:         168
        .size:           8
        .value_kind:     by_value
      - .offset:         176
        .size:           4
        .value_kind:     by_value
      - .offset:         180
        .size:           4
        .value_kind:     by_value
      - .offset:         184
        .size:           4
        .value_kind:     by_value
      - .offset:         188
        .size:           4
        .value_kind:     by_value
      - .offset:         192
        .size:           4
        .value_kind:     by_value
      - .offset:         200
        .size:           8
        .value_kind:     by_value
      - .offset:         208
        .size:           4
        .value_kind:     hidden_block_count_x
      - .offset:         212
        .size:           4
        .value_kind:     hidden_block_count_y
      - .offset:         216
        .size:           4
        .value_kind:     hidden_block_count_z
      - .offset:         220
        .size:           2
        .value_kind:     hidden_group_size_x
      - .offset:         222
        .size:           2
        .value_kind:     hidden_group_size_y
      - .offset:         224
        .size:           2
        .value_kind:     hidden_group_size_z
      - .offset:         226
        .size:           2
        .value_kind:     hidden_remainder_x
      - .offset:         228
        .size:           2
        .value_kind:     hidden_remainder_y
      - .offset:         230
        .size:           2
        .value_kind:     hidden_remainder_z
      - .offset:         248
        .size:           8
        .value_kind:     hidden_global_offset_x
      - .offset:         256
        .size:           8
        .value_kind:     hidden_global_offset_y
      - .offset:         264
        .size:           8
        .value_kind:     hidden_global_offset_z
      - .offset:         272
        .size:           2
        .value_kind:     hidden_grid_dims
    .group_segment_fixed_size: 4224
    .kernarg_segment_align: 8
    .kernarg_segment_size: 464
    .language:       OpenCL C
    .language_version:
      - 2
      - 0
    .max_flat_workgroup_size: 64
    .name:           _ZL15flash_attn_tileILi96ELi96ELi1ELi2ELb0EEvPKcS1_S1_S1_S1_PKiPfP15HIP_vector_typeIfLj2EEffffjfiS5_IjLj3EEiiiiiiiiiiiliiliiiiil
    .private_segment_fixed_size: 0
    .sgpr_count:     48
    .sgpr_spill_count: 0
    .symbol:         _ZL15flash_attn_tileILi96ELi96ELi1ELi2ELb0EEvPKcS1_S1_S1_S1_PKiPfP15HIP_vector_typeIfLj2EEffffjfiS5_IjLj3EEiiiiiiiiiiiliiliiiiil.kd
    .uniform_work_group_size: 1
    .uses_dynamic_stack: false
    .vgpr_count:     69
    .vgpr_spill_count: 0
    .wavefront_size: 32
  - .args:
      - .address_space:  global
        .offset:         0
        .size:           8
        .value_kind:     global_buffer
      - .address_space:  global
        .offset:         8
        .size:           8
        .value_kind:     global_buffer
      - .offset:         16
        .size:           4
        .value_kind:     by_value
      - .offset:         20
        .size:           4
        .value_kind:     by_value
      - .offset:         24
        .size:           4
        .value_kind:     by_value
      - .offset:         28
        .size:           4
        .value_kind:     by_value
      - .offset:         32
        .size:           4
        .value_kind:     by_value
      - .offset:         36
        .size:           4
        .value_kind:     by_value
      - .offset:         40
        .size:           12
        .value_kind:     by_value
      - .offset:         52
        .size:           12
        .value_kind:     by_value
      - .offset:         64
        .size:           12
        .value_kind:     by_value
    .group_segment_fixed_size: 0
    .kernarg_segment_align: 8
    .kernarg_segment_size: 76
    .language:       OpenCL C
    .language_version:
      - 2
      - 0
    .max_flat_workgroup_size: 96
    .name:           _ZL33flash_attn_stream_k_fixup_uniformILi96ELi1ELi2EEvPfPK15HIP_vector_typeIfLj2EEiiiiiiS1_IjLj3EES5_S5_
    .private_segment_fixed_size: 0
    .sgpr_count:     23
    .sgpr_spill_count: 0
    .symbol:         _ZL33flash_attn_stream_k_fixup_uniformILi96ELi1ELi2EEvPfPK15HIP_vector_typeIfLj2EEiiiiiiS1_IjLj3EES5_S5_.kd
    .uniform_work_group_size: 1
    .uses_dynamic_stack: false
    .vgpr_count:     12
    .vgpr_spill_count: 0
    .wavefront_size: 32
  - .args:
      - .address_space:  global
        .offset:         0
        .size:           8
        .value_kind:     global_buffer
      - .address_space:  global
        .offset:         8
        .size:           8
        .value_kind:     global_buffer
      - .offset:         16
        .size:           4
        .value_kind:     by_value
      - .offset:         20
        .size:           4
        .value_kind:     by_value
      - .offset:         24
        .size:           4
        .value_kind:     by_value
      - .offset:         28
        .size:           4
        .value_kind:     by_value
      - .offset:         32
        .size:           12
        .value_kind:     by_value
      - .offset:         44
        .size:           12
        .value_kind:     by_value
      - .offset:         56
        .size:           12
        .value_kind:     by_value
      - .offset:         68
        .size:           12
        .value_kind:     by_value
      - .offset:         80
        .size:           4
        .value_kind:     hidden_block_count_x
      - .offset:         84
        .size:           4
        .value_kind:     hidden_block_count_y
      - .offset:         88
        .size:           4
        .value_kind:     hidden_block_count_z
      - .offset:         92
        .size:           2
        .value_kind:     hidden_group_size_x
      - .offset:         94
        .size:           2
        .value_kind:     hidden_group_size_y
      - .offset:         96
        .size:           2
        .value_kind:     hidden_group_size_z
      - .offset:         98
        .size:           2
        .value_kind:     hidden_remainder_x
      - .offset:         100
        .size:           2
        .value_kind:     hidden_remainder_y
      - .offset:         102
        .size:           2
        .value_kind:     hidden_remainder_z
      - .offset:         120
        .size:           8
        .value_kind:     hidden_global_offset_x
      - .offset:         128
        .size:           8
        .value_kind:     hidden_global_offset_y
      - .offset:         136
        .size:           8
        .value_kind:     hidden_global_offset_z
      - .offset:         144
        .size:           2
        .value_kind:     hidden_grid_dims
    .group_segment_fixed_size: 0
    .kernarg_segment_align: 8
    .kernarg_segment_size: 336
    .language:       OpenCL C
    .language_version:
      - 2
      - 0
    .max_flat_workgroup_size: 96
    .name:           _ZL33flash_attn_stream_k_fixup_generalILi96ELi1ELi2EEvPfPK15HIP_vector_typeIfLj2EEiiiiS1_IjLj3EES5_S5_S5_
    .private_segment_fixed_size: 0
    .sgpr_count:     48
    .sgpr_spill_count: 0
    .symbol:         _ZL33flash_attn_stream_k_fixup_generalILi96ELi1ELi2EEvPfPK15HIP_vector_typeIfLj2EEiiiiS1_IjLj3EES5_S5_S5_.kd
    .uniform_work_group_size: 1
    .uses_dynamic_stack: false
    .vgpr_count:     12
    .vgpr_spill_count: 0
    .wavefront_size: 32
  - .args:
      - .address_space:  global
        .offset:         0
        .size:           8
        .value_kind:     global_buffer
      - .address_space:  global
        .offset:         8
        .size:           8
        .value_kind:     global_buffer
      - .address_space:  global
        .offset:         16
        .size:           8
        .value_kind:     global_buffer
      - .address_space:  global
        .offset:         24
        .size:           8
        .value_kind:     global_buffer
      - .address_space:  global
        .offset:         32
        .size:           8
        .value_kind:     global_buffer
      - .address_space:  global
        .offset:         40
        .size:           8
        .value_kind:     global_buffer
      - .address_space:  global
        .offset:         48
        .size:           8
        .value_kind:     global_buffer
      - .address_space:  global
        .offset:         56
        .size:           8
        .value_kind:     global_buffer
      - .offset:         64
        .size:           4
        .value_kind:     by_value
      - .offset:         68
        .size:           4
        .value_kind:     by_value
      - .offset:         72
        .size:           4
        .value_kind:     by_value
      - .offset:         76
        .size:           4
        .value_kind:     by_value
      - .offset:         80
        .size:           4
        .value_kind:     by_value
      - .offset:         84
        .size:           4
        .value_kind:     by_value
      - .offset:         88
        .size:           4
        .value_kind:     by_value
      - .offset:         92
        .size:           12
        .value_kind:     by_value
      - .offset:         104
        .size:           4
        .value_kind:     by_value
      - .offset:         108
        .size:           4
        .value_kind:     by_value
      - .offset:         112
        .size:           4
        .value_kind:     by_value
      - .offset:         116
        .size:           4
        .value_kind:     by_value
      - .offset:         120
        .size:           4
        .value_kind:     by_value
      - .offset:         124
        .size:           4
        .value_kind:     by_value
      - .offset:         128
        .size:           4
        .value_kind:     by_value
      - .offset:         132
        .size:           4
        .value_kind:     by_value
      - .offset:         136
        .size:           4
        .value_kind:     by_value
      - .offset:         140
        .size:           4
        .value_kind:     by_value
      - .offset:         144
        .size:           4
        .value_kind:     by_value
      - .offset:         152
        .size:           8
        .value_kind:     by_value
      - .offset:         160
        .size:           4
        .value_kind:     by_value
      - .offset:         164
        .size:           4
        .value_kind:     by_value
      - .offset:         168
        .size:           8
        .value_kind:     by_value
      - .offset:         176
        .size:           4
        .value_kind:     by_value
      - .offset:         180
        .size:           4
        .value_kind:     by_value
      - .offset:         184
        .size:           4
        .value_kind:     by_value
      - .offset:         188
        .size:           4
        .value_kind:     by_value
      - .offset:         192
        .size:           4
        .value_kind:     by_value
      - .offset:         200
        .size:           8
        .value_kind:     by_value
      - .offset:         208
        .size:           4
        .value_kind:     hidden_block_count_x
      - .offset:         212
        .size:           4
        .value_kind:     hidden_block_count_y
      - .offset:         216
        .size:           4
        .value_kind:     hidden_block_count_z
      - .offset:         220
        .size:           2
        .value_kind:     hidden_group_size_x
      - .offset:         222
        .size:           2
        .value_kind:     hidden_group_size_y
      - .offset:         224
        .size:           2
        .value_kind:     hidden_group_size_z
      - .offset:         226
        .size:           2
        .value_kind:     hidden_remainder_x
      - .offset:         228
        .size:           2
        .value_kind:     hidden_remainder_y
      - .offset:         230
        .size:           2
        .value_kind:     hidden_remainder_z
      - .offset:         248
        .size:           8
        .value_kind:     hidden_global_offset_x
      - .offset:         256
        .size:           8
        .value_kind:     hidden_global_offset_y
      - .offset:         264
        .size:           8
        .value_kind:     hidden_global_offset_z
      - .offset:         272
        .size:           2
        .value_kind:     hidden_grid_dims
    .group_segment_fixed_size: 20096
    .kernarg_segment_align: 8
    .kernarg_segment_size: 464
    .language:       OpenCL C
    .language_version:
      - 2
      - 0
    .max_flat_workgroup_size: 256
    .name:           _ZL15flash_attn_tileILi96ELi96ELi64ELi1ELb0EEvPKcS1_S1_S1_S1_PKiPfP15HIP_vector_typeIfLj2EEffffjfiS5_IjLj3EEiiiiiiiiiiiliiliiiiil
    .private_segment_fixed_size: 32
    .sgpr_count:     60
    .sgpr_spill_count: 0
    .symbol:         _ZL15flash_attn_tileILi96ELi96ELi64ELi1ELb0EEvPKcS1_S1_S1_S1_PKiPfP15HIP_vector_typeIfLj2EEffffjfiS5_IjLj3EEiiiiiiiiiiiliiliiiiil.kd
    .uniform_work_group_size: 1
    .uses_dynamic_stack: false
    .vgpr_count:     314
    .vgpr_spill_count: 0
    .wavefront_size: 32
  - .args:
      - .actual_access:  read_only
        .address_space:  global
        .offset:         0
        .size:           8
        .value_kind:     global_buffer
      - .actual_access:  write_only
        .address_space:  global
        .offset:         8
        .size:           8
        .value_kind:     global_buffer
      - .offset:         16
        .size:           4
        .value_kind:     by_value
      - .offset:         20
        .size:           4
        .value_kind:     by_value
      - .offset:         24
        .size:           4
        .value_kind:     by_value
      - .offset:         32
        .size:           4
        .value_kind:     hidden_block_count_x
      - .offset:         36
        .size:           4
        .value_kind:     hidden_block_count_y
      - .offset:         40
        .size:           4
        .value_kind:     hidden_block_count_z
      - .offset:         44
        .size:           2
        .value_kind:     hidden_group_size_x
      - .offset:         46
        .size:           2
        .value_kind:     hidden_group_size_y
      - .offset:         48
        .size:           2
        .value_kind:     hidden_group_size_z
      - .offset:         50
        .size:           2
        .value_kind:     hidden_remainder_x
      - .offset:         52
        .size:           2
        .value_kind:     hidden_remainder_y
      - .offset:         54
        .size:           2
        .value_kind:     hidden_remainder_z
      - .offset:         72
        .size:           8
        .value_kind:     hidden_global_offset_x
      - .offset:         80
        .size:           8
        .value_kind:     hidden_global_offset_y
      - .offset:         88
        .size:           8
        .value_kind:     hidden_global_offset_z
      - .offset:         96
        .size:           2
        .value_kind:     hidden_grid_dims
    .group_segment_fixed_size: 128
    .kernarg_segment_align: 8
    .kernarg_segment_size: 288
    .language:       OpenCL C
    .language_version:
      - 2
      - 0
    .max_flat_workgroup_size: 128
    .name:           _ZL25flash_attn_mask_to_KV_maxILi64EEvPK7__half2Piiii
    .private_segment_fixed_size: 0
    .sgpr_count:     107
    .sgpr_spill_count: 33
    .symbol:         _ZL25flash_attn_mask_to_KV_maxILi64EEvPK7__half2Piiii.kd
    .uniform_work_group_size: 1
    .uses_dynamic_stack: false
    .vgpr_count:     8
    .vgpr_spill_count: 0
    .wavefront_size: 32
  - .args:
      - .address_space:  global
        .offset:         0
        .size:           8
        .value_kind:     global_buffer
      - .address_space:  global
        .offset:         8
        .size:           8
        .value_kind:     global_buffer
      - .offset:         16
        .size:           4
        .value_kind:     by_value
      - .offset:         20
        .size:           4
        .value_kind:     by_value
      - .offset:         24
        .size:           4
        .value_kind:     by_value
      - .offset:         28
        .size:           4
        .value_kind:     by_value
      - .offset:         32
        .size:           4
        .value_kind:     by_value
      - .offset:         36
        .size:           4
        .value_kind:     by_value
      - .offset:         40
        .size:           12
        .value_kind:     by_value
      - .offset:         52
        .size:           12
        .value_kind:     by_value
      - .offset:         64
        .size:           12
        .value_kind:     by_value
    .group_segment_fixed_size: 0
    .kernarg_segment_align: 8
    .kernarg_segment_size: 76
    .language:       OpenCL C
    .language_version:
      - 2
      - 0
    .max_flat_workgroup_size: 96
    .name:           _ZL33flash_attn_stream_k_fixup_uniformILi96ELi64ELi1EEvPfPK15HIP_vector_typeIfLj2EEiiiiiiS1_IjLj3EES5_S5_
    .private_segment_fixed_size: 0
    .sgpr_count:     23
    .sgpr_spill_count: 0
    .symbol:         _ZL33flash_attn_stream_k_fixup_uniformILi96ELi64ELi1EEvPfPK15HIP_vector_typeIfLj2EEiiiiiiS1_IjLj3EES5_S5_.kd
    .uniform_work_group_size: 1
    .uses_dynamic_stack: false
    .vgpr_count:     12
    .vgpr_spill_count: 0
    .wavefront_size: 32
  - .args:
      - .address_space:  global
        .offset:         0
        .size:           8
        .value_kind:     global_buffer
      - .address_space:  global
        .offset:         8
        .size:           8
        .value_kind:     global_buffer
      - .offset:         16
        .size:           4
        .value_kind:     by_value
      - .offset:         20
        .size:           4
        .value_kind:     by_value
      - .offset:         24
        .size:           4
        .value_kind:     by_value
      - .offset:         28
        .size:           4
        .value_kind:     by_value
      - .offset:         32
        .size:           12
        .value_kind:     by_value
      - .offset:         44
        .size:           12
        .value_kind:     by_value
      - .offset:         56
        .size:           12
        .value_kind:     by_value
      - .offset:         68
        .size:           12
        .value_kind:     by_value
      - .offset:         80
        .size:           4
        .value_kind:     hidden_block_count_x
      - .offset:         84
        .size:           4
        .value_kind:     hidden_block_count_y
      - .offset:         88
        .size:           4
        .value_kind:     hidden_block_count_z
      - .offset:         92
        .size:           2
        .value_kind:     hidden_group_size_x
      - .offset:         94
        .size:           2
        .value_kind:     hidden_group_size_y
      - .offset:         96
        .size:           2
        .value_kind:     hidden_group_size_z
      - .offset:         98
        .size:           2
        .value_kind:     hidden_remainder_x
      - .offset:         100
        .size:           2
        .value_kind:     hidden_remainder_y
      - .offset:         102
        .size:           2
        .value_kind:     hidden_remainder_z
      - .offset:         120
        .size:           8
        .value_kind:     hidden_global_offset_x
      - .offset:         128
        .size:           8
        .value_kind:     hidden_global_offset_y
      - .offset:         136
        .size:           8
        .value_kind:     hidden_global_offset_z
      - .offset:         144
        .size:           2
        .value_kind:     hidden_grid_dims
    .group_segment_fixed_size: 0
    .kernarg_segment_align: 8
    .kernarg_segment_size: 336
    .language:       OpenCL C
    .language_version:
      - 2
      - 0
    .max_flat_workgroup_size: 96
    .name:           _ZL33flash_attn_stream_k_fixup_generalILi96ELi64ELi1EEvPfPK15HIP_vector_typeIfLj2EEiiiiS1_IjLj3EES5_S5_S5_
    .private_segment_fixed_size: 0
    .sgpr_count:     48
    .sgpr_spill_count: 0
    .symbol:         _ZL33flash_attn_stream_k_fixup_generalILi96ELi64ELi1EEvPfPK15HIP_vector_typeIfLj2EEiiiiS1_IjLj3EES5_S5_S5_.kd
    .uniform_work_group_size: 1
    .uses_dynamic_stack: false
    .vgpr_count:     12
    .vgpr_spill_count: 0
    .wavefront_size: 32
  - .args:
      - .address_space:  global
        .offset:         0
        .size:           8
        .value_kind:     global_buffer
      - .address_space:  global
        .offset:         8
        .size:           8
        .value_kind:     global_buffer
      - .address_space:  global
        .offset:         16
        .size:           8
        .value_kind:     global_buffer
      - .address_space:  global
        .offset:         24
        .size:           8
        .value_kind:     global_buffer
      - .address_space:  global
        .offset:         32
        .size:           8
        .value_kind:     global_buffer
      - .address_space:  global
        .offset:         40
        .size:           8
        .value_kind:     global_buffer
      - .address_space:  global
        .offset:         48
        .size:           8
        .value_kind:     global_buffer
      - .address_space:  global
        .offset:         56
        .size:           8
        .value_kind:     global_buffer
      - .offset:         64
        .size:           4
        .value_kind:     by_value
      - .offset:         68
        .size:           4
        .value_kind:     by_value
      - .offset:         72
        .size:           4
        .value_kind:     by_value
      - .offset:         76
        .size:           4
        .value_kind:     by_value
      - .offset:         80
        .size:           4
        .value_kind:     by_value
      - .offset:         84
        .size:           4
        .value_kind:     by_value
      - .offset:         88
        .size:           4
        .value_kind:     by_value
      - .offset:         92
        .size:           12
        .value_kind:     by_value
      - .offset:         104
        .size:           4
        .value_kind:     by_value
      - .offset:         108
        .size:           4
        .value_kind:     by_value
      - .offset:         112
        .size:           4
        .value_kind:     by_value
      - .offset:         116
        .size:           4
        .value_kind:     by_value
      - .offset:         120
        .size:           4
        .value_kind:     by_value
      - .offset:         124
        .size:           4
        .value_kind:     by_value
      - .offset:         128
        .size:           4
        .value_kind:     by_value
      - .offset:         132
        .size:           4
        .value_kind:     by_value
      - .offset:         136
        .size:           4
        .value_kind:     by_value
      - .offset:         140
        .size:           4
        .value_kind:     by_value
      - .offset:         144
        .size:           4
        .value_kind:     by_value
      - .offset:         152
        .size:           8
        .value_kind:     by_value
      - .offset:         160
        .size:           4
        .value_kind:     by_value
      - .offset:         164
        .size:           4
        .value_kind:     by_value
      - .offset:         168
        .size:           8
        .value_kind:     by_value
      - .offset:         176
        .size:           4
        .value_kind:     by_value
      - .offset:         180
        .size:           4
        .value_kind:     by_value
      - .offset:         184
        .size:           4
        .value_kind:     by_value
      - .offset:         188
        .size:           4
        .value_kind:     by_value
      - .offset:         192
        .size:           4
        .value_kind:     by_value
      - .offset:         200
        .size:           8
        .value_kind:     by_value
      - .offset:         208
        .size:           4
        .value_kind:     hidden_block_count_x
      - .offset:         212
        .size:           4
        .value_kind:     hidden_block_count_y
      - .offset:         216
        .size:           4
        .value_kind:     hidden_block_count_z
      - .offset:         220
        .size:           2
        .value_kind:     hidden_group_size_x
      - .offset:         222
        .size:           2
        .value_kind:     hidden_group_size_y
      - .offset:         224
        .size:           2
        .value_kind:     hidden_group_size_z
      - .offset:         226
        .size:           2
        .value_kind:     hidden_remainder_x
      - .offset:         228
        .size:           2
        .value_kind:     hidden_remainder_y
      - .offset:         230
        .size:           2
        .value_kind:     hidden_remainder_z
      - .offset:         248
        .size:           8
        .value_kind:     hidden_global_offset_x
      - .offset:         256
        .size:           8
        .value_kind:     hidden_global_offset_y
      - .offset:         264
        .size:           8
        .value_kind:     hidden_global_offset_z
      - .offset:         272
        .size:           2
        .value_kind:     hidden_grid_dims
    .group_segment_fixed_size: 11904
    .kernarg_segment_align: 8
    .kernarg_segment_size: 464
    .language:       OpenCL C
    .language_version:
      - 2
      - 0
    .max_flat_workgroup_size: 256
    .name:           _ZL15flash_attn_tileILi96ELi96ELi32ELi1ELb0EEvPKcS1_S1_S1_S1_PKiPfP15HIP_vector_typeIfLj2EEffffjfiS5_IjLj3EEiiiiiiiiiiiliiliiiiil
    .private_segment_fixed_size: 32
    .sgpr_count:     52
    .sgpr_spill_count: 0
    .symbol:         _ZL15flash_attn_tileILi96ELi96ELi32ELi1ELb0EEvPKcS1_S1_S1_S1_PKiPfP15HIP_vector_typeIfLj2EEffffjfiS5_IjLj3EEiiiiiiiiiiiliiliiiiil.kd
    .uniform_work_group_size: 1
    .uses_dynamic_stack: false
    .vgpr_count:     184
    .vgpr_spill_count: 0
    .wavefront_size: 32
  - .args:
      - .address_space:  global
        .offset:         0
        .size:           8
        .value_kind:     global_buffer
      - .address_space:  global
        .offset:         8
        .size:           8
        .value_kind:     global_buffer
      - .offset:         16
        .size:           4
        .value_kind:     by_value
      - .offset:         20
        .size:           4
        .value_kind:     by_value
      - .offset:         24
        .size:           4
        .value_kind:     by_value
      - .offset:         28
        .size:           4
        .value_kind:     by_value
      - .offset:         32
        .size:           4
        .value_kind:     by_value
      - .offset:         36
        .size:           4
        .value_kind:     by_value
      - .offset:         40
        .size:           12
        .value_kind:     by_value
      - .offset:         52
        .size:           12
        .value_kind:     by_value
      - .offset:         64
        .size:           12
        .value_kind:     by_value
    .group_segment_fixed_size: 0
    .kernarg_segment_align: 8
    .kernarg_segment_size: 76
    .language:       OpenCL C
    .language_version:
      - 2
      - 0
    .max_flat_workgroup_size: 96
    .name:           _ZL33flash_attn_stream_k_fixup_uniformILi96ELi32ELi1EEvPfPK15HIP_vector_typeIfLj2EEiiiiiiS1_IjLj3EES5_S5_
    .private_segment_fixed_size: 0
    .sgpr_count:     23
    .sgpr_spill_count: 0
    .symbol:         _ZL33flash_attn_stream_k_fixup_uniformILi96ELi32ELi1EEvPfPK15HIP_vector_typeIfLj2EEiiiiiiS1_IjLj3EES5_S5_.kd
    .uniform_work_group_size: 1
    .uses_dynamic_stack: false
    .vgpr_count:     12
    .vgpr_spill_count: 0
    .wavefront_size: 32
  - .args:
      - .address_space:  global
        .offset:         0
        .size:           8
        .value_kind:     global_buffer
      - .address_space:  global
        .offset:         8
        .size:           8
        .value_kind:     global_buffer
      - .offset:         16
        .size:           4
        .value_kind:     by_value
      - .offset:         20
        .size:           4
        .value_kind:     by_value
      - .offset:         24
        .size:           4
        .value_kind:     by_value
      - .offset:         28
        .size:           4
        .value_kind:     by_value
      - .offset:         32
        .size:           12
        .value_kind:     by_value
      - .offset:         44
        .size:           12
        .value_kind:     by_value
      - .offset:         56
        .size:           12
        .value_kind:     by_value
      - .offset:         68
        .size:           12
        .value_kind:     by_value
      - .offset:         80
        .size:           4
        .value_kind:     hidden_block_count_x
      - .offset:         84
        .size:           4
        .value_kind:     hidden_block_count_y
      - .offset:         88
        .size:           4
        .value_kind:     hidden_block_count_z
      - .offset:         92
        .size:           2
        .value_kind:     hidden_group_size_x
      - .offset:         94
        .size:           2
        .value_kind:     hidden_group_size_y
      - .offset:         96
        .size:           2
        .value_kind:     hidden_group_size_z
      - .offset:         98
        .size:           2
        .value_kind:     hidden_remainder_x
      - .offset:         100
        .size:           2
        .value_kind:     hidden_remainder_y
      - .offset:         102
        .size:           2
        .value_kind:     hidden_remainder_z
      - .offset:         120
        .size:           8
        .value_kind:     hidden_global_offset_x
      - .offset:         128
        .size:           8
        .value_kind:     hidden_global_offset_y
      - .offset:         136
        .size:           8
        .value_kind:     hidden_global_offset_z
      - .offset:         144
        .size:           2
        .value_kind:     hidden_grid_dims
    .group_segment_fixed_size: 0
    .kernarg_segment_align: 8
    .kernarg_segment_size: 336
    .language:       OpenCL C
    .language_version:
      - 2
      - 0
    .max_flat_workgroup_size: 96
    .name:           _ZL33flash_attn_stream_k_fixup_generalILi96ELi32ELi1EEvPfPK15HIP_vector_typeIfLj2EEiiiiS1_IjLj3EES5_S5_S5_
    .private_segment_fixed_size: 0
    .sgpr_count:     48
    .sgpr_spill_count: 0
    .symbol:         _ZL33flash_attn_stream_k_fixup_generalILi96ELi32ELi1EEvPfPK15HIP_vector_typeIfLj2EEiiiiS1_IjLj3EES5_S5_S5_.kd
    .uniform_work_group_size: 1
    .uses_dynamic_stack: false
    .vgpr_count:     12
    .vgpr_spill_count: 0
    .wavefront_size: 32
  - .args:
      - .address_space:  global
        .offset:         0
        .size:           8
        .value_kind:     global_buffer
      - .address_space:  global
        .offset:         8
        .size:           8
        .value_kind:     global_buffer
      - .address_space:  global
        .offset:         16
        .size:           8
        .value_kind:     global_buffer
      - .address_space:  global
        .offset:         24
        .size:           8
        .value_kind:     global_buffer
      - .address_space:  global
        .offset:         32
        .size:           8
        .value_kind:     global_buffer
      - .address_space:  global
        .offset:         40
        .size:           8
        .value_kind:     global_buffer
      - .address_space:  global
        .offset:         48
        .size:           8
        .value_kind:     global_buffer
      - .address_space:  global
        .offset:         56
        .size:           8
        .value_kind:     global_buffer
      - .offset:         64
        .size:           4
        .value_kind:     by_value
      - .offset:         68
        .size:           4
        .value_kind:     by_value
      - .offset:         72
        .size:           4
        .value_kind:     by_value
      - .offset:         76
        .size:           4
        .value_kind:     by_value
      - .offset:         80
        .size:           4
        .value_kind:     by_value
      - .offset:         84
        .size:           4
        .value_kind:     by_value
      - .offset:         88
        .size:           4
        .value_kind:     by_value
      - .offset:         92
        .size:           12
        .value_kind:     by_value
      - .offset:         104
        .size:           4
        .value_kind:     by_value
      - .offset:         108
        .size:           4
        .value_kind:     by_value
      - .offset:         112
        .size:           4
        .value_kind:     by_value
      - .offset:         116
        .size:           4
        .value_kind:     by_value
      - .offset:         120
        .size:           4
        .value_kind:     by_value
      - .offset:         124
        .size:           4
        .value_kind:     by_value
      - .offset:         128
        .size:           4
        .value_kind:     by_value
      - .offset:         132
        .size:           4
        .value_kind:     by_value
      - .offset:         136
        .size:           4
        .value_kind:     by_value
      - .offset:         140
        .size:           4
        .value_kind:     by_value
      - .offset:         144
        .size:           4
        .value_kind:     by_value
      - .offset:         152
        .size:           8
        .value_kind:     by_value
      - .offset:         160
        .size:           4
        .value_kind:     by_value
      - .offset:         164
        .size:           4
        .value_kind:     by_value
      - .offset:         168
        .size:           8
        .value_kind:     by_value
      - .offset:         176
        .size:           4
        .value_kind:     by_value
      - .offset:         180
        .size:           4
        .value_kind:     by_value
      - .offset:         184
        .size:           4
        .value_kind:     by_value
      - .offset:         188
        .size:           4
        .value_kind:     by_value
      - .offset:         192
        .size:           4
        .value_kind:     by_value
      - .offset:         200
        .size:           8
        .value_kind:     by_value
      - .offset:         208
        .size:           4
        .value_kind:     hidden_block_count_x
      - .offset:         212
        .size:           4
        .value_kind:     hidden_block_count_y
      - .offset:         216
        .size:           4
        .value_kind:     hidden_block_count_z
      - .offset:         220
        .size:           2
        .value_kind:     hidden_group_size_x
      - .offset:         222
        .size:           2
        .value_kind:     hidden_group_size_y
      - .offset:         224
        .size:           2
        .value_kind:     hidden_group_size_z
      - .offset:         226
        .size:           2
        .value_kind:     hidden_remainder_x
      - .offset:         228
        .size:           2
        .value_kind:     hidden_remainder_y
      - .offset:         230
        .size:           2
        .value_kind:     hidden_remainder_z
      - .offset:         248
        .size:           8
        .value_kind:     hidden_global_offset_x
      - .offset:         256
        .size:           8
        .value_kind:     hidden_global_offset_y
      - .offset:         264
        .size:           8
        .value_kind:     hidden_global_offset_z
      - .offset:         272
        .size:           2
        .value_kind:     hidden_grid_dims
    .group_segment_fixed_size: 7808
    .kernarg_segment_align: 8
    .kernarg_segment_size: 464
    .language:       OpenCL C
    .language_version:
      - 2
      - 0
    .max_flat_workgroup_size: 256
    .name:           _ZL15flash_attn_tileILi96ELi96ELi16ELi1ELb0EEvPKcS1_S1_S1_S1_PKiPfP15HIP_vector_typeIfLj2EEffffjfiS5_IjLj3EEiiiiiiiiiiiliiliiiiil
    .private_segment_fixed_size: 32
    .sgpr_count:     48
    .sgpr_spill_count: 0
    .symbol:         _ZL15flash_attn_tileILi96ELi96ELi16ELi1ELb0EEvPKcS1_S1_S1_S1_PKiPfP15HIP_vector_typeIfLj2EEffffjfiS5_IjLj3EEiiiiiiiiiiiliiliiiiil.kd
    .uniform_work_group_size: 1
    .uses_dynamic_stack: false
    .vgpr_count:     119
    .vgpr_spill_count: 0
    .wavefront_size: 32
  - .args:
      - .address_space:  global
        .offset:         0
        .size:           8
        .value_kind:     global_buffer
      - .address_space:  global
        .offset:         8
        .size:           8
        .value_kind:     global_buffer
      - .offset:         16
        .size:           4
        .value_kind:     by_value
      - .offset:         20
        .size:           4
        .value_kind:     by_value
      - .offset:         24
        .size:           4
        .value_kind:     by_value
      - .offset:         28
        .size:           4
        .value_kind:     by_value
      - .offset:         32
        .size:           4
        .value_kind:     by_value
      - .offset:         36
        .size:           4
        .value_kind:     by_value
      - .offset:         40
        .size:           12
        .value_kind:     by_value
      - .offset:         52
        .size:           12
        .value_kind:     by_value
      - .offset:         64
        .size:           12
        .value_kind:     by_value
    .group_segment_fixed_size: 0
    .kernarg_segment_align: 8
    .kernarg_segment_size: 76
    .language:       OpenCL C
    .language_version:
      - 2
      - 0
    .max_flat_workgroup_size: 96
    .name:           _ZL33flash_attn_stream_k_fixup_uniformILi96ELi16ELi1EEvPfPK15HIP_vector_typeIfLj2EEiiiiiiS1_IjLj3EES5_S5_
    .private_segment_fixed_size: 0
    .sgpr_count:     23
    .sgpr_spill_count: 0
    .symbol:         _ZL33flash_attn_stream_k_fixup_uniformILi96ELi16ELi1EEvPfPK15HIP_vector_typeIfLj2EEiiiiiiS1_IjLj3EES5_S5_.kd
    .uniform_work_group_size: 1
    .uses_dynamic_stack: false
    .vgpr_count:     12
    .vgpr_spill_count: 0
    .wavefront_size: 32
  - .args:
      - .address_space:  global
        .offset:         0
        .size:           8
        .value_kind:     global_buffer
      - .address_space:  global
        .offset:         8
        .size:           8
        .value_kind:     global_buffer
      - .offset:         16
        .size:           4
        .value_kind:     by_value
      - .offset:         20
        .size:           4
        .value_kind:     by_value
      - .offset:         24
        .size:           4
        .value_kind:     by_value
      - .offset:         28
        .size:           4
        .value_kind:     by_value
      - .offset:         32
        .size:           12
        .value_kind:     by_value
      - .offset:         44
        .size:           12
        .value_kind:     by_value
      - .offset:         56
        .size:           12
        .value_kind:     by_value
      - .offset:         68
        .size:           12
        .value_kind:     by_value
      - .offset:         80
        .size:           4
        .value_kind:     hidden_block_count_x
      - .offset:         84
        .size:           4
        .value_kind:     hidden_block_count_y
      - .offset:         88
        .size:           4
        .value_kind:     hidden_block_count_z
      - .offset:         92
        .size:           2
        .value_kind:     hidden_group_size_x
      - .offset:         94
        .size:           2
        .value_kind:     hidden_group_size_y
      - .offset:         96
        .size:           2
        .value_kind:     hidden_group_size_z
      - .offset:         98
        .size:           2
        .value_kind:     hidden_remainder_x
      - .offset:         100
        .size:           2
        .value_kind:     hidden_remainder_y
      - .offset:         102
        .size:           2
        .value_kind:     hidden_remainder_z
      - .offset:         120
        .size:           8
        .value_kind:     hidden_global_offset_x
      - .offset:         128
        .size:           8
        .value_kind:     hidden_global_offset_y
      - .offset:         136
        .size:           8
        .value_kind:     hidden_global_offset_z
      - .offset:         144
        .size:           2
        .value_kind:     hidden_grid_dims
    .group_segment_fixed_size: 0
    .kernarg_segment_align: 8
    .kernarg_segment_size: 336
    .language:       OpenCL C
    .language_version:
      - 2
      - 0
    .max_flat_workgroup_size: 96
    .name:           _ZL33flash_attn_stream_k_fixup_generalILi96ELi16ELi1EEvPfPK15HIP_vector_typeIfLj2EEiiiiS1_IjLj3EES5_S5_S5_
    .private_segment_fixed_size: 0
    .sgpr_count:     48
    .sgpr_spill_count: 0
    .symbol:         _ZL33flash_attn_stream_k_fixup_generalILi96ELi16ELi1EEvPfPK15HIP_vector_typeIfLj2EEiiiiS1_IjLj3EES5_S5_S5_.kd
    .uniform_work_group_size: 1
    .uses_dynamic_stack: false
    .vgpr_count:     12
    .vgpr_spill_count: 0
    .wavefront_size: 32
  - .args:
      - .address_space:  global
        .offset:         0
        .size:           8
        .value_kind:     global_buffer
      - .address_space:  global
        .offset:         8
        .size:           8
        .value_kind:     global_buffer
      - .address_space:  global
        .offset:         16
        .size:           8
        .value_kind:     global_buffer
      - .address_space:  global
        .offset:         24
        .size:           8
        .value_kind:     global_buffer
      - .address_space:  global
        .offset:         32
        .size:           8
        .value_kind:     global_buffer
      - .address_space:  global
        .offset:         40
        .size:           8
        .value_kind:     global_buffer
      - .address_space:  global
        .offset:         48
        .size:           8
        .value_kind:     global_buffer
      - .address_space:  global
        .offset:         56
        .size:           8
        .value_kind:     global_buffer
      - .offset:         64
        .size:           4
        .value_kind:     by_value
      - .offset:         68
        .size:           4
        .value_kind:     by_value
      - .offset:         72
        .size:           4
        .value_kind:     by_value
      - .offset:         76
        .size:           4
        .value_kind:     by_value
      - .offset:         80
        .size:           4
        .value_kind:     by_value
      - .offset:         84
        .size:           4
        .value_kind:     by_value
      - .offset:         88
        .size:           4
        .value_kind:     by_value
      - .offset:         92
        .size:           12
        .value_kind:     by_value
      - .offset:         104
        .size:           4
        .value_kind:     by_value
      - .offset:         108
        .size:           4
        .value_kind:     by_value
      - .offset:         112
        .size:           4
        .value_kind:     by_value
      - .offset:         116
        .size:           4
        .value_kind:     by_value
      - .offset:         120
        .size:           4
        .value_kind:     by_value
      - .offset:         124
        .size:           4
        .value_kind:     by_value
      - .offset:         128
        .size:           4
        .value_kind:     by_value
      - .offset:         132
        .size:           4
        .value_kind:     by_value
      - .offset:         136
        .size:           4
        .value_kind:     by_value
      - .offset:         140
        .size:           4
        .value_kind:     by_value
      - .offset:         144
        .size:           4
        .value_kind:     by_value
      - .offset:         152
        .size:           8
        .value_kind:     by_value
      - .offset:         160
        .size:           4
        .value_kind:     by_value
      - .offset:         164
        .size:           4
        .value_kind:     by_value
      - .offset:         168
        .size:           8
        .value_kind:     by_value
      - .offset:         176
        .size:           4
        .value_kind:     by_value
      - .offset:         180
        .size:           4
        .value_kind:     by_value
      - .offset:         184
        .size:           4
        .value_kind:     by_value
      - .offset:         188
        .size:           4
        .value_kind:     by_value
      - .offset:         192
        .size:           4
        .value_kind:     by_value
      - .offset:         200
        .size:           8
        .value_kind:     by_value
      - .offset:         208
        .size:           4
        .value_kind:     hidden_block_count_x
      - .offset:         212
        .size:           4
        .value_kind:     hidden_block_count_y
      - .offset:         216
        .size:           4
        .value_kind:     hidden_block_count_z
      - .offset:         220
        .size:           2
        .value_kind:     hidden_group_size_x
      - .offset:         222
        .size:           2
        .value_kind:     hidden_group_size_y
      - .offset:         224
        .size:           2
        .value_kind:     hidden_group_size_z
      - .offset:         226
        .size:           2
        .value_kind:     hidden_remainder_x
      - .offset:         228
        .size:           2
        .value_kind:     hidden_remainder_y
      - .offset:         230
        .size:           2
        .value_kind:     hidden_remainder_z
      - .offset:         248
        .size:           8
        .value_kind:     hidden_global_offset_x
      - .offset:         256
        .size:           8
        .value_kind:     hidden_global_offset_y
      - .offset:         264
        .size:           8
        .value_kind:     hidden_global_offset_z
      - .offset:         272
        .size:           2
        .value_kind:     hidden_grid_dims
    .group_segment_fixed_size: 5760
    .kernarg_segment_align: 8
    .kernarg_segment_size: 464
    .language:       OpenCL C
    .language_version:
      - 2
      - 0
    .max_flat_workgroup_size: 256
    .name:           _ZL15flash_attn_tileILi96ELi96ELi8ELi1ELb0EEvPKcS1_S1_S1_S1_PKiPfP15HIP_vector_typeIfLj2EEffffjfiS5_IjLj3EEiiiiiiiiiiiliiliiiiil
    .private_segment_fixed_size: 32
    .sgpr_count:     48
    .sgpr_spill_count: 0
    .symbol:         _ZL15flash_attn_tileILi96ELi96ELi8ELi1ELb0EEvPKcS1_S1_S1_S1_PKiPfP15HIP_vector_typeIfLj2EEffffjfiS5_IjLj3EEiiiiiiiiiiiliiliiiiil.kd
    .uniform_work_group_size: 1
    .uses_dynamic_stack: false
    .vgpr_count:     86
    .vgpr_spill_count: 0
    .wavefront_size: 32
  - .args:
      - .address_space:  global
        .offset:         0
        .size:           8
        .value_kind:     global_buffer
      - .address_space:  global
        .offset:         8
        .size:           8
        .value_kind:     global_buffer
      - .offset:         16
        .size:           4
        .value_kind:     by_value
      - .offset:         20
        .size:           4
        .value_kind:     by_value
      - .offset:         24
        .size:           4
        .value_kind:     by_value
      - .offset:         28
        .size:           4
        .value_kind:     by_value
      - .offset:         32
        .size:           4
        .value_kind:     by_value
      - .offset:         36
        .size:           4
        .value_kind:     by_value
      - .offset:         40
        .size:           12
        .value_kind:     by_value
      - .offset:         52
        .size:           12
        .value_kind:     by_value
      - .offset:         64
        .size:           12
        .value_kind:     by_value
    .group_segment_fixed_size: 0
    .kernarg_segment_align: 8
    .kernarg_segment_size: 76
    .language:       OpenCL C
    .language_version:
      - 2
      - 0
    .max_flat_workgroup_size: 96
    .name:           _ZL33flash_attn_stream_k_fixup_uniformILi96ELi8ELi1EEvPfPK15HIP_vector_typeIfLj2EEiiiiiiS1_IjLj3EES5_S5_
    .private_segment_fixed_size: 0
    .sgpr_count:     23
    .sgpr_spill_count: 0
    .symbol:         _ZL33flash_attn_stream_k_fixup_uniformILi96ELi8ELi1EEvPfPK15HIP_vector_typeIfLj2EEiiiiiiS1_IjLj3EES5_S5_.kd
    .uniform_work_group_size: 1
    .uses_dynamic_stack: false
    .vgpr_count:     12
    .vgpr_spill_count: 0
    .wavefront_size: 32
  - .args:
      - .address_space:  global
        .offset:         0
        .size:           8
        .value_kind:     global_buffer
      - .address_space:  global
        .offset:         8
        .size:           8
        .value_kind:     global_buffer
      - .offset:         16
        .size:           4
        .value_kind:     by_value
      - .offset:         20
        .size:           4
        .value_kind:     by_value
      - .offset:         24
        .size:           4
        .value_kind:     by_value
      - .offset:         28
        .size:           4
        .value_kind:     by_value
      - .offset:         32
        .size:           12
        .value_kind:     by_value
      - .offset:         44
        .size:           12
        .value_kind:     by_value
      - .offset:         56
        .size:           12
        .value_kind:     by_value
      - .offset:         68
        .size:           12
        .value_kind:     by_value
      - .offset:         80
        .size:           4
        .value_kind:     hidden_block_count_x
      - .offset:         84
        .size:           4
        .value_kind:     hidden_block_count_y
      - .offset:         88
        .size:           4
        .value_kind:     hidden_block_count_z
      - .offset:         92
        .size:           2
        .value_kind:     hidden_group_size_x
      - .offset:         94
        .size:           2
        .value_kind:     hidden_group_size_y
      - .offset:         96
        .size:           2
        .value_kind:     hidden_group_size_z
      - .offset:         98
        .size:           2
        .value_kind:     hidden_remainder_x
      - .offset:         100
        .size:           2
        .value_kind:     hidden_remainder_y
      - .offset:         102
        .size:           2
        .value_kind:     hidden_remainder_z
      - .offset:         120
        .size:           8
        .value_kind:     hidden_global_offset_x
      - .offset:         128
        .size:           8
        .value_kind:     hidden_global_offset_y
      - .offset:         136
        .size:           8
        .value_kind:     hidden_global_offset_z
      - .offset:         144
        .size:           2
        .value_kind:     hidden_grid_dims
    .group_segment_fixed_size: 0
    .kernarg_segment_align: 8
    .kernarg_segment_size: 336
    .language:       OpenCL C
    .language_version:
      - 2
      - 0
    .max_flat_workgroup_size: 96
    .name:           _ZL33flash_attn_stream_k_fixup_generalILi96ELi8ELi1EEvPfPK15HIP_vector_typeIfLj2EEiiiiS1_IjLj3EES5_S5_S5_
    .private_segment_fixed_size: 0
    .sgpr_count:     48
    .sgpr_spill_count: 0
    .symbol:         _ZL33flash_attn_stream_k_fixup_generalILi96ELi8ELi1EEvPfPK15HIP_vector_typeIfLj2EEiiiiS1_IjLj3EES5_S5_S5_.kd
    .uniform_work_group_size: 1
    .uses_dynamic_stack: false
    .vgpr_count:     12
    .vgpr_spill_count: 0
    .wavefront_size: 32
  - .args:
      - .address_space:  global
        .offset:         0
        .size:           8
        .value_kind:     global_buffer
      - .address_space:  global
        .offset:         8
        .size:           8
        .value_kind:     global_buffer
      - .address_space:  global
        .offset:         16
        .size:           8
        .value_kind:     global_buffer
      - .address_space:  global
        .offset:         24
        .size:           8
        .value_kind:     global_buffer
      - .address_space:  global
        .offset:         32
        .size:           8
        .value_kind:     global_buffer
      - .address_space:  global
        .offset:         40
        .size:           8
        .value_kind:     global_buffer
      - .address_space:  global
        .offset:         48
        .size:           8
        .value_kind:     global_buffer
      - .address_space:  global
        .offset:         56
        .size:           8
        .value_kind:     global_buffer
      - .offset:         64
        .size:           4
        .value_kind:     by_value
      - .offset:         68
        .size:           4
        .value_kind:     by_value
      - .offset:         72
        .size:           4
        .value_kind:     by_value
      - .offset:         76
        .size:           4
        .value_kind:     by_value
      - .offset:         80
        .size:           4
        .value_kind:     by_value
      - .offset:         84
        .size:           4
        .value_kind:     by_value
      - .offset:         88
        .size:           4
        .value_kind:     by_value
      - .offset:         92
        .size:           12
        .value_kind:     by_value
      - .offset:         104
        .size:           4
        .value_kind:     by_value
      - .offset:         108
        .size:           4
        .value_kind:     by_value
      - .offset:         112
        .size:           4
        .value_kind:     by_value
      - .offset:         116
        .size:           4
        .value_kind:     by_value
      - .offset:         120
        .size:           4
        .value_kind:     by_value
      - .offset:         124
        .size:           4
        .value_kind:     by_value
      - .offset:         128
        .size:           4
        .value_kind:     by_value
      - .offset:         132
        .size:           4
        .value_kind:     by_value
      - .offset:         136
        .size:           4
        .value_kind:     by_value
      - .offset:         140
        .size:           4
        .value_kind:     by_value
      - .offset:         144
        .size:           4
        .value_kind:     by_value
      - .offset:         152
        .size:           8
        .value_kind:     by_value
      - .offset:         160
        .size:           4
        .value_kind:     by_value
      - .offset:         164
        .size:           4
        .value_kind:     by_value
      - .offset:         168
        .size:           8
        .value_kind:     by_value
      - .offset:         176
        .size:           4
        .value_kind:     by_value
      - .offset:         180
        .size:           4
        .value_kind:     by_value
      - .offset:         184
        .size:           4
        .value_kind:     by_value
      - .offset:         188
        .size:           4
        .value_kind:     by_value
      - .offset:         192
        .size:           4
        .value_kind:     by_value
      - .offset:         200
        .size:           8
        .value_kind:     by_value
      - .offset:         208
        .size:           4
        .value_kind:     hidden_block_count_x
      - .offset:         212
        .size:           4
        .value_kind:     hidden_block_count_y
      - .offset:         216
        .size:           4
        .value_kind:     hidden_block_count_z
      - .offset:         220
        .size:           2
        .value_kind:     hidden_group_size_x
      - .offset:         222
        .size:           2
        .value_kind:     hidden_group_size_y
      - .offset:         224
        .size:           2
        .value_kind:     hidden_group_size_z
      - .offset:         226
        .size:           2
        .value_kind:     hidden_remainder_x
      - .offset:         228
        .size:           2
        .value_kind:     hidden_remainder_y
      - .offset:         230
        .size:           2
        .value_kind:     hidden_remainder_z
      - .offset:         248
        .size:           8
        .value_kind:     hidden_global_offset_x
      - .offset:         256
        .size:           8
        .value_kind:     hidden_global_offset_y
      - .offset:         264
        .size:           8
        .value_kind:     hidden_global_offset_z
      - .offset:         272
        .size:           2
        .value_kind:     hidden_grid_dims
    .group_segment_fixed_size: 4736
    .kernarg_segment_align: 8
    .kernarg_segment_size: 464
    .language:       OpenCL C
    .language_version:
      - 2
      - 0
    .max_flat_workgroup_size: 128
    .name:           _ZL15flash_attn_tileILi96ELi96ELi4ELi1ELb0EEvPKcS1_S1_S1_S1_PKiPfP15HIP_vector_typeIfLj2EEffffjfiS5_IjLj3EEiiiiiiiiiiiliiliiiiil
    .private_segment_fixed_size: 32
    .sgpr_count:     48
    .sgpr_spill_count: 0
    .symbol:         _ZL15flash_attn_tileILi96ELi96ELi4ELi1ELb0EEvPKcS1_S1_S1_S1_PKiPfP15HIP_vector_typeIfLj2EEffffjfiS5_IjLj3EEiiiiiiiiiiiliiliiiiil.kd
    .uniform_work_group_size: 1
    .uses_dynamic_stack: false
    .vgpr_count:     92
    .vgpr_spill_count: 0
    .wavefront_size: 32
  - .args:
      - .address_space:  global
        .offset:         0
        .size:           8
        .value_kind:     global_buffer
      - .address_space:  global
        .offset:         8
        .size:           8
        .value_kind:     global_buffer
      - .offset:         16
        .size:           4
        .value_kind:     by_value
      - .offset:         20
        .size:           4
        .value_kind:     by_value
      - .offset:         24
        .size:           4
        .value_kind:     by_value
      - .offset:         28
        .size:           4
        .value_kind:     by_value
      - .offset:         32
        .size:           4
        .value_kind:     by_value
      - .offset:         36
        .size:           4
        .value_kind:     by_value
      - .offset:         40
        .size:           12
        .value_kind:     by_value
      - .offset:         52
        .size:           12
        .value_kind:     by_value
      - .offset:         64
        .size:           12
        .value_kind:     by_value
    .group_segment_fixed_size: 0
    .kernarg_segment_align: 8
    .kernarg_segment_size: 76
    .language:       OpenCL C
    .language_version:
      - 2
      - 0
    .max_flat_workgroup_size: 96
    .name:           _ZL33flash_attn_stream_k_fixup_uniformILi96ELi4ELi1EEvPfPK15HIP_vector_typeIfLj2EEiiiiiiS1_IjLj3EES5_S5_
    .private_segment_fixed_size: 0
    .sgpr_count:     23
    .sgpr_spill_count: 0
    .symbol:         _ZL33flash_attn_stream_k_fixup_uniformILi96ELi4ELi1EEvPfPK15HIP_vector_typeIfLj2EEiiiiiiS1_IjLj3EES5_S5_.kd
    .uniform_work_group_size: 1
    .uses_dynamic_stack: false
    .vgpr_count:     12
    .vgpr_spill_count: 0
    .wavefront_size: 32
  - .args:
      - .address_space:  global
        .offset:         0
        .size:           8
        .value_kind:     global_buffer
      - .address_space:  global
        .offset:         8
        .size:           8
        .value_kind:     global_buffer
      - .offset:         16
        .size:           4
        .value_kind:     by_value
      - .offset:         20
        .size:           4
        .value_kind:     by_value
      - .offset:         24
        .size:           4
        .value_kind:     by_value
      - .offset:         28
        .size:           4
        .value_kind:     by_value
      - .offset:         32
        .size:           12
        .value_kind:     by_value
      - .offset:         44
        .size:           12
        .value_kind:     by_value
      - .offset:         56
        .size:           12
        .value_kind:     by_value
      - .offset:         68
        .size:           12
        .value_kind:     by_value
      - .offset:         80
        .size:           4
        .value_kind:     hidden_block_count_x
      - .offset:         84
        .size:           4
        .value_kind:     hidden_block_count_y
      - .offset:         88
        .size:           4
        .value_kind:     hidden_block_count_z
      - .offset:         92
        .size:           2
        .value_kind:     hidden_group_size_x
      - .offset:         94
        .size:           2
        .value_kind:     hidden_group_size_y
      - .offset:         96
        .size:           2
        .value_kind:     hidden_group_size_z
      - .offset:         98
        .size:           2
        .value_kind:     hidden_remainder_x
      - .offset:         100
        .size:           2
        .value_kind:     hidden_remainder_y
      - .offset:         102
        .size:           2
        .value_kind:     hidden_remainder_z
      - .offset:         120
        .size:           8
        .value_kind:     hidden_global_offset_x
      - .offset:         128
        .size:           8
        .value_kind:     hidden_global_offset_y
      - .offset:         136
        .size:           8
        .value_kind:     hidden_global_offset_z
      - .offset:         144
        .size:           2
        .value_kind:     hidden_grid_dims
    .group_segment_fixed_size: 0
    .kernarg_segment_align: 8
    .kernarg_segment_size: 336
    .language:       OpenCL C
    .language_version:
      - 2
      - 0
    .max_flat_workgroup_size: 96
    .name:           _ZL33flash_attn_stream_k_fixup_generalILi96ELi4ELi1EEvPfPK15HIP_vector_typeIfLj2EEiiiiS1_IjLj3EES5_S5_S5_
    .private_segment_fixed_size: 0
    .sgpr_count:     48
    .sgpr_spill_count: 0
    .symbol:         _ZL33flash_attn_stream_k_fixup_generalILi96ELi4ELi1EEvPfPK15HIP_vector_typeIfLj2EEiiiiS1_IjLj3EES5_S5_S5_.kd
    .uniform_work_group_size: 1
    .uses_dynamic_stack: false
    .vgpr_count:     12
    .vgpr_spill_count: 0
    .wavefront_size: 32
  - .args:
      - .address_space:  global
        .offset:         0
        .size:           8
        .value_kind:     global_buffer
      - .address_space:  global
        .offset:         8
        .size:           8
        .value_kind:     global_buffer
      - .address_space:  global
        .offset:         16
        .size:           8
        .value_kind:     global_buffer
      - .address_space:  global
        .offset:         24
        .size:           8
        .value_kind:     global_buffer
      - .address_space:  global
        .offset:         32
        .size:           8
        .value_kind:     global_buffer
      - .address_space:  global
        .offset:         40
        .size:           8
        .value_kind:     global_buffer
      - .address_space:  global
        .offset:         48
        .size:           8
        .value_kind:     global_buffer
      - .address_space:  global
        .offset:         56
        .size:           8
        .value_kind:     global_buffer
      - .offset:         64
        .size:           4
        .value_kind:     by_value
      - .offset:         68
        .size:           4
        .value_kind:     by_value
      - .offset:         72
        .size:           4
        .value_kind:     by_value
      - .offset:         76
        .size:           4
        .value_kind:     by_value
      - .offset:         80
        .size:           4
        .value_kind:     by_value
      - .offset:         84
        .size:           4
        .value_kind:     by_value
      - .offset:         88
        .size:           4
        .value_kind:     by_value
      - .offset:         92
        .size:           12
        .value_kind:     by_value
      - .offset:         104
        .size:           4
        .value_kind:     by_value
      - .offset:         108
        .size:           4
        .value_kind:     by_value
      - .offset:         112
        .size:           4
        .value_kind:     by_value
      - .offset:         116
        .size:           4
        .value_kind:     by_value
      - .offset:         120
        .size:           4
        .value_kind:     by_value
      - .offset:         124
        .size:           4
        .value_kind:     by_value
      - .offset:         128
        .size:           4
        .value_kind:     by_value
      - .offset:         132
        .size:           4
        .value_kind:     by_value
      - .offset:         136
        .size:           4
        .value_kind:     by_value
      - .offset:         140
        .size:           4
        .value_kind:     by_value
      - .offset:         144
        .size:           4
        .value_kind:     by_value
      - .offset:         152
        .size:           8
        .value_kind:     by_value
      - .offset:         160
        .size:           4
        .value_kind:     by_value
      - .offset:         164
        .size:           4
        .value_kind:     by_value
      - .offset:         168
        .size:           8
        .value_kind:     by_value
      - .offset:         176
        .size:           4
        .value_kind:     by_value
      - .offset:         180
        .size:           4
        .value_kind:     by_value
      - .offset:         184
        .size:           4
        .value_kind:     by_value
      - .offset:         188
        .size:           4
        .value_kind:     by_value
      - .offset:         192
        .size:           4
        .value_kind:     by_value
      - .offset:         200
        .size:           8
        .value_kind:     by_value
      - .offset:         208
        .size:           4
        .value_kind:     hidden_block_count_x
      - .offset:         212
        .size:           4
        .value_kind:     hidden_block_count_y
      - .offset:         216
        .size:           4
        .value_kind:     hidden_block_count_z
      - .offset:         220
        .size:           2
        .value_kind:     hidden_group_size_x
      - .offset:         222
        .size:           2
        .value_kind:     hidden_group_size_y
      - .offset:         224
        .size:           2
        .value_kind:     hidden_group_size_z
      - .offset:         226
        .size:           2
        .value_kind:     hidden_remainder_x
      - .offset:         228
        .size:           2
        .value_kind:     hidden_remainder_y
      - .offset:         230
        .size:           2
        .value_kind:     hidden_remainder_z
      - .offset:         248
        .size:           8
        .value_kind:     hidden_global_offset_x
      - .offset:         256
        .size:           8
        .value_kind:     hidden_global_offset_y
      - .offset:         264
        .size:           8
        .value_kind:     hidden_global_offset_z
      - .offset:         272
        .size:           2
        .value_kind:     hidden_grid_dims
    .group_segment_fixed_size: 4224
    .kernarg_segment_align: 8
    .kernarg_segment_size: 464
    .language:       OpenCL C
    .language_version:
      - 2
      - 0
    .max_flat_workgroup_size: 64
    .name:           _ZL15flash_attn_tileILi96ELi96ELi2ELi1ELb0EEvPKcS1_S1_S1_S1_PKiPfP15HIP_vector_typeIfLj2EEffffjfiS5_IjLj3EEiiiiiiiiiiiliiliiiiil
    .private_segment_fixed_size: 32
    .sgpr_count:     48
    .sgpr_spill_count: 0
    .symbol:         _ZL15flash_attn_tileILi96ELi96ELi2ELi1ELb0EEvPKcS1_S1_S1_S1_PKiPfP15HIP_vector_typeIfLj2EEffffjfiS5_IjLj3EEiiiiiiiiiiiliiliiiiil.kd
    .uniform_work_group_size: 1
    .uses_dynamic_stack: false
    .vgpr_count:     106
    .vgpr_spill_count: 0
    .wavefront_size: 32
  - .args:
      - .address_space:  global
        .offset:         0
        .size:           8
        .value_kind:     global_buffer
      - .address_space:  global
        .offset:         8
        .size:           8
        .value_kind:     global_buffer
      - .offset:         16
        .size:           4
        .value_kind:     by_value
      - .offset:         20
        .size:           4
        .value_kind:     by_value
      - .offset:         24
        .size:           4
        .value_kind:     by_value
      - .offset:         28
        .size:           4
        .value_kind:     by_value
      - .offset:         32
        .size:           4
        .value_kind:     by_value
      - .offset:         36
        .size:           4
        .value_kind:     by_value
      - .offset:         40
        .size:           12
        .value_kind:     by_value
      - .offset:         52
        .size:           12
        .value_kind:     by_value
      - .offset:         64
        .size:           12
        .value_kind:     by_value
    .group_segment_fixed_size: 0
    .kernarg_segment_align: 8
    .kernarg_segment_size: 76
    .language:       OpenCL C
    .language_version:
      - 2
      - 0
    .max_flat_workgroup_size: 96
    .name:           _ZL33flash_attn_stream_k_fixup_uniformILi96ELi2ELi1EEvPfPK15HIP_vector_typeIfLj2EEiiiiiiS1_IjLj3EES5_S5_
    .private_segment_fixed_size: 0
    .sgpr_count:     23
    .sgpr_spill_count: 0
    .symbol:         _ZL33flash_attn_stream_k_fixup_uniformILi96ELi2ELi1EEvPfPK15HIP_vector_typeIfLj2EEiiiiiiS1_IjLj3EES5_S5_.kd
    .uniform_work_group_size: 1
    .uses_dynamic_stack: false
    .vgpr_count:     12
    .vgpr_spill_count: 0
    .wavefront_size: 32
  - .args:
      - .address_space:  global
        .offset:         0
        .size:           8
        .value_kind:     global_buffer
      - .address_space:  global
        .offset:         8
        .size:           8
        .value_kind:     global_buffer
      - .offset:         16
        .size:           4
        .value_kind:     by_value
      - .offset:         20
        .size:           4
        .value_kind:     by_value
      - .offset:         24
        .size:           4
        .value_kind:     by_value
      - .offset:         28
        .size:           4
        .value_kind:     by_value
      - .offset:         32
        .size:           12
        .value_kind:     by_value
      - .offset:         44
        .size:           12
        .value_kind:     by_value
      - .offset:         56
        .size:           12
        .value_kind:     by_value
      - .offset:         68
        .size:           12
        .value_kind:     by_value
      - .offset:         80
        .size:           4
        .value_kind:     hidden_block_count_x
      - .offset:         84
        .size:           4
        .value_kind:     hidden_block_count_y
      - .offset:         88
        .size:           4
        .value_kind:     hidden_block_count_z
      - .offset:         92
        .size:           2
        .value_kind:     hidden_group_size_x
      - .offset:         94
        .size:           2
        .value_kind:     hidden_group_size_y
      - .offset:         96
        .size:           2
        .value_kind:     hidden_group_size_z
      - .offset:         98
        .size:           2
        .value_kind:     hidden_remainder_x
      - .offset:         100
        .size:           2
        .value_kind:     hidden_remainder_y
      - .offset:         102
        .size:           2
        .value_kind:     hidden_remainder_z
      - .offset:         120
        .size:           8
        .value_kind:     hidden_global_offset_x
      - .offset:         128
        .size:           8
        .value_kind:     hidden_global_offset_y
      - .offset:         136
        .size:           8
        .value_kind:     hidden_global_offset_z
      - .offset:         144
        .size:           2
        .value_kind:     hidden_grid_dims
    .group_segment_fixed_size: 0
    .kernarg_segment_align: 8
    .kernarg_segment_size: 336
    .language:       OpenCL C
    .language_version:
      - 2
      - 0
    .max_flat_workgroup_size: 96
    .name:           _ZL33flash_attn_stream_k_fixup_generalILi96ELi2ELi1EEvPfPK15HIP_vector_typeIfLj2EEiiiiS1_IjLj3EES5_S5_S5_
    .private_segment_fixed_size: 0
    .sgpr_count:     48
    .sgpr_spill_count: 0
    .symbol:         _ZL33flash_attn_stream_k_fixup_generalILi96ELi2ELi1EEvPfPK15HIP_vector_typeIfLj2EEiiiiS1_IjLj3EES5_S5_S5_.kd
    .uniform_work_group_size: 1
    .uses_dynamic_stack: false
    .vgpr_count:     12
    .vgpr_spill_count: 0
    .wavefront_size: 32
  - .args:
      - .address_space:  global
        .offset:         0
        .size:           8
        .value_kind:     global_buffer
      - .address_space:  global
        .offset:         8
        .size:           8
        .value_kind:     global_buffer
      - .address_space:  global
        .offset:         16
        .size:           8
        .value_kind:     global_buffer
      - .address_space:  global
        .offset:         24
        .size:           8
        .value_kind:     global_buffer
      - .address_space:  global
        .offset:         32
        .size:           8
        .value_kind:     global_buffer
      - .address_space:  global
        .offset:         40
        .size:           8
        .value_kind:     global_buffer
      - .address_space:  global
        .offset:         48
        .size:           8
        .value_kind:     global_buffer
      - .address_space:  global
        .offset:         56
        .size:           8
        .value_kind:     global_buffer
      - .offset:         64
        .size:           4
        .value_kind:     by_value
      - .offset:         68
        .size:           4
        .value_kind:     by_value
      - .offset:         72
        .size:           4
        .value_kind:     by_value
      - .offset:         76
        .size:           4
        .value_kind:     by_value
      - .offset:         80
        .size:           4
        .value_kind:     by_value
      - .offset:         84
        .size:           4
        .value_kind:     by_value
      - .offset:         88
        .size:           4
        .value_kind:     by_value
      - .offset:         92
        .size:           12
        .value_kind:     by_value
      - .offset:         104
        .size:           4
        .value_kind:     by_value
      - .offset:         108
        .size:           4
        .value_kind:     by_value
      - .offset:         112
        .size:           4
        .value_kind:     by_value
      - .offset:         116
        .size:           4
        .value_kind:     by_value
      - .offset:         120
        .size:           4
        .value_kind:     by_value
      - .offset:         124
        .size:           4
        .value_kind:     by_value
      - .offset:         128
        .size:           4
        .value_kind:     by_value
      - .offset:         132
        .size:           4
        .value_kind:     by_value
      - .offset:         136
        .size:           4
        .value_kind:     by_value
      - .offset:         140
        .size:           4
        .value_kind:     by_value
      - .offset:         144
        .size:           4
        .value_kind:     by_value
      - .offset:         152
        .size:           8
        .value_kind:     by_value
      - .offset:         160
        .size:           4
        .value_kind:     by_value
      - .offset:         164
        .size:           4
        .value_kind:     by_value
      - .offset:         168
        .size:           8
        .value_kind:     by_value
      - .offset:         176
        .size:           4
        .value_kind:     by_value
      - .offset:         180
        .size:           4
        .value_kind:     by_value
      - .offset:         184
        .size:           4
        .value_kind:     by_value
      - .offset:         188
        .size:           4
        .value_kind:     by_value
      - .offset:         192
        .size:           4
        .value_kind:     by_value
      - .offset:         200
        .size:           8
        .value_kind:     by_value
      - .offset:         208
        .size:           4
        .value_kind:     hidden_block_count_x
      - .offset:         212
        .size:           4
        .value_kind:     hidden_block_count_y
      - .offset:         216
        .size:           4
        .value_kind:     hidden_block_count_z
      - .offset:         220
        .size:           2
        .value_kind:     hidden_group_size_x
      - .offset:         222
        .size:           2
        .value_kind:     hidden_group_size_y
      - .offset:         224
        .size:           2
        .value_kind:     hidden_group_size_z
      - .offset:         226
        .size:           2
        .value_kind:     hidden_remainder_x
      - .offset:         228
        .size:           2
        .value_kind:     hidden_remainder_y
      - .offset:         230
        .size:           2
        .value_kind:     hidden_remainder_z
      - .offset:         248
        .size:           8
        .value_kind:     hidden_global_offset_x
      - .offset:         256
        .size:           8
        .value_kind:     hidden_global_offset_y
      - .offset:         264
        .size:           8
        .value_kind:     hidden_global_offset_z
      - .offset:         272
        .size:           2
        .value_kind:     hidden_grid_dims
      - .offset:         288
        .size:           8
        .value_kind:     hidden_hostcall_buffer
    .group_segment_fixed_size: 0
    .kernarg_segment_align: 8
    .kernarg_segment_size: 464
    .language:       OpenCL C
    .language_version:
      - 2
      - 0
    .max_flat_workgroup_size: 256
    .name:           _ZL15flash_attn_tileILi96ELi96ELi8ELi8ELb1EEvPKcS1_S1_S1_S1_PKiPfP15HIP_vector_typeIfLj2EEffffjfiS5_IjLj3EEiiiiiiiiiiiliiliiiiil
    .private_segment_fixed_size: 16
    .sgpr_count:     36
    .sgpr_spill_count: 0
    .symbol:         _ZL15flash_attn_tileILi96ELi96ELi8ELi8ELb1EEvPKcS1_S1_S1_S1_PKiPfP15HIP_vector_typeIfLj2EEffffjfiS5_IjLj3EEiiiiiiiiiiiliiliiiiil.kd
    .uniform_work_group_size: 1
    .uses_dynamic_stack: false
    .vgpr_count:     50
    .vgpr_spill_count: 0
    .wavefront_size: 32
  - .args:
      - .address_space:  global
        .offset:         0
        .size:           8
        .value_kind:     global_buffer
      - .address_space:  global
        .offset:         8
        .size:           8
        .value_kind:     global_buffer
      - .address_space:  global
        .offset:         16
        .size:           8
        .value_kind:     global_buffer
      - .address_space:  global
        .offset:         24
        .size:           8
        .value_kind:     global_buffer
      - .address_space:  global
        .offset:         32
        .size:           8
        .value_kind:     global_buffer
      - .address_space:  global
        .offset:         40
        .size:           8
        .value_kind:     global_buffer
      - .address_space:  global
        .offset:         48
        .size:           8
        .value_kind:     global_buffer
      - .address_space:  global
        .offset:         56
        .size:           8
        .value_kind:     global_buffer
      - .offset:         64
        .size:           4
        .value_kind:     by_value
      - .offset:         68
        .size:           4
        .value_kind:     by_value
      - .offset:         72
        .size:           4
        .value_kind:     by_value
      - .offset:         76
        .size:           4
        .value_kind:     by_value
      - .offset:         80
        .size:           4
        .value_kind:     by_value
      - .offset:         84
        .size:           4
        .value_kind:     by_value
      - .offset:         88
        .size:           4
        .value_kind:     by_value
      - .offset:         92
        .size:           12
        .value_kind:     by_value
      - .offset:         104
        .size:           4
        .value_kind:     by_value
      - .offset:         108
        .size:           4
        .value_kind:     by_value
      - .offset:         112
        .size:           4
        .value_kind:     by_value
      - .offset:         116
        .size:           4
        .value_kind:     by_value
      - .offset:         120
        .size:           4
        .value_kind:     by_value
      - .offset:         124
        .size:           4
        .value_kind:     by_value
      - .offset:         128
        .size:           4
        .value_kind:     by_value
      - .offset:         132
        .size:           4
        .value_kind:     by_value
      - .offset:         136
        .size:           4
        .value_kind:     by_value
      - .offset:         140
        .size:           4
        .value_kind:     by_value
      - .offset:         144
        .size:           4
        .value_kind:     by_value
      - .offset:         152
        .size:           8
        .value_kind:     by_value
      - .offset:         160
        .size:           4
        .value_kind:     by_value
      - .offset:         164
        .size:           4
        .value_kind:     by_value
      - .offset:         168
        .size:           8
        .value_kind:     by_value
      - .offset:         176
        .size:           4
        .value_kind:     by_value
      - .offset:         180
        .size:           4
        .value_kind:     by_value
      - .offset:         184
        .size:           4
        .value_kind:     by_value
      - .offset:         188
        .size:           4
        .value_kind:     by_value
      - .offset:         192
        .size:           4
        .value_kind:     by_value
      - .offset:         200
        .size:           8
        .value_kind:     by_value
      - .offset:         208
        .size:           4
        .value_kind:     hidden_block_count_x
      - .offset:         212
        .size:           4
        .value_kind:     hidden_block_count_y
      - .offset:         216
        .size:           4
        .value_kind:     hidden_block_count_z
      - .offset:         220
        .size:           2
        .value_kind:     hidden_group_size_x
      - .offset:         222
        .size:           2
        .value_kind:     hidden_group_size_y
      - .offset:         224
        .size:           2
        .value_kind:     hidden_group_size_z
      - .offset:         226
        .size:           2
        .value_kind:     hidden_remainder_x
      - .offset:         228
        .size:           2
        .value_kind:     hidden_remainder_y
      - .offset:         230
        .size:           2
        .value_kind:     hidden_remainder_z
      - .offset:         248
        .size:           8
        .value_kind:     hidden_global_offset_x
      - .offset:         256
        .size:           8
        .value_kind:     hidden_global_offset_y
      - .offset:         264
        .size:           8
        .value_kind:     hidden_global_offset_z
      - .offset:         272
        .size:           2
        .value_kind:     hidden_grid_dims
      - .offset:         288
        .size:           8
        .value_kind:     hidden_hostcall_buffer
    .group_segment_fixed_size: 0
    .kernarg_segment_align: 8
    .kernarg_segment_size: 464
    .language:       OpenCL C
    .language_version:
      - 2
      - 0
    .max_flat_workgroup_size: 256
    .name:           _ZL15flash_attn_tileILi96ELi96ELi4ELi8ELb1EEvPKcS1_S1_S1_S1_PKiPfP15HIP_vector_typeIfLj2EEffffjfiS5_IjLj3EEiiiiiiiiiiiliiliiiiil
    .private_segment_fixed_size: 16
    .sgpr_count:     36
    .sgpr_spill_count: 0
    .symbol:         _ZL15flash_attn_tileILi96ELi96ELi4ELi8ELb1EEvPKcS1_S1_S1_S1_PKiPfP15HIP_vector_typeIfLj2EEffffjfiS5_IjLj3EEiiiiiiiiiiiliiliiiiil.kd
    .uniform_work_group_size: 1
    .uses_dynamic_stack: false
    .vgpr_count:     50
    .vgpr_spill_count: 0
    .wavefront_size: 32
  - .args:
      - .address_space:  global
        .offset:         0
        .size:           8
        .value_kind:     global_buffer
      - .address_space:  global
        .offset:         8
        .size:           8
        .value_kind:     global_buffer
      - .address_space:  global
        .offset:         16
        .size:           8
        .value_kind:     global_buffer
      - .address_space:  global
        .offset:         24
        .size:           8
        .value_kind:     global_buffer
      - .address_space:  global
        .offset:         32
        .size:           8
        .value_kind:     global_buffer
      - .address_space:  global
        .offset:         40
        .size:           8
        .value_kind:     global_buffer
      - .address_space:  global
        .offset:         48
        .size:           8
        .value_kind:     global_buffer
      - .address_space:  global
        .offset:         56
        .size:           8
        .value_kind:     global_buffer
      - .offset:         64
        .size:           4
        .value_kind:     by_value
      - .offset:         68
        .size:           4
        .value_kind:     by_value
      - .offset:         72
        .size:           4
        .value_kind:     by_value
      - .offset:         76
        .size:           4
        .value_kind:     by_value
      - .offset:         80
        .size:           4
        .value_kind:     by_value
      - .offset:         84
        .size:           4
        .value_kind:     by_value
      - .offset:         88
        .size:           4
        .value_kind:     by_value
      - .offset:         92
        .size:           12
        .value_kind:     by_value
      - .offset:         104
        .size:           4
        .value_kind:     by_value
      - .offset:         108
        .size:           4
        .value_kind:     by_value
      - .offset:         112
        .size:           4
        .value_kind:     by_value
      - .offset:         116
        .size:           4
        .value_kind:     by_value
      - .offset:         120
        .size:           4
        .value_kind:     by_value
      - .offset:         124
        .size:           4
        .value_kind:     by_value
      - .offset:         128
        .size:           4
        .value_kind:     by_value
      - .offset:         132
        .size:           4
        .value_kind:     by_value
      - .offset:         136
        .size:           4
        .value_kind:     by_value
      - .offset:         140
        .size:           4
        .value_kind:     by_value
      - .offset:         144
        .size:           4
        .value_kind:     by_value
      - .offset:         152
        .size:           8
        .value_kind:     by_value
      - .offset:         160
        .size:           4
        .value_kind:     by_value
      - .offset:         164
        .size:           4
        .value_kind:     by_value
      - .offset:         168
        .size:           8
        .value_kind:     by_value
      - .offset:         176
        .size:           4
        .value_kind:     by_value
      - .offset:         180
        .size:           4
        .value_kind:     by_value
      - .offset:         184
        .size:           4
        .value_kind:     by_value
      - .offset:         188
        .size:           4
        .value_kind:     by_value
      - .offset:         192
        .size:           4
        .value_kind:     by_value
      - .offset:         200
        .size:           8
        .value_kind:     by_value
      - .offset:         208
        .size:           4
        .value_kind:     hidden_block_count_x
      - .offset:         212
        .size:           4
        .value_kind:     hidden_block_count_y
      - .offset:         216
        .size:           4
        .value_kind:     hidden_block_count_z
      - .offset:         220
        .size:           2
        .value_kind:     hidden_group_size_x
      - .offset:         222
        .size:           2
        .value_kind:     hidden_group_size_y
      - .offset:         224
        .size:           2
        .value_kind:     hidden_group_size_z
      - .offset:         226
        .size:           2
        .value_kind:     hidden_remainder_x
      - .offset:         228
        .size:           2
        .value_kind:     hidden_remainder_y
      - .offset:         230
        .size:           2
        .value_kind:     hidden_remainder_z
      - .offset:         248
        .size:           8
        .value_kind:     hidden_global_offset_x
      - .offset:         256
        .size:           8
        .value_kind:     hidden_global_offset_y
      - .offset:         264
        .size:           8
        .value_kind:     hidden_global_offset_z
      - .offset:         272
        .size:           2
        .value_kind:     hidden_grid_dims
      - .offset:         288
        .size:           8
        .value_kind:     hidden_hostcall_buffer
    .group_segment_fixed_size: 0
    .kernarg_segment_align: 8
    .kernarg_segment_size: 464
    .language:       OpenCL C
    .language_version:
      - 2
      - 0
    .max_flat_workgroup_size: 256
    .name:           _ZL15flash_attn_tileILi96ELi96ELi2ELi8ELb1EEvPKcS1_S1_S1_S1_PKiPfP15HIP_vector_typeIfLj2EEffffjfiS5_IjLj3EEiiiiiiiiiiiliiliiiiil
    .private_segment_fixed_size: 16
    .sgpr_count:     36
    .sgpr_spill_count: 0
    .symbol:         _ZL15flash_attn_tileILi96ELi96ELi2ELi8ELb1EEvPKcS1_S1_S1_S1_PKiPfP15HIP_vector_typeIfLj2EEffffjfiS5_IjLj3EEiiiiiiiiiiiliiliiiiil.kd
    .uniform_work_group_size: 1
    .uses_dynamic_stack: false
    .vgpr_count:     50
    .vgpr_spill_count: 0
    .wavefront_size: 32
  - .args:
      - .address_space:  global
        .offset:         0
        .size:           8
        .value_kind:     global_buffer
      - .address_space:  global
        .offset:         8
        .size:           8
        .value_kind:     global_buffer
      - .address_space:  global
        .offset:         16
        .size:           8
        .value_kind:     global_buffer
      - .address_space:  global
        .offset:         24
        .size:           8
        .value_kind:     global_buffer
      - .address_space:  global
        .offset:         32
        .size:           8
        .value_kind:     global_buffer
      - .address_space:  global
        .offset:         40
        .size:           8
        .value_kind:     global_buffer
      - .address_space:  global
        .offset:         48
        .size:           8
        .value_kind:     global_buffer
      - .address_space:  global
        .offset:         56
        .size:           8
        .value_kind:     global_buffer
      - .offset:         64
        .size:           4
        .value_kind:     by_value
      - .offset:         68
        .size:           4
        .value_kind:     by_value
      - .offset:         72
        .size:           4
        .value_kind:     by_value
      - .offset:         76
        .size:           4
        .value_kind:     by_value
      - .offset:         80
        .size:           4
        .value_kind:     by_value
      - .offset:         84
        .size:           4
        .value_kind:     by_value
      - .offset:         88
        .size:           4
        .value_kind:     by_value
      - .offset:         92
        .size:           12
        .value_kind:     by_value
      - .offset:         104
        .size:           4
        .value_kind:     by_value
      - .offset:         108
        .size:           4
        .value_kind:     by_value
      - .offset:         112
        .size:           4
        .value_kind:     by_value
      - .offset:         116
        .size:           4
        .value_kind:     by_value
      - .offset:         120
        .size:           4
        .value_kind:     by_value
      - .offset:         124
        .size:           4
        .value_kind:     by_value
      - .offset:         128
        .size:           4
        .value_kind:     by_value
      - .offset:         132
        .size:           4
        .value_kind:     by_value
      - .offset:         136
        .size:           4
        .value_kind:     by_value
      - .offset:         140
        .size:           4
        .value_kind:     by_value
      - .offset:         144
        .size:           4
        .value_kind:     by_value
      - .offset:         152
        .size:           8
        .value_kind:     by_value
      - .offset:         160
        .size:           4
        .value_kind:     by_value
      - .offset:         164
        .size:           4
        .value_kind:     by_value
      - .offset:         168
        .size:           8
        .value_kind:     by_value
      - .offset:         176
        .size:           4
        .value_kind:     by_value
      - .offset:         180
        .size:           4
        .value_kind:     by_value
      - .offset:         184
        .size:           4
        .value_kind:     by_value
      - .offset:         188
        .size:           4
        .value_kind:     by_value
      - .offset:         192
        .size:           4
        .value_kind:     by_value
      - .offset:         200
        .size:           8
        .value_kind:     by_value
      - .offset:         208
        .size:           4
        .value_kind:     hidden_block_count_x
      - .offset:         212
        .size:           4
        .value_kind:     hidden_block_count_y
      - .offset:         216
        .size:           4
        .value_kind:     hidden_block_count_z
      - .offset:         220
        .size:           2
        .value_kind:     hidden_group_size_x
      - .offset:         222
        .size:           2
        .value_kind:     hidden_group_size_y
      - .offset:         224
        .size:           2
        .value_kind:     hidden_group_size_z
      - .offset:         226
        .size:           2
        .value_kind:     hidden_remainder_x
      - .offset:         228
        .size:           2
        .value_kind:     hidden_remainder_y
      - .offset:         230
        .size:           2
        .value_kind:     hidden_remainder_z
      - .offset:         248
        .size:           8
        .value_kind:     hidden_global_offset_x
      - .offset:         256
        .size:           8
        .value_kind:     hidden_global_offset_y
      - .offset:         264
        .size:           8
        .value_kind:     hidden_global_offset_z
      - .offset:         272
        .size:           2
        .value_kind:     hidden_grid_dims
      - .offset:         288
        .size:           8
        .value_kind:     hidden_hostcall_buffer
    .group_segment_fixed_size: 0
    .kernarg_segment_align: 8
    .kernarg_segment_size: 464
    .language:       OpenCL C
    .language_version:
      - 2
      - 0
    .max_flat_workgroup_size: 256
    .name:           _ZL15flash_attn_tileILi96ELi96ELi1ELi8ELb1EEvPKcS1_S1_S1_S1_PKiPfP15HIP_vector_typeIfLj2EEffffjfiS5_IjLj3EEiiiiiiiiiiiliiliiiiil
    .private_segment_fixed_size: 16
    .sgpr_count:     36
    .sgpr_spill_count: 0
    .symbol:         _ZL15flash_attn_tileILi96ELi96ELi1ELi8ELb1EEvPKcS1_S1_S1_S1_PKiPfP15HIP_vector_typeIfLj2EEffffjfiS5_IjLj3EEiiiiiiiiiiiliiliiiiil.kd
    .uniform_work_group_size: 1
    .uses_dynamic_stack: false
    .vgpr_count:     50
    .vgpr_spill_count: 0
    .wavefront_size: 32
  - .args:
      - .address_space:  global
        .offset:         0
        .size:           8
        .value_kind:     global_buffer
      - .address_space:  global
        .offset:         8
        .size:           8
        .value_kind:     global_buffer
      - .address_space:  global
        .offset:         16
        .size:           8
        .value_kind:     global_buffer
      - .address_space:  global
        .offset:         24
        .size:           8
        .value_kind:     global_buffer
      - .address_space:  global
        .offset:         32
        .size:           8
        .value_kind:     global_buffer
      - .address_space:  global
        .offset:         40
        .size:           8
        .value_kind:     global_buffer
      - .address_space:  global
        .offset:         48
        .size:           8
        .value_kind:     global_buffer
      - .address_space:  global
        .offset:         56
        .size:           8
        .value_kind:     global_buffer
      - .offset:         64
        .size:           4
        .value_kind:     by_value
      - .offset:         68
        .size:           4
        .value_kind:     by_value
      - .offset:         72
        .size:           4
        .value_kind:     by_value
      - .offset:         76
        .size:           4
        .value_kind:     by_value
      - .offset:         80
        .size:           4
        .value_kind:     by_value
      - .offset:         84
        .size:           4
        .value_kind:     by_value
      - .offset:         88
        .size:           4
        .value_kind:     by_value
      - .offset:         92
        .size:           12
        .value_kind:     by_value
      - .offset:         104
        .size:           4
        .value_kind:     by_value
      - .offset:         108
        .size:           4
        .value_kind:     by_value
      - .offset:         112
        .size:           4
        .value_kind:     by_value
      - .offset:         116
        .size:           4
        .value_kind:     by_value
      - .offset:         120
        .size:           4
        .value_kind:     by_value
      - .offset:         124
        .size:           4
        .value_kind:     by_value
      - .offset:         128
        .size:           4
        .value_kind:     by_value
      - .offset:         132
        .size:           4
        .value_kind:     by_value
      - .offset:         136
        .size:           4
        .value_kind:     by_value
      - .offset:         140
        .size:           4
        .value_kind:     by_value
      - .offset:         144
        .size:           4
        .value_kind:     by_value
      - .offset:         152
        .size:           8
        .value_kind:     by_value
      - .offset:         160
        .size:           4
        .value_kind:     by_value
      - .offset:         164
        .size:           4
        .value_kind:     by_value
      - .offset:         168
        .size:           8
        .value_kind:     by_value
      - .offset:         176
        .size:           4
        .value_kind:     by_value
      - .offset:         180
        .size:           4
        .value_kind:     by_value
      - .offset:         184
        .size:           4
        .value_kind:     by_value
      - .offset:         188
        .size:           4
        .value_kind:     by_value
      - .offset:         192
        .size:           4
        .value_kind:     by_value
      - .offset:         200
        .size:           8
        .value_kind:     by_value
      - .offset:         208
        .size:           4
        .value_kind:     hidden_block_count_x
      - .offset:         212
        .size:           4
        .value_kind:     hidden_block_count_y
      - .offset:         216
        .size:           4
        .value_kind:     hidden_block_count_z
      - .offset:         220
        .size:           2
        .value_kind:     hidden_group_size_x
      - .offset:         222
        .size:           2
        .value_kind:     hidden_group_size_y
      - .offset:         224
        .size:           2
        .value_kind:     hidden_group_size_z
      - .offset:         226
        .size:           2
        .value_kind:     hidden_remainder_x
      - .offset:         228
        .size:           2
        .value_kind:     hidden_remainder_y
      - .offset:         230
        .size:           2
        .value_kind:     hidden_remainder_z
      - .offset:         248
        .size:           8
        .value_kind:     hidden_global_offset_x
      - .offset:         256
        .size:           8
        .value_kind:     hidden_global_offset_y
      - .offset:         264
        .size:           8
        .value_kind:     hidden_global_offset_z
      - .offset:         272
        .size:           2
        .value_kind:     hidden_grid_dims
      - .offset:         288
        .size:           8
        .value_kind:     hidden_hostcall_buffer
    .group_segment_fixed_size: 0
    .kernarg_segment_align: 8
    .kernarg_segment_size: 464
    .language:       OpenCL C
    .language_version:
      - 2
      - 0
    .max_flat_workgroup_size: 256
    .name:           _ZL15flash_attn_tileILi96ELi96ELi16ELi4ELb1EEvPKcS1_S1_S1_S1_PKiPfP15HIP_vector_typeIfLj2EEffffjfiS5_IjLj3EEiiiiiiiiiiiliiliiiiil
    .private_segment_fixed_size: 16
    .sgpr_count:     36
    .sgpr_spill_count: 0
    .symbol:         _ZL15flash_attn_tileILi96ELi96ELi16ELi4ELb1EEvPKcS1_S1_S1_S1_PKiPfP15HIP_vector_typeIfLj2EEffffjfiS5_IjLj3EEiiiiiiiiiiiliiliiiiil.kd
    .uniform_work_group_size: 1
    .uses_dynamic_stack: false
    .vgpr_count:     50
    .vgpr_spill_count: 0
    .wavefront_size: 32
  - .args:
      - .address_space:  global
        .offset:         0
        .size:           8
        .value_kind:     global_buffer
      - .address_space:  global
        .offset:         8
        .size:           8
        .value_kind:     global_buffer
      - .address_space:  global
        .offset:         16
        .size:           8
        .value_kind:     global_buffer
      - .address_space:  global
        .offset:         24
        .size:           8
        .value_kind:     global_buffer
      - .address_space:  global
        .offset:         32
        .size:           8
        .value_kind:     global_buffer
      - .address_space:  global
        .offset:         40
        .size:           8
        .value_kind:     global_buffer
      - .address_space:  global
        .offset:         48
        .size:           8
        .value_kind:     global_buffer
      - .address_space:  global
        .offset:         56
        .size:           8
        .value_kind:     global_buffer
      - .offset:         64
        .size:           4
        .value_kind:     by_value
      - .offset:         68
        .size:           4
        .value_kind:     by_value
      - .offset:         72
        .size:           4
        .value_kind:     by_value
      - .offset:         76
        .size:           4
        .value_kind:     by_value
      - .offset:         80
        .size:           4
        .value_kind:     by_value
      - .offset:         84
        .size:           4
        .value_kind:     by_value
      - .offset:         88
        .size:           4
        .value_kind:     by_value
      - .offset:         92
        .size:           12
        .value_kind:     by_value
      - .offset:         104
        .size:           4
        .value_kind:     by_value
      - .offset:         108
        .size:           4
        .value_kind:     by_value
      - .offset:         112
        .size:           4
        .value_kind:     by_value
      - .offset:         116
        .size:           4
        .value_kind:     by_value
      - .offset:         120
        .size:           4
        .value_kind:     by_value
      - .offset:         124
        .size:           4
        .value_kind:     by_value
      - .offset:         128
        .size:           4
        .value_kind:     by_value
      - .offset:         132
        .size:           4
        .value_kind:     by_value
      - .offset:         136
        .size:           4
        .value_kind:     by_value
      - .offset:         140
        .size:           4
        .value_kind:     by_value
      - .offset:         144
        .size:           4
        .value_kind:     by_value
      - .offset:         152
        .size:           8
        .value_kind:     by_value
      - .offset:         160
        .size:           4
        .value_kind:     by_value
      - .offset:         164
        .size:           4
        .value_kind:     by_value
      - .offset:         168
        .size:           8
        .value_kind:     by_value
      - .offset:         176
        .size:           4
        .value_kind:     by_value
      - .offset:         180
        .size:           4
        .value_kind:     by_value
      - .offset:         184
        .size:           4
        .value_kind:     by_value
      - .offset:         188
        .size:           4
        .value_kind:     by_value
      - .offset:         192
        .size:           4
        .value_kind:     by_value
      - .offset:         200
        .size:           8
        .value_kind:     by_value
      - .offset:         208
        .size:           4
        .value_kind:     hidden_block_count_x
      - .offset:         212
        .size:           4
        .value_kind:     hidden_block_count_y
      - .offset:         216
        .size:           4
        .value_kind:     hidden_block_count_z
      - .offset:         220
        .size:           2
        .value_kind:     hidden_group_size_x
      - .offset:         222
        .size:           2
        .value_kind:     hidden_group_size_y
      - .offset:         224
        .size:           2
        .value_kind:     hidden_group_size_z
      - .offset:         226
        .size:           2
        .value_kind:     hidden_remainder_x
      - .offset:         228
        .size:           2
        .value_kind:     hidden_remainder_y
      - .offset:         230
        .size:           2
        .value_kind:     hidden_remainder_z
      - .offset:         248
        .size:           8
        .value_kind:     hidden_global_offset_x
      - .offset:         256
        .size:           8
        .value_kind:     hidden_global_offset_y
      - .offset:         264
        .size:           8
        .value_kind:     hidden_global_offset_z
      - .offset:         272
        .size:           2
        .value_kind:     hidden_grid_dims
      - .offset:         288
        .size:           8
        .value_kind:     hidden_hostcall_buffer
    .group_segment_fixed_size: 0
    .kernarg_segment_align: 8
    .kernarg_segment_size: 464
    .language:       OpenCL C
    .language_version:
      - 2
      - 0
    .max_flat_workgroup_size: 256
    .name:           _ZL15flash_attn_tileILi96ELi96ELi8ELi4ELb1EEvPKcS1_S1_S1_S1_PKiPfP15HIP_vector_typeIfLj2EEffffjfiS5_IjLj3EEiiiiiiiiiiiliiliiiiil
    .private_segment_fixed_size: 16
    .sgpr_count:     36
    .sgpr_spill_count: 0
    .symbol:         _ZL15flash_attn_tileILi96ELi96ELi8ELi4ELb1EEvPKcS1_S1_S1_S1_PKiPfP15HIP_vector_typeIfLj2EEffffjfiS5_IjLj3EEiiiiiiiiiiiliiliiiiil.kd
    .uniform_work_group_size: 1
    .uses_dynamic_stack: false
    .vgpr_count:     50
    .vgpr_spill_count: 0
    .wavefront_size: 32
  - .args:
      - .address_space:  global
        .offset:         0
        .size:           8
        .value_kind:     global_buffer
      - .address_space:  global
        .offset:         8
        .size:           8
        .value_kind:     global_buffer
      - .address_space:  global
        .offset:         16
        .size:           8
        .value_kind:     global_buffer
      - .address_space:  global
        .offset:         24
        .size:           8
        .value_kind:     global_buffer
      - .address_space:  global
        .offset:         32
        .size:           8
        .value_kind:     global_buffer
      - .address_space:  global
        .offset:         40
        .size:           8
        .value_kind:     global_buffer
      - .address_space:  global
        .offset:         48
        .size:           8
        .value_kind:     global_buffer
      - .address_space:  global
        .offset:         56
        .size:           8
        .value_kind:     global_buffer
      - .offset:         64
        .size:           4
        .value_kind:     by_value
      - .offset:         68
        .size:           4
        .value_kind:     by_value
      - .offset:         72
        .size:           4
        .value_kind:     by_value
      - .offset:         76
        .size:           4
        .value_kind:     by_value
      - .offset:         80
        .size:           4
        .value_kind:     by_value
      - .offset:         84
        .size:           4
        .value_kind:     by_value
      - .offset:         88
        .size:           4
        .value_kind:     by_value
      - .offset:         92
        .size:           12
        .value_kind:     by_value
      - .offset:         104
        .size:           4
        .value_kind:     by_value
      - .offset:         108
        .size:           4
        .value_kind:     by_value
      - .offset:         112
        .size:           4
        .value_kind:     by_value
      - .offset:         116
        .size:           4
        .value_kind:     by_value
      - .offset:         120
        .size:           4
        .value_kind:     by_value
      - .offset:         124
        .size:           4
        .value_kind:     by_value
      - .offset:         128
        .size:           4
        .value_kind:     by_value
      - .offset:         132
        .size:           4
        .value_kind:     by_value
      - .offset:         136
        .size:           4
        .value_kind:     by_value
      - .offset:         140
        .size:           4
        .value_kind:     by_value
      - .offset:         144
        .size:           4
        .value_kind:     by_value
      - .offset:         152
        .size:           8
        .value_kind:     by_value
      - .offset:         160
        .size:           4
        .value_kind:     by_value
      - .offset:         164
        .size:           4
        .value_kind:     by_value
      - .offset:         168
        .size:           8
        .value_kind:     by_value
      - .offset:         176
        .size:           4
        .value_kind:     by_value
      - .offset:         180
        .size:           4
        .value_kind:     by_value
      - .offset:         184
        .size:           4
        .value_kind:     by_value
      - .offset:         188
        .size:           4
        .value_kind:     by_value
      - .offset:         192
        .size:           4
        .value_kind:     by_value
      - .offset:         200
        .size:           8
        .value_kind:     by_value
      - .offset:         208
        .size:           4
        .value_kind:     hidden_block_count_x
      - .offset:         212
        .size:           4
        .value_kind:     hidden_block_count_y
      - .offset:         216
        .size:           4
        .value_kind:     hidden_block_count_z
      - .offset:         220
        .size:           2
        .value_kind:     hidden_group_size_x
      - .offset:         222
        .size:           2
        .value_kind:     hidden_group_size_y
      - .offset:         224
        .size:           2
        .value_kind:     hidden_group_size_z
      - .offset:         226
        .size:           2
        .value_kind:     hidden_remainder_x
      - .offset:         228
        .size:           2
        .value_kind:     hidden_remainder_y
      - .offset:         230
        .size:           2
        .value_kind:     hidden_remainder_z
      - .offset:         248
        .size:           8
        .value_kind:     hidden_global_offset_x
      - .offset:         256
        .size:           8
        .value_kind:     hidden_global_offset_y
      - .offset:         264
        .size:           8
        .value_kind:     hidden_global_offset_z
      - .offset:         272
        .size:           2
        .value_kind:     hidden_grid_dims
      - .offset:         288
        .size:           8
        .value_kind:     hidden_hostcall_buffer
    .group_segment_fixed_size: 0
    .kernarg_segment_align: 8
    .kernarg_segment_size: 464
    .language:       OpenCL C
    .language_version:
      - 2
      - 0
    .max_flat_workgroup_size: 256
    .name:           _ZL15flash_attn_tileILi96ELi96ELi4ELi4ELb1EEvPKcS1_S1_S1_S1_PKiPfP15HIP_vector_typeIfLj2EEffffjfiS5_IjLj3EEiiiiiiiiiiiliiliiiiil
    .private_segment_fixed_size: 16
    .sgpr_count:     36
    .sgpr_spill_count: 0
    .symbol:         _ZL15flash_attn_tileILi96ELi96ELi4ELi4ELb1EEvPKcS1_S1_S1_S1_PKiPfP15HIP_vector_typeIfLj2EEffffjfiS5_IjLj3EEiiiiiiiiiiiliiliiiiil.kd
    .uniform_work_group_size: 1
    .uses_dynamic_stack: false
    .vgpr_count:     50
    .vgpr_spill_count: 0
    .wavefront_size: 32
  - .args:
      - .address_space:  global
        .offset:         0
        .size:           8
        .value_kind:     global_buffer
      - .address_space:  global
        .offset:         8
        .size:           8
        .value_kind:     global_buffer
      - .address_space:  global
        .offset:         16
        .size:           8
        .value_kind:     global_buffer
      - .address_space:  global
        .offset:         24
        .size:           8
        .value_kind:     global_buffer
      - .address_space:  global
        .offset:         32
        .size:           8
        .value_kind:     global_buffer
      - .address_space:  global
        .offset:         40
        .size:           8
        .value_kind:     global_buffer
      - .address_space:  global
        .offset:         48
        .size:           8
        .value_kind:     global_buffer
      - .address_space:  global
        .offset:         56
        .size:           8
        .value_kind:     global_buffer
      - .offset:         64
        .size:           4
        .value_kind:     by_value
      - .offset:         68
        .size:           4
        .value_kind:     by_value
      - .offset:         72
        .size:           4
        .value_kind:     by_value
      - .offset:         76
        .size:           4
        .value_kind:     by_value
      - .offset:         80
        .size:           4
        .value_kind:     by_value
      - .offset:         84
        .size:           4
        .value_kind:     by_value
      - .offset:         88
        .size:           4
        .value_kind:     by_value
      - .offset:         92
        .size:           12
        .value_kind:     by_value
      - .offset:         104
        .size:           4
        .value_kind:     by_value
      - .offset:         108
        .size:           4
        .value_kind:     by_value
      - .offset:         112
        .size:           4
        .value_kind:     by_value
      - .offset:         116
        .size:           4
        .value_kind:     by_value
      - .offset:         120
        .size:           4
        .value_kind:     by_value
      - .offset:         124
        .size:           4
        .value_kind:     by_value
      - .offset:         128
        .size:           4
        .value_kind:     by_value
      - .offset:         132
        .size:           4
        .value_kind:     by_value
      - .offset:         136
        .size:           4
        .value_kind:     by_value
      - .offset:         140
        .size:           4
        .value_kind:     by_value
      - .offset:         144
        .size:           4
        .value_kind:     by_value
      - .offset:         152
        .size:           8
        .value_kind:     by_value
      - .offset:         160
        .size:           4
        .value_kind:     by_value
      - .offset:         164
        .size:           4
        .value_kind:     by_value
      - .offset:         168
        .size:           8
        .value_kind:     by_value
      - .offset:         176
        .size:           4
        .value_kind:     by_value
      - .offset:         180
        .size:           4
        .value_kind:     by_value
      - .offset:         184
        .size:           4
        .value_kind:     by_value
      - .offset:         188
        .size:           4
        .value_kind:     by_value
      - .offset:         192
        .size:           4
        .value_kind:     by_value
      - .offset:         200
        .size:           8
        .value_kind:     by_value
      - .offset:         208
        .size:           4
        .value_kind:     hidden_block_count_x
      - .offset:         212
        .size:           4
        .value_kind:     hidden_block_count_y
      - .offset:         216
        .size:           4
        .value_kind:     hidden_block_count_z
      - .offset:         220
        .size:           2
        .value_kind:     hidden_group_size_x
      - .offset:         222
        .size:           2
        .value_kind:     hidden_group_size_y
      - .offset:         224
        .size:           2
        .value_kind:     hidden_group_size_z
      - .offset:         226
        .size:           2
        .value_kind:     hidden_remainder_x
      - .offset:         228
        .size:           2
        .value_kind:     hidden_remainder_y
      - .offset:         230
        .size:           2
        .value_kind:     hidden_remainder_z
      - .offset:         248
        .size:           8
        .value_kind:     hidden_global_offset_x
      - .offset:         256
        .size:           8
        .value_kind:     hidden_global_offset_y
      - .offset:         264
        .size:           8
        .value_kind:     hidden_global_offset_z
      - .offset:         272
        .size:           2
        .value_kind:     hidden_grid_dims
      - .offset:         288
        .size:           8
        .value_kind:     hidden_hostcall_buffer
    .group_segment_fixed_size: 0
    .kernarg_segment_align: 8
    .kernarg_segment_size: 464
    .language:       OpenCL C
    .language_version:
      - 2
      - 0
    .max_flat_workgroup_size: 256
    .name:           _ZL15flash_attn_tileILi96ELi96ELi2ELi4ELb1EEvPKcS1_S1_S1_S1_PKiPfP15HIP_vector_typeIfLj2EEffffjfiS5_IjLj3EEiiiiiiiiiiiliiliiiiil
    .private_segment_fixed_size: 16
    .sgpr_count:     36
    .sgpr_spill_count: 0
    .symbol:         _ZL15flash_attn_tileILi96ELi96ELi2ELi4ELb1EEvPKcS1_S1_S1_S1_PKiPfP15HIP_vector_typeIfLj2EEffffjfiS5_IjLj3EEiiiiiiiiiiiliiliiiiil.kd
    .uniform_work_group_size: 1
    .uses_dynamic_stack: false
    .vgpr_count:     50
    .vgpr_spill_count: 0
    .wavefront_size: 32
  - .args:
      - .address_space:  global
        .offset:         0
        .size:           8
        .value_kind:     global_buffer
      - .address_space:  global
        .offset:         8
        .size:           8
        .value_kind:     global_buffer
      - .address_space:  global
        .offset:         16
        .size:           8
        .value_kind:     global_buffer
      - .address_space:  global
        .offset:         24
        .size:           8
        .value_kind:     global_buffer
      - .address_space:  global
        .offset:         32
        .size:           8
        .value_kind:     global_buffer
      - .address_space:  global
        .offset:         40
        .size:           8
        .value_kind:     global_buffer
      - .address_space:  global
        .offset:         48
        .size:           8
        .value_kind:     global_buffer
      - .address_space:  global
        .offset:         56
        .size:           8
        .value_kind:     global_buffer
      - .offset:         64
        .size:           4
        .value_kind:     by_value
      - .offset:         68
        .size:           4
        .value_kind:     by_value
      - .offset:         72
        .size:           4
        .value_kind:     by_value
      - .offset:         76
        .size:           4
        .value_kind:     by_value
      - .offset:         80
        .size:           4
        .value_kind:     by_value
      - .offset:         84
        .size:           4
        .value_kind:     by_value
      - .offset:         88
        .size:           4
        .value_kind:     by_value
      - .offset:         92
        .size:           12
        .value_kind:     by_value
      - .offset:         104
        .size:           4
        .value_kind:     by_value
      - .offset:         108
        .size:           4
        .value_kind:     by_value
      - .offset:         112
        .size:           4
        .value_kind:     by_value
      - .offset:         116
        .size:           4
        .value_kind:     by_value
      - .offset:         120
        .size:           4
        .value_kind:     by_value
      - .offset:         124
        .size:           4
        .value_kind:     by_value
      - .offset:         128
        .size:           4
        .value_kind:     by_value
      - .offset:         132
        .size:           4
        .value_kind:     by_value
      - .offset:         136
        .size:           4
        .value_kind:     by_value
      - .offset:         140
        .size:           4
        .value_kind:     by_value
      - .offset:         144
        .size:           4
        .value_kind:     by_value
      - .offset:         152
        .size:           8
        .value_kind:     by_value
      - .offset:         160
        .size:           4
        .value_kind:     by_value
      - .offset:         164
        .size:           4
        .value_kind:     by_value
      - .offset:         168
        .size:           8
        .value_kind:     by_value
      - .offset:         176
        .size:           4
        .value_kind:     by_value
      - .offset:         180
        .size:           4
        .value_kind:     by_value
      - .offset:         184
        .size:           4
        .value_kind:     by_value
      - .offset:         188
        .size:           4
        .value_kind:     by_value
      - .offset:         192
        .size:           4
        .value_kind:     by_value
      - .offset:         200
        .size:           8
        .value_kind:     by_value
      - .offset:         208
        .size:           4
        .value_kind:     hidden_block_count_x
      - .offset:         212
        .size:           4
        .value_kind:     hidden_block_count_y
      - .offset:         216
        .size:           4
        .value_kind:     hidden_block_count_z
      - .offset:         220
        .size:           2
        .value_kind:     hidden_group_size_x
      - .offset:         222
        .size:           2
        .value_kind:     hidden_group_size_y
      - .offset:         224
        .size:           2
        .value_kind:     hidden_group_size_z
      - .offset:         226
        .size:           2
        .value_kind:     hidden_remainder_x
      - .offset:         228
        .size:           2
        .value_kind:     hidden_remainder_y
      - .offset:         230
        .size:           2
        .value_kind:     hidden_remainder_z
      - .offset:         248
        .size:           8
        .value_kind:     hidden_global_offset_x
      - .offset:         256
        .size:           8
        .value_kind:     hidden_global_offset_y
      - .offset:         264
        .size:           8
        .value_kind:     hidden_global_offset_z
      - .offset:         272
        .size:           2
        .value_kind:     hidden_grid_dims
      - .offset:         288
        .size:           8
        .value_kind:     hidden_hostcall_buffer
    .group_segment_fixed_size: 0
    .kernarg_segment_align: 8
    .kernarg_segment_size: 464
    .language:       OpenCL C
    .language_version:
      - 2
      - 0
    .max_flat_workgroup_size: 128
    .name:           _ZL15flash_attn_tileILi96ELi96ELi1ELi4ELb1EEvPKcS1_S1_S1_S1_PKiPfP15HIP_vector_typeIfLj2EEffffjfiS5_IjLj3EEiiiiiiiiiiiliiliiiiil
    .private_segment_fixed_size: 16
    .sgpr_count:     36
    .sgpr_spill_count: 0
    .symbol:         _ZL15flash_attn_tileILi96ELi96ELi1ELi4ELb1EEvPKcS1_S1_S1_S1_PKiPfP15HIP_vector_typeIfLj2EEffffjfiS5_IjLj3EEiiiiiiiiiiiliiliiiiil.kd
    .uniform_work_group_size: 1
    .uses_dynamic_stack: false
    .vgpr_count:     50
    .vgpr_spill_count: 0
    .wavefront_size: 32
  - .args:
      - .address_space:  global
        .offset:         0
        .size:           8
        .value_kind:     global_buffer
      - .address_space:  global
        .offset:         8
        .size:           8
        .value_kind:     global_buffer
      - .address_space:  global
        .offset:         16
        .size:           8
        .value_kind:     global_buffer
      - .address_space:  global
        .offset:         24
        .size:           8
        .value_kind:     global_buffer
      - .address_space:  global
        .offset:         32
        .size:           8
        .value_kind:     global_buffer
      - .address_space:  global
        .offset:         40
        .size:           8
        .value_kind:     global_buffer
      - .address_space:  global
        .offset:         48
        .size:           8
        .value_kind:     global_buffer
      - .address_space:  global
        .offset:         56
        .size:           8
        .value_kind:     global_buffer
      - .offset:         64
        .size:           4
        .value_kind:     by_value
      - .offset:         68
        .size:           4
        .value_kind:     by_value
      - .offset:         72
        .size:           4
        .value_kind:     by_value
      - .offset:         76
        .size:           4
        .value_kind:     by_value
      - .offset:         80
        .size:           4
        .value_kind:     by_value
      - .offset:         84
        .size:           4
        .value_kind:     by_value
      - .offset:         88
        .size:           4
        .value_kind:     by_value
      - .offset:         92
        .size:           12
        .value_kind:     by_value
      - .offset:         104
        .size:           4
        .value_kind:     by_value
      - .offset:         108
        .size:           4
        .value_kind:     by_value
      - .offset:         112
        .size:           4
        .value_kind:     by_value
      - .offset:         116
        .size:           4
        .value_kind:     by_value
      - .offset:         120
        .size:           4
        .value_kind:     by_value
      - .offset:         124
        .size:           4
        .value_kind:     by_value
      - .offset:         128
        .size:           4
        .value_kind:     by_value
      - .offset:         132
        .size:           4
        .value_kind:     by_value
      - .offset:         136
        .size:           4
        .value_kind:     by_value
      - .offset:         140
        .size:           4
        .value_kind:     by_value
      - .offset:         144
        .size:           4
        .value_kind:     by_value
      - .offset:         152
        .size:           8
        .value_kind:     by_value
      - .offset:         160
        .size:           4
        .value_kind:     by_value
      - .offset:         164
        .size:           4
        .value_kind:     by_value
      - .offset:         168
        .size:           8
        .value_kind:     by_value
      - .offset:         176
        .size:           4
        .value_kind:     by_value
      - .offset:         180
        .size:           4
        .value_kind:     by_value
      - .offset:         184
        .size:           4
        .value_kind:     by_value
      - .offset:         188
        .size:           4
        .value_kind:     by_value
      - .offset:         192
        .size:           4
        .value_kind:     by_value
      - .offset:         200
        .size:           8
        .value_kind:     by_value
      - .offset:         208
        .size:           4
        .value_kind:     hidden_block_count_x
      - .offset:         212
        .size:           4
        .value_kind:     hidden_block_count_y
      - .offset:         216
        .size:           4
        .value_kind:     hidden_block_count_z
      - .offset:         220
        .size:           2
        .value_kind:     hidden_group_size_x
      - .offset:         222
        .size:           2
        .value_kind:     hidden_group_size_y
      - .offset:         224
        .size:           2
        .value_kind:     hidden_group_size_z
      - .offset:         226
        .size:           2
        .value_kind:     hidden_remainder_x
      - .offset:         228
        .size:           2
        .value_kind:     hidden_remainder_y
      - .offset:         230
        .size:           2
        .value_kind:     hidden_remainder_z
      - .offset:         248
        .size:           8
        .value_kind:     hidden_global_offset_x
      - .offset:         256
        .size:           8
        .value_kind:     hidden_global_offset_y
      - .offset:         264
        .size:           8
        .value_kind:     hidden_global_offset_z
      - .offset:         272
        .size:           2
        .value_kind:     hidden_grid_dims
      - .offset:         288
        .size:           8
        .value_kind:     hidden_hostcall_buffer
    .group_segment_fixed_size: 0
    .kernarg_segment_align: 8
    .kernarg_segment_size: 464
    .language:       OpenCL C
    .language_version:
      - 2
      - 0
    .max_flat_workgroup_size: 256
    .name:           _ZL15flash_attn_tileILi96ELi96ELi32ELi2ELb1EEvPKcS1_S1_S1_S1_PKiPfP15HIP_vector_typeIfLj2EEffffjfiS5_IjLj3EEiiiiiiiiiiiliiliiiiil
    .private_segment_fixed_size: 16
    .sgpr_count:     36
    .sgpr_spill_count: 0
    .symbol:         _ZL15flash_attn_tileILi96ELi96ELi32ELi2ELb1EEvPKcS1_S1_S1_S1_PKiPfP15HIP_vector_typeIfLj2EEffffjfiS5_IjLj3EEiiiiiiiiiiiliiliiiiil.kd
    .uniform_work_group_size: 1
    .uses_dynamic_stack: false
    .vgpr_count:     50
    .vgpr_spill_count: 0
    .wavefront_size: 32
  - .args:
      - .address_space:  global
        .offset:         0
        .size:           8
        .value_kind:     global_buffer
      - .address_space:  global
        .offset:         8
        .size:           8
        .value_kind:     global_buffer
      - .address_space:  global
        .offset:         16
        .size:           8
        .value_kind:     global_buffer
      - .address_space:  global
        .offset:         24
        .size:           8
        .value_kind:     global_buffer
      - .address_space:  global
        .offset:         32
        .size:           8
        .value_kind:     global_buffer
      - .address_space:  global
        .offset:         40
        .size:           8
        .value_kind:     global_buffer
      - .address_space:  global
        .offset:         48
        .size:           8
        .value_kind:     global_buffer
      - .address_space:  global
        .offset:         56
        .size:           8
        .value_kind:     global_buffer
      - .offset:         64
        .size:           4
        .value_kind:     by_value
      - .offset:         68
        .size:           4
        .value_kind:     by_value
      - .offset:         72
        .size:           4
        .value_kind:     by_value
      - .offset:         76
        .size:           4
        .value_kind:     by_value
      - .offset:         80
        .size:           4
        .value_kind:     by_value
      - .offset:         84
        .size:           4
        .value_kind:     by_value
      - .offset:         88
        .size:           4
        .value_kind:     by_value
      - .offset:         92
        .size:           12
        .value_kind:     by_value
      - .offset:         104
        .size:           4
        .value_kind:     by_value
      - .offset:         108
        .size:           4
        .value_kind:     by_value
      - .offset:         112
        .size:           4
        .value_kind:     by_value
      - .offset:         116
        .size:           4
        .value_kind:     by_value
      - .offset:         120
        .size:           4
        .value_kind:     by_value
      - .offset:         124
        .size:           4
        .value_kind:     by_value
      - .offset:         128
        .size:           4
        .value_kind:     by_value
      - .offset:         132
        .size:           4
        .value_kind:     by_value
      - .offset:         136
        .size:           4
        .value_kind:     by_value
      - .offset:         140
        .size:           4
        .value_kind:     by_value
      - .offset:         144
        .size:           4
        .value_kind:     by_value
      - .offset:         152
        .size:           8
        .value_kind:     by_value
      - .offset:         160
        .size:           4
        .value_kind:     by_value
      - .offset:         164
        .size:           4
        .value_kind:     by_value
      - .offset:         168
        .size:           8
        .value_kind:     by_value
      - .offset:         176
        .size:           4
        .value_kind:     by_value
      - .offset:         180
        .size:           4
        .value_kind:     by_value
      - .offset:         184
        .size:           4
        .value_kind:     by_value
      - .offset:         188
        .size:           4
        .value_kind:     by_value
      - .offset:         192
        .size:           4
        .value_kind:     by_value
      - .offset:         200
        .size:           8
        .value_kind:     by_value
      - .offset:         208
        .size:           4
        .value_kind:     hidden_block_count_x
      - .offset:         212
        .size:           4
        .value_kind:     hidden_block_count_y
      - .offset:         216
        .size:           4
        .value_kind:     hidden_block_count_z
      - .offset:         220
        .size:           2
        .value_kind:     hidden_group_size_x
      - .offset:         222
        .size:           2
        .value_kind:     hidden_group_size_y
      - .offset:         224
        .size:           2
        .value_kind:     hidden_group_size_z
      - .offset:         226
        .size:           2
        .value_kind:     hidden_remainder_x
      - .offset:         228
        .size:           2
        .value_kind:     hidden_remainder_y
      - .offset:         230
        .size:           2
        .value_kind:     hidden_remainder_z
      - .offset:         248
        .size:           8
        .value_kind:     hidden_global_offset_x
      - .offset:         256
        .size:           8
        .value_kind:     hidden_global_offset_y
      - .offset:         264
        .size:           8
        .value_kind:     hidden_global_offset_z
      - .offset:         272
        .size:           2
        .value_kind:     hidden_grid_dims
      - .offset:         288
        .size:           8
        .value_kind:     hidden_hostcall_buffer
    .group_segment_fixed_size: 0
    .kernarg_segment_align: 8
    .kernarg_segment_size: 464
    .language:       OpenCL C
    .language_version:
      - 2
      - 0
    .max_flat_workgroup_size: 256
    .name:           _ZL15flash_attn_tileILi96ELi96ELi16ELi2ELb1EEvPKcS1_S1_S1_S1_PKiPfP15HIP_vector_typeIfLj2EEffffjfiS5_IjLj3EEiiiiiiiiiiiliiliiiiil
    .private_segment_fixed_size: 16
    .sgpr_count:     36
    .sgpr_spill_count: 0
    .symbol:         _ZL15flash_attn_tileILi96ELi96ELi16ELi2ELb1EEvPKcS1_S1_S1_S1_PKiPfP15HIP_vector_typeIfLj2EEffffjfiS5_IjLj3EEiiiiiiiiiiiliiliiiiil.kd
    .uniform_work_group_size: 1
    .uses_dynamic_stack: false
    .vgpr_count:     50
    .vgpr_spill_count: 0
    .wavefront_size: 32
  - .args:
      - .address_space:  global
        .offset:         0
        .size:           8
        .value_kind:     global_buffer
      - .address_space:  global
        .offset:         8
        .size:           8
        .value_kind:     global_buffer
      - .address_space:  global
        .offset:         16
        .size:           8
        .value_kind:     global_buffer
      - .address_space:  global
        .offset:         24
        .size:           8
        .value_kind:     global_buffer
      - .address_space:  global
        .offset:         32
        .size:           8
        .value_kind:     global_buffer
      - .address_space:  global
        .offset:         40
        .size:           8
        .value_kind:     global_buffer
      - .address_space:  global
        .offset:         48
        .size:           8
        .value_kind:     global_buffer
      - .address_space:  global
        .offset:         56
        .size:           8
        .value_kind:     global_buffer
      - .offset:         64
        .size:           4
        .value_kind:     by_value
      - .offset:         68
        .size:           4
        .value_kind:     by_value
      - .offset:         72
        .size:           4
        .value_kind:     by_value
      - .offset:         76
        .size:           4
        .value_kind:     by_value
      - .offset:         80
        .size:           4
        .value_kind:     by_value
      - .offset:         84
        .size:           4
        .value_kind:     by_value
      - .offset:         88
        .size:           4
        .value_kind:     by_value
      - .offset:         92
        .size:           12
        .value_kind:     by_value
      - .offset:         104
        .size:           4
        .value_kind:     by_value
      - .offset:         108
        .size:           4
        .value_kind:     by_value
      - .offset:         112
        .size:           4
        .value_kind:     by_value
      - .offset:         116
        .size:           4
        .value_kind:     by_value
      - .offset:         120
        .size:           4
        .value_kind:     by_value
      - .offset:         124
        .size:           4
        .value_kind:     by_value
      - .offset:         128
        .size:           4
        .value_kind:     by_value
      - .offset:         132
        .size:           4
        .value_kind:     by_value
      - .offset:         136
        .size:           4
        .value_kind:     by_value
      - .offset:         140
        .size:           4
        .value_kind:     by_value
      - .offset:         144
        .size:           4
        .value_kind:     by_value
      - .offset:         152
        .size:           8
        .value_kind:     by_value
      - .offset:         160
        .size:           4
        .value_kind:     by_value
      - .offset:         164
        .size:           4
        .value_kind:     by_value
      - .offset:         168
        .size:           8
        .value_kind:     by_value
      - .offset:         176
        .size:           4
        .value_kind:     by_value
      - .offset:         180
        .size:           4
        .value_kind:     by_value
      - .offset:         184
        .size:           4
        .value_kind:     by_value
      - .offset:         188
        .size:           4
        .value_kind:     by_value
      - .offset:         192
        .size:           4
        .value_kind:     by_value
      - .offset:         200
        .size:           8
        .value_kind:     by_value
      - .offset:         208
        .size:           4
        .value_kind:     hidden_block_count_x
      - .offset:         212
        .size:           4
        .value_kind:     hidden_block_count_y
      - .offset:         216
        .size:           4
        .value_kind:     hidden_block_count_z
      - .offset:         220
        .size:           2
        .value_kind:     hidden_group_size_x
      - .offset:         222
        .size:           2
        .value_kind:     hidden_group_size_y
      - .offset:         224
        .size:           2
        .value_kind:     hidden_group_size_z
      - .offset:         226
        .size:           2
        .value_kind:     hidden_remainder_x
      - .offset:         228
        .size:           2
        .value_kind:     hidden_remainder_y
      - .offset:         230
        .size:           2
        .value_kind:     hidden_remainder_z
      - .offset:         248
        .size:           8
        .value_kind:     hidden_global_offset_x
      - .offset:         256
        .size:           8
        .value_kind:     hidden_global_offset_y
      - .offset:         264
        .size:           8
        .value_kind:     hidden_global_offset_z
      - .offset:         272
        .size:           2
        .value_kind:     hidden_grid_dims
      - .offset:         288
        .size:           8
        .value_kind:     hidden_hostcall_buffer
    .group_segment_fixed_size: 0
    .kernarg_segment_align: 8
    .kernarg_segment_size: 464
    .language:       OpenCL C
    .language_version:
      - 2
      - 0
    .max_flat_workgroup_size: 256
    .name:           _ZL15flash_attn_tileILi96ELi96ELi8ELi2ELb1EEvPKcS1_S1_S1_S1_PKiPfP15HIP_vector_typeIfLj2EEffffjfiS5_IjLj3EEiiiiiiiiiiiliiliiiiil
    .private_segment_fixed_size: 16
    .sgpr_count:     36
    .sgpr_spill_count: 0
    .symbol:         _ZL15flash_attn_tileILi96ELi96ELi8ELi2ELb1EEvPKcS1_S1_S1_S1_PKiPfP15HIP_vector_typeIfLj2EEffffjfiS5_IjLj3EEiiiiiiiiiiiliiliiiiil.kd
    .uniform_work_group_size: 1
    .uses_dynamic_stack: false
    .vgpr_count:     50
    .vgpr_spill_count: 0
    .wavefront_size: 32
  - .args:
      - .address_space:  global
        .offset:         0
        .size:           8
        .value_kind:     global_buffer
      - .address_space:  global
        .offset:         8
        .size:           8
        .value_kind:     global_buffer
      - .address_space:  global
        .offset:         16
        .size:           8
        .value_kind:     global_buffer
      - .address_space:  global
        .offset:         24
        .size:           8
        .value_kind:     global_buffer
      - .address_space:  global
        .offset:         32
        .size:           8
        .value_kind:     global_buffer
      - .address_space:  global
        .offset:         40
        .size:           8
        .value_kind:     global_buffer
      - .address_space:  global
        .offset:         48
        .size:           8
        .value_kind:     global_buffer
      - .address_space:  global
        .offset:         56
        .size:           8
        .value_kind:     global_buffer
      - .offset:         64
        .size:           4
        .value_kind:     by_value
      - .offset:         68
        .size:           4
        .value_kind:     by_value
      - .offset:         72
        .size:           4
        .value_kind:     by_value
      - .offset:         76
        .size:           4
        .value_kind:     by_value
      - .offset:         80
        .size:           4
        .value_kind:     by_value
      - .offset:         84
        .size:           4
        .value_kind:     by_value
      - .offset:         88
        .size:           4
        .value_kind:     by_value
      - .offset:         92
        .size:           12
        .value_kind:     by_value
      - .offset:         104
        .size:           4
        .value_kind:     by_value
      - .offset:         108
        .size:           4
        .value_kind:     by_value
      - .offset:         112
        .size:           4
        .value_kind:     by_value
      - .offset:         116
        .size:           4
        .value_kind:     by_value
      - .offset:         120
        .size:           4
        .value_kind:     by_value
      - .offset:         124
        .size:           4
        .value_kind:     by_value
      - .offset:         128
        .size:           4
        .value_kind:     by_value
      - .offset:         132
        .size:           4
        .value_kind:     by_value
      - .offset:         136
        .size:           4
        .value_kind:     by_value
      - .offset:         140
        .size:           4
        .value_kind:     by_value
      - .offset:         144
        .size:           4
        .value_kind:     by_value
      - .offset:         152
        .size:           8
        .value_kind:     by_value
      - .offset:         160
        .size:           4
        .value_kind:     by_value
      - .offset:         164
        .size:           4
        .value_kind:     by_value
      - .offset:         168
        .size:           8
        .value_kind:     by_value
      - .offset:         176
        .size:           4
        .value_kind:     by_value
      - .offset:         180
        .size:           4
        .value_kind:     by_value
      - .offset:         184
        .size:           4
        .value_kind:     by_value
      - .offset:         188
        .size:           4
        .value_kind:     by_value
      - .offset:         192
        .size:           4
        .value_kind:     by_value
      - .offset:         200
        .size:           8
        .value_kind:     by_value
      - .offset:         208
        .size:           4
        .value_kind:     hidden_block_count_x
      - .offset:         212
        .size:           4
        .value_kind:     hidden_block_count_y
      - .offset:         216
        .size:           4
        .value_kind:     hidden_block_count_z
      - .offset:         220
        .size:           2
        .value_kind:     hidden_group_size_x
      - .offset:         222
        .size:           2
        .value_kind:     hidden_group_size_y
      - .offset:         224
        .size:           2
        .value_kind:     hidden_group_size_z
      - .offset:         226
        .size:           2
        .value_kind:     hidden_remainder_x
      - .offset:         228
        .size:           2
        .value_kind:     hidden_remainder_y
      - .offset:         230
        .size:           2
        .value_kind:     hidden_remainder_z
      - .offset:         248
        .size:           8
        .value_kind:     hidden_global_offset_x
      - .offset:         256
        .size:           8
        .value_kind:     hidden_global_offset_y
      - .offset:         264
        .size:           8
        .value_kind:     hidden_global_offset_z
      - .offset:         272
        .size:           2
        .value_kind:     hidden_grid_dims
      - .offset:         288
        .size:           8
        .value_kind:     hidden_hostcall_buffer
    .group_segment_fixed_size: 0
    .kernarg_segment_align: 8
    .kernarg_segment_size: 464
    .language:       OpenCL C
    .language_version:
      - 2
      - 0
    .max_flat_workgroup_size: 256
    .name:           _ZL15flash_attn_tileILi96ELi96ELi4ELi2ELb1EEvPKcS1_S1_S1_S1_PKiPfP15HIP_vector_typeIfLj2EEffffjfiS5_IjLj3EEiiiiiiiiiiiliiliiiiil
    .private_segment_fixed_size: 16
    .sgpr_count:     36
    .sgpr_spill_count: 0
    .symbol:         _ZL15flash_attn_tileILi96ELi96ELi4ELi2ELb1EEvPKcS1_S1_S1_S1_PKiPfP15HIP_vector_typeIfLj2EEffffjfiS5_IjLj3EEiiiiiiiiiiiliiliiiiil.kd
    .uniform_work_group_size: 1
    .uses_dynamic_stack: false
    .vgpr_count:     50
    .vgpr_spill_count: 0
    .wavefront_size: 32
  - .args:
      - .address_space:  global
        .offset:         0
        .size:           8
        .value_kind:     global_buffer
      - .address_space:  global
        .offset:         8
        .size:           8
        .value_kind:     global_buffer
      - .address_space:  global
        .offset:         16
        .size:           8
        .value_kind:     global_buffer
      - .address_space:  global
        .offset:         24
        .size:           8
        .value_kind:     global_buffer
      - .address_space:  global
        .offset:         32
        .size:           8
        .value_kind:     global_buffer
      - .address_space:  global
        .offset:         40
        .size:           8
        .value_kind:     global_buffer
      - .address_space:  global
        .offset:         48
        .size:           8
        .value_kind:     global_buffer
      - .address_space:  global
        .offset:         56
        .size:           8
        .value_kind:     global_buffer
      - .offset:         64
        .size:           4
        .value_kind:     by_value
      - .offset:         68
        .size:           4
        .value_kind:     by_value
      - .offset:         72
        .size:           4
        .value_kind:     by_value
      - .offset:         76
        .size:           4
        .value_kind:     by_value
      - .offset:         80
        .size:           4
        .value_kind:     by_value
      - .offset:         84
        .size:           4
        .value_kind:     by_value
      - .offset:         88
        .size:           4
        .value_kind:     by_value
      - .offset:         92
        .size:           12
        .value_kind:     by_value
      - .offset:         104
        .size:           4
        .value_kind:     by_value
      - .offset:         108
        .size:           4
        .value_kind:     by_value
      - .offset:         112
        .size:           4
        .value_kind:     by_value
      - .offset:         116
        .size:           4
        .value_kind:     by_value
      - .offset:         120
        .size:           4
        .value_kind:     by_value
      - .offset:         124
        .size:           4
        .value_kind:     by_value
      - .offset:         128
        .size:           4
        .value_kind:     by_value
      - .offset:         132
        .size:           4
        .value_kind:     by_value
      - .offset:         136
        .size:           4
        .value_kind:     by_value
      - .offset:         140
        .size:           4
        .value_kind:     by_value
      - .offset:         144
        .size:           4
        .value_kind:     by_value
      - .offset:         152
        .size:           8
        .value_kind:     by_value
      - .offset:         160
        .size:           4
        .value_kind:     by_value
      - .offset:         164
        .size:           4
        .value_kind:     by_value
      - .offset:         168
        .size:           8
        .value_kind:     by_value
      - .offset:         176
        .size:           4
        .value_kind:     by_value
      - .offset:         180
        .size:           4
        .value_kind:     by_value
      - .offset:         184
        .size:           4
        .value_kind:     by_value
      - .offset:         188
        .size:           4
        .value_kind:     by_value
      - .offset:         192
        .size:           4
        .value_kind:     by_value
      - .offset:         200
        .size:           8
        .value_kind:     by_value
      - .offset:         208
        .size:           4
        .value_kind:     hidden_block_count_x
      - .offset:         212
        .size:           4
        .value_kind:     hidden_block_count_y
      - .offset:         216
        .size:           4
        .value_kind:     hidden_block_count_z
      - .offset:         220
        .size:           2
        .value_kind:     hidden_group_size_x
      - .offset:         222
        .size:           2
        .value_kind:     hidden_group_size_y
      - .offset:         224
        .size:           2
        .value_kind:     hidden_group_size_z
      - .offset:         226
        .size:           2
        .value_kind:     hidden_remainder_x
      - .offset:         228
        .size:           2
        .value_kind:     hidden_remainder_y
      - .offset:         230
        .size:           2
        .value_kind:     hidden_remainder_z
      - .offset:         248
        .size:           8
        .value_kind:     hidden_global_offset_x
      - .offset:         256
        .size:           8
        .value_kind:     hidden_global_offset_y
      - .offset:         264
        .size:           8
        .value_kind:     hidden_global_offset_z
      - .offset:         272
        .size:           2
        .value_kind:     hidden_grid_dims
      - .offset:         288
        .size:           8
        .value_kind:     hidden_hostcall_buffer
    .group_segment_fixed_size: 0
    .kernarg_segment_align: 8
    .kernarg_segment_size: 464
    .language:       OpenCL C
    .language_version:
      - 2
      - 0
    .max_flat_workgroup_size: 128
    .name:           _ZL15flash_attn_tileILi96ELi96ELi2ELi2ELb1EEvPKcS1_S1_S1_S1_PKiPfP15HIP_vector_typeIfLj2EEffffjfiS5_IjLj3EEiiiiiiiiiiiliiliiiiil
    .private_segment_fixed_size: 16
    .sgpr_count:     36
    .sgpr_spill_count: 0
    .symbol:         _ZL15flash_attn_tileILi96ELi96ELi2ELi2ELb1EEvPKcS1_S1_S1_S1_PKiPfP15HIP_vector_typeIfLj2EEffffjfiS5_IjLj3EEiiiiiiiiiiiliiliiiiil.kd
    .uniform_work_group_size: 1
    .uses_dynamic_stack: false
    .vgpr_count:     50
    .vgpr_spill_count: 0
    .wavefront_size: 32
  - .args:
      - .address_space:  global
        .offset:         0
        .size:           8
        .value_kind:     global_buffer
      - .address_space:  global
        .offset:         8
        .size:           8
        .value_kind:     global_buffer
      - .address_space:  global
        .offset:         16
        .size:           8
        .value_kind:     global_buffer
      - .address_space:  global
        .offset:         24
        .size:           8
        .value_kind:     global_buffer
      - .address_space:  global
        .offset:         32
        .size:           8
        .value_kind:     global_buffer
      - .address_space:  global
        .offset:         40
        .size:           8
        .value_kind:     global_buffer
      - .address_space:  global
        .offset:         48
        .size:           8
        .value_kind:     global_buffer
      - .address_space:  global
        .offset:         56
        .size:           8
        .value_kind:     global_buffer
      - .offset:         64
        .size:           4
        .value_kind:     by_value
      - .offset:         68
        .size:           4
        .value_kind:     by_value
      - .offset:         72
        .size:           4
        .value_kind:     by_value
      - .offset:         76
        .size:           4
        .value_kind:     by_value
      - .offset:         80
        .size:           4
        .value_kind:     by_value
      - .offset:         84
        .size:           4
        .value_kind:     by_value
      - .offset:         88
        .size:           4
        .value_kind:     by_value
      - .offset:         92
        .size:           12
        .value_kind:     by_value
      - .offset:         104
        .size:           4
        .value_kind:     by_value
      - .offset:         108
        .size:           4
        .value_kind:     by_value
      - .offset:         112
        .size:           4
        .value_kind:     by_value
      - .offset:         116
        .size:           4
        .value_kind:     by_value
      - .offset:         120
        .size:           4
        .value_kind:     by_value
      - .offset:         124
        .size:           4
        .value_kind:     by_value
      - .offset:         128
        .size:           4
        .value_kind:     by_value
      - .offset:         132
        .size:           4
        .value_kind:     by_value
      - .offset:         136
        .size:           4
        .value_kind:     by_value
      - .offset:         140
        .size:           4
        .value_kind:     by_value
      - .offset:         144
        .size:           4
        .value_kind:     by_value
      - .offset:         152
        .size:           8
        .value_kind:     by_value
      - .offset:         160
        .size:           4
        .value_kind:     by_value
      - .offset:         164
        .size:           4
        .value_kind:     by_value
      - .offset:         168
        .size:           8
        .value_kind:     by_value
      - .offset:         176
        .size:           4
        .value_kind:     by_value
      - .offset:         180
        .size:           4
        .value_kind:     by_value
      - .offset:         184
        .size:           4
        .value_kind:     by_value
      - .offset:         188
        .size:           4
        .value_kind:     by_value
      - .offset:         192
        .size:           4
        .value_kind:     by_value
      - .offset:         200
        .size:           8
        .value_kind:     by_value
      - .offset:         208
        .size:           4
        .value_kind:     hidden_block_count_x
      - .offset:         212
        .size:           4
        .value_kind:     hidden_block_count_y
      - .offset:         216
        .size:           4
        .value_kind:     hidden_block_count_z
      - .offset:         220
        .size:           2
        .value_kind:     hidden_group_size_x
      - .offset:         222
        .size:           2
        .value_kind:     hidden_group_size_y
      - .offset:         224
        .size:           2
        .value_kind:     hidden_group_size_z
      - .offset:         226
        .size:           2
        .value_kind:     hidden_remainder_x
      - .offset:         228
        .size:           2
        .value_kind:     hidden_remainder_y
      - .offset:         230
        .size:           2
        .value_kind:     hidden_remainder_z
      - .offset:         248
        .size:           8
        .value_kind:     hidden_global_offset_x
      - .offset:         256
        .size:           8
        .value_kind:     hidden_global_offset_y
      - .offset:         264
        .size:           8
        .value_kind:     hidden_global_offset_z
      - .offset:         272
        .size:           2
        .value_kind:     hidden_grid_dims
      - .offset:         288
        .size:           8
        .value_kind:     hidden_hostcall_buffer
    .group_segment_fixed_size: 0
    .kernarg_segment_align: 8
    .kernarg_segment_size: 464
    .language:       OpenCL C
    .language_version:
      - 2
      - 0
    .max_flat_workgroup_size: 64
    .name:           _ZL15flash_attn_tileILi96ELi96ELi1ELi2ELb1EEvPKcS1_S1_S1_S1_PKiPfP15HIP_vector_typeIfLj2EEffffjfiS5_IjLj3EEiiiiiiiiiiiliiliiiiil
    .private_segment_fixed_size: 16
    .sgpr_count:     36
    .sgpr_spill_count: 0
    .symbol:         _ZL15flash_attn_tileILi96ELi96ELi1ELi2ELb1EEvPKcS1_S1_S1_S1_PKiPfP15HIP_vector_typeIfLj2EEffffjfiS5_IjLj3EEiiiiiiiiiiiliiliiiiil.kd
    .uniform_work_group_size: 1
    .uses_dynamic_stack: false
    .vgpr_count:     50
    .vgpr_spill_count: 0
    .wavefront_size: 32
  - .args:
      - .address_space:  global
        .offset:         0
        .size:           8
        .value_kind:     global_buffer
      - .address_space:  global
        .offset:         8
        .size:           8
        .value_kind:     global_buffer
      - .address_space:  global
        .offset:         16
        .size:           8
        .value_kind:     global_buffer
      - .address_space:  global
        .offset:         24
        .size:           8
        .value_kind:     global_buffer
      - .address_space:  global
        .offset:         32
        .size:           8
        .value_kind:     global_buffer
      - .address_space:  global
        .offset:         40
        .size:           8
        .value_kind:     global_buffer
      - .address_space:  global
        .offset:         48
        .size:           8
        .value_kind:     global_buffer
      - .address_space:  global
        .offset:         56
        .size:           8
        .value_kind:     global_buffer
      - .offset:         64
        .size:           4
        .value_kind:     by_value
      - .offset:         68
        .size:           4
        .value_kind:     by_value
      - .offset:         72
        .size:           4
        .value_kind:     by_value
      - .offset:         76
        .size:           4
        .value_kind:     by_value
      - .offset:         80
        .size:           4
        .value_kind:     by_value
      - .offset:         84
        .size:           4
        .value_kind:     by_value
      - .offset:         88
        .size:           4
        .value_kind:     by_value
      - .offset:         92
        .size:           12
        .value_kind:     by_value
      - .offset:         104
        .size:           4
        .value_kind:     by_value
      - .offset:         108
        .size:           4
        .value_kind:     by_value
      - .offset:         112
        .size:           4
        .value_kind:     by_value
      - .offset:         116
        .size:           4
        .value_kind:     by_value
      - .offset:         120
        .size:           4
        .value_kind:     by_value
      - .offset:         124
        .size:           4
        .value_kind:     by_value
      - .offset:         128
        .size:           4
        .value_kind:     by_value
      - .offset:         132
        .size:           4
        .value_kind:     by_value
      - .offset:         136
        .size:           4
        .value_kind:     by_value
      - .offset:         140
        .size:           4
        .value_kind:     by_value
      - .offset:         144
        .size:           4
        .value_kind:     by_value
      - .offset:         152
        .size:           8
        .value_kind:     by_value
      - .offset:         160
        .size:           4
        .value_kind:     by_value
      - .offset:         164
        .size:           4
        .value_kind:     by_value
      - .offset:         168
        .size:           8
        .value_kind:     by_value
      - .offset:         176
        .size:           4
        .value_kind:     by_value
      - .offset:         180
        .size:           4
        .value_kind:     by_value
      - .offset:         184
        .size:           4
        .value_kind:     by_value
      - .offset:         188
        .size:           4
        .value_kind:     by_value
      - .offset:         192
        .size:           4
        .value_kind:     by_value
      - .offset:         200
        .size:           8
        .value_kind:     by_value
      - .offset:         208
        .size:           4
        .value_kind:     hidden_block_count_x
      - .offset:         212
        .size:           4
        .value_kind:     hidden_block_count_y
      - .offset:         216
        .size:           4
        .value_kind:     hidden_block_count_z
      - .offset:         220
        .size:           2
        .value_kind:     hidden_group_size_x
      - .offset:         222
        .size:           2
        .value_kind:     hidden_group_size_y
      - .offset:         224
        .size:           2
        .value_kind:     hidden_group_size_z
      - .offset:         226
        .size:           2
        .value_kind:     hidden_remainder_x
      - .offset:         228
        .size:           2
        .value_kind:     hidden_remainder_y
      - .offset:         230
        .size:           2
        .value_kind:     hidden_remainder_z
      - .offset:         248
        .size:           8
        .value_kind:     hidden_global_offset_x
      - .offset:         256
        .size:           8
        .value_kind:     hidden_global_offset_y
      - .offset:         264
        .size:           8
        .value_kind:     hidden_global_offset_z
      - .offset:         272
        .size:           2
        .value_kind:     hidden_grid_dims
      - .offset:         288
        .size:           8
        .value_kind:     hidden_hostcall_buffer
    .group_segment_fixed_size: 0
    .kernarg_segment_align: 8
    .kernarg_segment_size: 464
    .language:       OpenCL C
    .language_version:
      - 2
      - 0
    .max_flat_workgroup_size: 256
    .name:           _ZL15flash_attn_tileILi96ELi96ELi64ELi1ELb1EEvPKcS1_S1_S1_S1_PKiPfP15HIP_vector_typeIfLj2EEffffjfiS5_IjLj3EEiiiiiiiiiiiliiliiiiil
    .private_segment_fixed_size: 16
    .sgpr_count:     36
    .sgpr_spill_count: 0
    .symbol:         _ZL15flash_attn_tileILi96ELi96ELi64ELi1ELb1EEvPKcS1_S1_S1_S1_PKiPfP15HIP_vector_typeIfLj2EEffffjfiS5_IjLj3EEiiiiiiiiiiiliiliiiiil.kd
    .uniform_work_group_size: 1
    .uses_dynamic_stack: false
    .vgpr_count:     50
    .vgpr_spill_count: 0
    .wavefront_size: 32
  - .args:
      - .address_space:  global
        .offset:         0
        .size:           8
        .value_kind:     global_buffer
      - .address_space:  global
        .offset:         8
        .size:           8
        .value_kind:     global_buffer
      - .address_space:  global
        .offset:         16
        .size:           8
        .value_kind:     global_buffer
      - .address_space:  global
        .offset:         24
        .size:           8
        .value_kind:     global_buffer
      - .address_space:  global
        .offset:         32
        .size:           8
        .value_kind:     global_buffer
      - .address_space:  global
        .offset:         40
        .size:           8
        .value_kind:     global_buffer
      - .address_space:  global
        .offset:         48
        .size:           8
        .value_kind:     global_buffer
      - .address_space:  global
        .offset:         56
        .size:           8
        .value_kind:     global_buffer
      - .offset:         64
        .size:           4
        .value_kind:     by_value
      - .offset:         68
        .size:           4
        .value_kind:     by_value
      - .offset:         72
        .size:           4
        .value_kind:     by_value
      - .offset:         76
        .size:           4
        .value_kind:     by_value
      - .offset:         80
        .size:           4
        .value_kind:     by_value
      - .offset:         84
        .size:           4
        .value_kind:     by_value
      - .offset:         88
        .size:           4
        .value_kind:     by_value
      - .offset:         92
        .size:           12
        .value_kind:     by_value
      - .offset:         104
        .size:           4
        .value_kind:     by_value
      - .offset:         108
        .size:           4
        .value_kind:     by_value
      - .offset:         112
        .size:           4
        .value_kind:     by_value
      - .offset:         116
        .size:           4
        .value_kind:     by_value
      - .offset:         120
        .size:           4
        .value_kind:     by_value
      - .offset:         124
        .size:           4
        .value_kind:     by_value
      - .offset:         128
        .size:           4
        .value_kind:     by_value
      - .offset:         132
        .size:           4
        .value_kind:     by_value
      - .offset:         136
        .size:           4
        .value_kind:     by_value
      - .offset:         140
        .size:           4
        .value_kind:     by_value
      - .offset:         144
        .size:           4
        .value_kind:     by_value
      - .offset:         152
        .size:           8
        .value_kind:     by_value
      - .offset:         160
        .size:           4
        .value_kind:     by_value
      - .offset:         164
        .size:           4
        .value_kind:     by_value
      - .offset:         168
        .size:           8
        .value_kind:     by_value
      - .offset:         176
        .size:           4
        .value_kind:     by_value
      - .offset:         180
        .size:           4
        .value_kind:     by_value
      - .offset:         184
        .size:           4
        .value_kind:     by_value
      - .offset:         188
        .size:           4
        .value_kind:     by_value
      - .offset:         192
        .size:           4
        .value_kind:     by_value
      - .offset:         200
        .size:           8
        .value_kind:     by_value
      - .offset:         208
        .size:           4
        .value_kind:     hidden_block_count_x
      - .offset:         212
        .size:           4
        .value_kind:     hidden_block_count_y
      - .offset:         216
        .size:           4
        .value_kind:     hidden_block_count_z
      - .offset:         220
        .size:           2
        .value_kind:     hidden_group_size_x
      - .offset:         222
        .size:           2
        .value_kind:     hidden_group_size_y
      - .offset:         224
        .size:           2
        .value_kind:     hidden_group_size_z
      - .offset:         226
        .size:           2
        .value_kind:     hidden_remainder_x
      - .offset:         228
        .size:           2
        .value_kind:     hidden_remainder_y
      - .offset:         230
        .size:           2
        .value_kind:     hidden_remainder_z
      - .offset:         248
        .size:           8
        .value_kind:     hidden_global_offset_x
      - .offset:         256
        .size:           8
        .value_kind:     hidden_global_offset_y
      - .offset:         264
        .size:           8
        .value_kind:     hidden_global_offset_z
      - .offset:         272
        .size:           2
        .value_kind:     hidden_grid_dims
      - .offset:         288
        .size:           8
        .value_kind:     hidden_hostcall_buffer
    .group_segment_fixed_size: 0
    .kernarg_segment_align: 8
    .kernarg_segment_size: 464
    .language:       OpenCL C
    .language_version:
      - 2
      - 0
    .max_flat_workgroup_size: 256
    .name:           _ZL15flash_attn_tileILi96ELi96ELi32ELi1ELb1EEvPKcS1_S1_S1_S1_PKiPfP15HIP_vector_typeIfLj2EEffffjfiS5_IjLj3EEiiiiiiiiiiiliiliiiiil
    .private_segment_fixed_size: 16
    .sgpr_count:     36
    .sgpr_spill_count: 0
    .symbol:         _ZL15flash_attn_tileILi96ELi96ELi32ELi1ELb1EEvPKcS1_S1_S1_S1_PKiPfP15HIP_vector_typeIfLj2EEffffjfiS5_IjLj3EEiiiiiiiiiiiliiliiiiil.kd
    .uniform_work_group_size: 1
    .uses_dynamic_stack: false
    .vgpr_count:     50
    .vgpr_spill_count: 0
    .wavefront_size: 32
  - .args:
      - .address_space:  global
        .offset:         0
        .size:           8
        .value_kind:     global_buffer
      - .address_space:  global
        .offset:         8
        .size:           8
        .value_kind:     global_buffer
      - .address_space:  global
        .offset:         16
        .size:           8
        .value_kind:     global_buffer
      - .address_space:  global
        .offset:         24
        .size:           8
        .value_kind:     global_buffer
      - .address_space:  global
        .offset:         32
        .size:           8
        .value_kind:     global_buffer
      - .address_space:  global
        .offset:         40
        .size:           8
        .value_kind:     global_buffer
      - .address_space:  global
        .offset:         48
        .size:           8
        .value_kind:     global_buffer
      - .address_space:  global
        .offset:         56
        .size:           8
        .value_kind:     global_buffer
      - .offset:         64
        .size:           4
        .value_kind:     by_value
      - .offset:         68
        .size:           4
        .value_kind:     by_value
      - .offset:         72
        .size:           4
        .value_kind:     by_value
      - .offset:         76
        .size:           4
        .value_kind:     by_value
      - .offset:         80
        .size:           4
        .value_kind:     by_value
      - .offset:         84
        .size:           4
        .value_kind:     by_value
      - .offset:         88
        .size:           4
        .value_kind:     by_value
      - .offset:         92
        .size:           12
        .value_kind:     by_value
      - .offset:         104
        .size:           4
        .value_kind:     by_value
      - .offset:         108
        .size:           4
        .value_kind:     by_value
      - .offset:         112
        .size:           4
        .value_kind:     by_value
      - .offset:         116
        .size:           4
        .value_kind:     by_value
      - .offset:         120
        .size:           4
        .value_kind:     by_value
      - .offset:         124
        .size:           4
        .value_kind:     by_value
      - .offset:         128
        .size:           4
        .value_kind:     by_value
      - .offset:         132
        .size:           4
        .value_kind:     by_value
      - .offset:         136
        .size:           4
        .value_kind:     by_value
      - .offset:         140
        .size:           4
        .value_kind:     by_value
      - .offset:         144
        .size:           4
        .value_kind:     by_value
      - .offset:         152
        .size:           8
        .value_kind:     by_value
      - .offset:         160
        .size:           4
        .value_kind:     by_value
      - .offset:         164
        .size:           4
        .value_kind:     by_value
      - .offset:         168
        .size:           8
        .value_kind:     by_value
      - .offset:         176
        .size:           4
        .value_kind:     by_value
      - .offset:         180
        .size:           4
        .value_kind:     by_value
      - .offset:         184
        .size:           4
        .value_kind:     by_value
      - .offset:         188
        .size:           4
        .value_kind:     by_value
      - .offset:         192
        .size:           4
        .value_kind:     by_value
      - .offset:         200
        .size:           8
        .value_kind:     by_value
      - .offset:         208
        .size:           4
        .value_kind:     hidden_block_count_x
      - .offset:         212
        .size:           4
        .value_kind:     hidden_block_count_y
      - .offset:         216
        .size:           4
        .value_kind:     hidden_block_count_z
      - .offset:         220
        .size:           2
        .value_kind:     hidden_group_size_x
      - .offset:         222
        .size:           2
        .value_kind:     hidden_group_size_y
      - .offset:         224
        .size:           2
        .value_kind:     hidden_group_size_z
      - .offset:         226
        .size:           2
        .value_kind:     hidden_remainder_x
      - .offset:         228
        .size:           2
        .value_kind:     hidden_remainder_y
      - .offset:         230
        .size:           2
        .value_kind:     hidden_remainder_z
      - .offset:         248
        .size:           8
        .value_kind:     hidden_global_offset_x
      - .offset:         256
        .size:           8
        .value_kind:     hidden_global_offset_y
      - .offset:         264
        .size:           8
        .value_kind:     hidden_global_offset_z
      - .offset:         272
        .size:           2
        .value_kind:     hidden_grid_dims
      - .offset:         288
        .size:           8
        .value_kind:     hidden_hostcall_buffer
    .group_segment_fixed_size: 0
    .kernarg_segment_align: 8
    .kernarg_segment_size: 464
    .language:       OpenCL C
    .language_version:
      - 2
      - 0
    .max_flat_workgroup_size: 256
    .name:           _ZL15flash_attn_tileILi96ELi96ELi16ELi1ELb1EEvPKcS1_S1_S1_S1_PKiPfP15HIP_vector_typeIfLj2EEffffjfiS5_IjLj3EEiiiiiiiiiiiliiliiiiil
    .private_segment_fixed_size: 16
    .sgpr_count:     36
    .sgpr_spill_count: 0
    .symbol:         _ZL15flash_attn_tileILi96ELi96ELi16ELi1ELb1EEvPKcS1_S1_S1_S1_PKiPfP15HIP_vector_typeIfLj2EEffffjfiS5_IjLj3EEiiiiiiiiiiiliiliiiiil.kd
    .uniform_work_group_size: 1
    .uses_dynamic_stack: false
    .vgpr_count:     50
    .vgpr_spill_count: 0
    .wavefront_size: 32
  - .args:
      - .address_space:  global
        .offset:         0
        .size:           8
        .value_kind:     global_buffer
      - .address_space:  global
        .offset:         8
        .size:           8
        .value_kind:     global_buffer
      - .address_space:  global
        .offset:         16
        .size:           8
        .value_kind:     global_buffer
      - .address_space:  global
        .offset:         24
        .size:           8
        .value_kind:     global_buffer
      - .address_space:  global
        .offset:         32
        .size:           8
        .value_kind:     global_buffer
      - .address_space:  global
        .offset:         40
        .size:           8
        .value_kind:     global_buffer
      - .address_space:  global
        .offset:         48
        .size:           8
        .value_kind:     global_buffer
      - .address_space:  global
        .offset:         56
        .size:           8
        .value_kind:     global_buffer
      - .offset:         64
        .size:           4
        .value_kind:     by_value
      - .offset:         68
        .size:           4
        .value_kind:     by_value
      - .offset:         72
        .size:           4
        .value_kind:     by_value
      - .offset:         76
        .size:           4
        .value_kind:     by_value
      - .offset:         80
        .size:           4
        .value_kind:     by_value
      - .offset:         84
        .size:           4
        .value_kind:     by_value
      - .offset:         88
        .size:           4
        .value_kind:     by_value
      - .offset:         92
        .size:           12
        .value_kind:     by_value
      - .offset:         104
        .size:           4
        .value_kind:     by_value
      - .offset:         108
        .size:           4
        .value_kind:     by_value
      - .offset:         112
        .size:           4
        .value_kind:     by_value
      - .offset:         116
        .size:           4
        .value_kind:     by_value
      - .offset:         120
        .size:           4
        .value_kind:     by_value
      - .offset:         124
        .size:           4
        .value_kind:     by_value
      - .offset:         128
        .size:           4
        .value_kind:     by_value
      - .offset:         132
        .size:           4
        .value_kind:     by_value
      - .offset:         136
        .size:           4
        .value_kind:     by_value
      - .offset:         140
        .size:           4
        .value_kind:     by_value
      - .offset:         144
        .size:           4
        .value_kind:     by_value
      - .offset:         152
        .size:           8
        .value_kind:     by_value
      - .offset:         160
        .size:           4
        .value_kind:     by_value
      - .offset:         164
        .size:           4
        .value_kind:     by_value
      - .offset:         168
        .size:           8
        .value_kind:     by_value
      - .offset:         176
        .size:           4
        .value_kind:     by_value
      - .offset:         180
        .size:           4
        .value_kind:     by_value
      - .offset:         184
        .size:           4
        .value_kind:     by_value
      - .offset:         188
        .size:           4
        .value_kind:     by_value
      - .offset:         192
        .size:           4
        .value_kind:     by_value
      - .offset:         200
        .size:           8
        .value_kind:     by_value
      - .offset:         208
        .size:           4
        .value_kind:     hidden_block_count_x
      - .offset:         212
        .size:           4
        .value_kind:     hidden_block_count_y
      - .offset:         216
        .size:           4
        .value_kind:     hidden_block_count_z
      - .offset:         220
        .size:           2
        .value_kind:     hidden_group_size_x
      - .offset:         222
        .size:           2
        .value_kind:     hidden_group_size_y
      - .offset:         224
        .size:           2
        .value_kind:     hidden_group_size_z
      - .offset:         226
        .size:           2
        .value_kind:     hidden_remainder_x
      - .offset:         228
        .size:           2
        .value_kind:     hidden_remainder_y
      - .offset:         230
        .size:           2
        .value_kind:     hidden_remainder_z
      - .offset:         248
        .size:           8
        .value_kind:     hidden_global_offset_x
      - .offset:         256
        .size:           8
        .value_kind:     hidden_global_offset_y
      - .offset:         264
        .size:           8
        .value_kind:     hidden_global_offset_z
      - .offset:         272
        .size:           2
        .value_kind:     hidden_grid_dims
      - .offset:         288
        .size:           8
        .value_kind:     hidden_hostcall_buffer
    .group_segment_fixed_size: 0
    .kernarg_segment_align: 8
    .kernarg_segment_size: 464
    .language:       OpenCL C
    .language_version:
      - 2
      - 0
    .max_flat_workgroup_size: 256
    .name:           _ZL15flash_attn_tileILi96ELi96ELi8ELi1ELb1EEvPKcS1_S1_S1_S1_PKiPfP15HIP_vector_typeIfLj2EEffffjfiS5_IjLj3EEiiiiiiiiiiiliiliiiiil
    .private_segment_fixed_size: 16
    .sgpr_count:     36
    .sgpr_spill_count: 0
    .symbol:         _ZL15flash_attn_tileILi96ELi96ELi8ELi1ELb1EEvPKcS1_S1_S1_S1_PKiPfP15HIP_vector_typeIfLj2EEffffjfiS5_IjLj3EEiiiiiiiiiiiliiliiiiil.kd
    .uniform_work_group_size: 1
    .uses_dynamic_stack: false
    .vgpr_count:     50
    .vgpr_spill_count: 0
    .wavefront_size: 32
  - .args:
      - .address_space:  global
        .offset:         0
        .size:           8
        .value_kind:     global_buffer
      - .address_space:  global
        .offset:         8
        .size:           8
        .value_kind:     global_buffer
      - .address_space:  global
        .offset:         16
        .size:           8
        .value_kind:     global_buffer
      - .address_space:  global
        .offset:         24
        .size:           8
        .value_kind:     global_buffer
      - .address_space:  global
        .offset:         32
        .size:           8
        .value_kind:     global_buffer
      - .address_space:  global
        .offset:         40
        .size:           8
        .value_kind:     global_buffer
      - .address_space:  global
        .offset:         48
        .size:           8
        .value_kind:     global_buffer
      - .address_space:  global
        .offset:         56
        .size:           8
        .value_kind:     global_buffer
      - .offset:         64
        .size:           4
        .value_kind:     by_value
      - .offset:         68
        .size:           4
        .value_kind:     by_value
      - .offset:         72
        .size:           4
        .value_kind:     by_value
      - .offset:         76
        .size:           4
        .value_kind:     by_value
      - .offset:         80
        .size:           4
        .value_kind:     by_value
      - .offset:         84
        .size:           4
        .value_kind:     by_value
      - .offset:         88
        .size:           4
        .value_kind:     by_value
      - .offset:         92
        .size:           12
        .value_kind:     by_value
      - .offset:         104
        .size:           4
        .value_kind:     by_value
      - .offset:         108
        .size:           4
        .value_kind:     by_value
      - .offset:         112
        .size:           4
        .value_kind:     by_value
      - .offset:         116
        .size:           4
        .value_kind:     by_value
      - .offset:         120
        .size:           4
        .value_kind:     by_value
      - .offset:         124
        .size:           4
        .value_kind:     by_value
      - .offset:         128
        .size:           4
        .value_kind:     by_value
      - .offset:         132
        .size:           4
        .value_kind:     by_value
      - .offset:         136
        .size:           4
        .value_kind:     by_value
      - .offset:         140
        .size:           4
        .value_kind:     by_value
      - .offset:         144
        .size:           4
        .value_kind:     by_value
      - .offset:         152
        .size:           8
        .value_kind:     by_value
      - .offset:         160
        .size:           4
        .value_kind:     by_value
      - .offset:         164
        .size:           4
        .value_kind:     by_value
      - .offset:         168
        .size:           8
        .value_kind:     by_value
      - .offset:         176
        .size:           4
        .value_kind:     by_value
      - .offset:         180
        .size:           4
        .value_kind:     by_value
      - .offset:         184
        .size:           4
        .value_kind:     by_value
      - .offset:         188
        .size:           4
        .value_kind:     by_value
      - .offset:         192
        .size:           4
        .value_kind:     by_value
      - .offset:         200
        .size:           8
        .value_kind:     by_value
      - .offset:         208
        .size:           4
        .value_kind:     hidden_block_count_x
      - .offset:         212
        .size:           4
        .value_kind:     hidden_block_count_y
      - .offset:         216
        .size:           4
        .value_kind:     hidden_block_count_z
      - .offset:         220
        .size:           2
        .value_kind:     hidden_group_size_x
      - .offset:         222
        .size:           2
        .value_kind:     hidden_group_size_y
      - .offset:         224
        .size:           2
        .value_kind:     hidden_group_size_z
      - .offset:         226
        .size:           2
        .value_kind:     hidden_remainder_x
      - .offset:         228
        .size:           2
        .value_kind:     hidden_remainder_y
      - .offset:         230
        .size:           2
        .value_kind:     hidden_remainder_z
      - .offset:         248
        .size:           8
        .value_kind:     hidden_global_offset_x
      - .offset:         256
        .size:           8
        .value_kind:     hidden_global_offset_y
      - .offset:         264
        .size:           8
        .value_kind:     hidden_global_offset_z
      - .offset:         272
        .size:           2
        .value_kind:     hidden_grid_dims
      - .offset:         288
        .size:           8
        .value_kind:     hidden_hostcall_buffer
    .group_segment_fixed_size: 0
    .kernarg_segment_align: 8
    .kernarg_segment_size: 464
    .language:       OpenCL C
    .language_version:
      - 2
      - 0
    .max_flat_workgroup_size: 128
    .name:           _ZL15flash_attn_tileILi96ELi96ELi4ELi1ELb1EEvPKcS1_S1_S1_S1_PKiPfP15HIP_vector_typeIfLj2EEffffjfiS5_IjLj3EEiiiiiiiiiiiliiliiiiil
    .private_segment_fixed_size: 16
    .sgpr_count:     36
    .sgpr_spill_count: 0
    .symbol:         _ZL15flash_attn_tileILi96ELi96ELi4ELi1ELb1EEvPKcS1_S1_S1_S1_PKiPfP15HIP_vector_typeIfLj2EEffffjfiS5_IjLj3EEiiiiiiiiiiiliiliiiiil.kd
    .uniform_work_group_size: 1
    .uses_dynamic_stack: false
    .vgpr_count:     50
    .vgpr_spill_count: 0
    .wavefront_size: 32
  - .args:
      - .address_space:  global
        .offset:         0
        .size:           8
        .value_kind:     global_buffer
      - .address_space:  global
        .offset:         8
        .size:           8
        .value_kind:     global_buffer
      - .address_space:  global
        .offset:         16
        .size:           8
        .value_kind:     global_buffer
      - .address_space:  global
        .offset:         24
        .size:           8
        .value_kind:     global_buffer
      - .address_space:  global
        .offset:         32
        .size:           8
        .value_kind:     global_buffer
      - .address_space:  global
        .offset:         40
        .size:           8
        .value_kind:     global_buffer
      - .address_space:  global
        .offset:         48
        .size:           8
        .value_kind:     global_buffer
      - .address_space:  global
        .offset:         56
        .size:           8
        .value_kind:     global_buffer
      - .offset:         64
        .size:           4
        .value_kind:     by_value
      - .offset:         68
        .size:           4
        .value_kind:     by_value
      - .offset:         72
        .size:           4
        .value_kind:     by_value
      - .offset:         76
        .size:           4
        .value_kind:     by_value
      - .offset:         80
        .size:           4
        .value_kind:     by_value
      - .offset:         84
        .size:           4
        .value_kind:     by_value
      - .offset:         88
        .size:           4
        .value_kind:     by_value
      - .offset:         92
        .size:           12
        .value_kind:     by_value
      - .offset:         104
        .size:           4
        .value_kind:     by_value
      - .offset:         108
        .size:           4
        .value_kind:     by_value
      - .offset:         112
        .size:           4
        .value_kind:     by_value
      - .offset:         116
        .size:           4
        .value_kind:     by_value
      - .offset:         120
        .size:           4
        .value_kind:     by_value
      - .offset:         124
        .size:           4
        .value_kind:     by_value
      - .offset:         128
        .size:           4
        .value_kind:     by_value
      - .offset:         132
        .size:           4
        .value_kind:     by_value
      - .offset:         136
        .size:           4
        .value_kind:     by_value
      - .offset:         140
        .size:           4
        .value_kind:     by_value
      - .offset:         144
        .size:           4
        .value_kind:     by_value
      - .offset:         152
        .size:           8
        .value_kind:     by_value
      - .offset:         160
        .size:           4
        .value_kind:     by_value
      - .offset:         164
        .size:           4
        .value_kind:     by_value
      - .offset:         168
        .size:           8
        .value_kind:     by_value
      - .offset:         176
        .size:           4
        .value_kind:     by_value
      - .offset:         180
        .size:           4
        .value_kind:     by_value
      - .offset:         184
        .size:           4
        .value_kind:     by_value
      - .offset:         188
        .size:           4
        .value_kind:     by_value
      - .offset:         192
        .size:           4
        .value_kind:     by_value
      - .offset:         200
        .size:           8
        .value_kind:     by_value
      - .offset:         208
        .size:           4
        .value_kind:     hidden_block_count_x
      - .offset:         212
        .size:           4
        .value_kind:     hidden_block_count_y
      - .offset:         216
        .size:           4
        .value_kind:     hidden_block_count_z
      - .offset:         220
        .size:           2
        .value_kind:     hidden_group_size_x
      - .offset:         222
        .size:           2
        .value_kind:     hidden_group_size_y
      - .offset:         224
        .size:           2
        .value_kind:     hidden_group_size_z
      - .offset:         226
        .size:           2
        .value_kind:     hidden_remainder_x
      - .offset:         228
        .size:           2
        .value_kind:     hidden_remainder_y
      - .offset:         230
        .size:           2
        .value_kind:     hidden_remainder_z
      - .offset:         248
        .size:           8
        .value_kind:     hidden_global_offset_x
      - .offset:         256
        .size:           8
        .value_kind:     hidden_global_offset_y
      - .offset:         264
        .size:           8
        .value_kind:     hidden_global_offset_z
      - .offset:         272
        .size:           2
        .value_kind:     hidden_grid_dims
      - .offset:         288
        .size:           8
        .value_kind:     hidden_hostcall_buffer
    .group_segment_fixed_size: 0
    .kernarg_segment_align: 8
    .kernarg_segment_size: 464
    .language:       OpenCL C
    .language_version:
      - 2
      - 0
    .max_flat_workgroup_size: 64
    .name:           _ZL15flash_attn_tileILi96ELi96ELi2ELi1ELb1EEvPKcS1_S1_S1_S1_PKiPfP15HIP_vector_typeIfLj2EEffffjfiS5_IjLj3EEiiiiiiiiiiiliiliiiiil
    .private_segment_fixed_size: 16
    .sgpr_count:     36
    .sgpr_spill_count: 0
    .symbol:         _ZL15flash_attn_tileILi96ELi96ELi2ELi1ELb1EEvPKcS1_S1_S1_S1_PKiPfP15HIP_vector_typeIfLj2EEffffjfiS5_IjLj3EEiiiiiiiiiiiliiliiiiil.kd
    .uniform_work_group_size: 1
    .uses_dynamic_stack: false
    .vgpr_count:     50
    .vgpr_spill_count: 0
    .wavefront_size: 32
amdhsa.target:   amdgcn-amd-amdhsa--gfx1250
amdhsa.version:
  - 1
  - 2
...

	.end_amdgpu_metadata
